;; amdgpu-corpus repo=ggml-org/llama.cpp kind=compiled arch=gfx950 opt=O3
	.amdgcn_target "amdgcn-amd-amdhsa--gfx950"
	.amdhsa_code_object_version 6
	.section	.text._ZL15flash_attn_tileILi112ELi112ELi8ELi8ELb0EEvPKcS1_S1_S1_S1_PKiPfP15HIP_vector_typeIfLj2EEffffjfiS5_IjLj3EEiiiiiiiiiiiliiliiiiil,"axG",@progbits,_ZL15flash_attn_tileILi112ELi112ELi8ELi8ELb0EEvPKcS1_S1_S1_S1_PKiPfP15HIP_vector_typeIfLj2EEffffjfiS5_IjLj3EEiiiiiiiiiiiliiliiiiil,comdat
	.globl	_ZL15flash_attn_tileILi112ELi112ELi8ELi8ELb0EEvPKcS1_S1_S1_S1_PKiPfP15HIP_vector_typeIfLj2EEffffjfiS5_IjLj3EEiiiiiiiiiiiliiliiiiil ; -- Begin function _ZL15flash_attn_tileILi112ELi112ELi8ELi8ELb0EEvPKcS1_S1_S1_S1_PKiPfP15HIP_vector_typeIfLj2EEffffjfiS5_IjLj3EEiiiiiiiiiiiliiliiiiil
	.p2align	8
	.type	_ZL15flash_attn_tileILi112ELi112ELi8ELi8ELb0EEvPKcS1_S1_S1_S1_PKiPfP15HIP_vector_typeIfLj2EEffffjfiS5_IjLj3EEiiiiiiiiiiiliiliiiiil,@function
_ZL15flash_attn_tileILi112ELi112ELi8ELi8ELb0EEvPKcS1_S1_S1_S1_PKiPfP15HIP_vector_typeIfLj2EEffffjfiS5_IjLj3EEiiiiiiiiiiiliiliiiiil: ; @_ZL15flash_attn_tileILi112ELi112ELi8ELi8ELb0EEvPKcS1_S1_S1_S1_PKiPfP15HIP_vector_typeIfLj2EEffffjfiS5_IjLj3EEiiiiiiiiiiiliiliiiiil
; %bb.0:
	s_load_dwordx4 s[68:71], s[0:1], 0x5c
	s_load_dwordx2 s[72:73], s[0:1], 0x80
	s_load_dwordx16 s[52:67], s[0:1], 0x0
	s_mov_b64 s[74:75], 0
	s_waitcnt lgkmcnt(0)
	s_ashr_i32 s5, s71, 31
	s_lshr_b32 s5, s5, 29
	s_add_i32 s5, s71, s5
	s_ashr_i32 s5, s5, 3
	v_cvt_f32_u32_e32 v1, s5
	s_sub_i32 s6, 0, s5
	v_rcp_iflag_f32_e32 v1, v1
	s_nop 0
	v_mul_f32_e32 v1, 0x4f7ffffe, v1
	v_cvt_u32_f32_e32 v1, v1
	s_nop 0
	v_readfirstlane_b32 s7, v1
	s_mul_i32 s6, s6, s7
	s_mul_hi_u32 s6, s7, s6
	s_add_i32 s7, s7, s6
	s_mul_hi_u32 s6, s4, s7
	s_mul_i32 s7, s6, s5
	s_sub_i32 s7, s4, s7
	s_add_i32 s8, s6, 1
	s_sub_i32 s9, s7, s5
	s_cmp_ge_u32 s7, s5
	s_cselect_b32 s6, s8, s6
	s_cselect_b32 s7, s9, s7
	s_add_i32 s8, s6, 1
	s_cmp_ge_u32 s7, s5
	s_cselect_b32 s33, s8, s6
	s_abs_i32 s5, s73
	v_cvt_f32_u32_e32 v1, s5
	s_sub_i32 s8, 0, s5
	s_abs_i32 s7, s71
	s_xor_b32 s6, s71, s73
	v_rcp_iflag_f32_e32 v1, v1
	s_lshl_b32 s4, s4, 3
	s_ashr_i32 s6, s6, 31
	v_mul_f32_e32 v1, 0x4f7ffffe, v1
	v_cvt_u32_f32_e32 v1, v1
	s_nop 0
	v_readfirstlane_b32 s9, v1
	s_mul_i32 s8, s8, s9
	s_mul_hi_u32 s8, s9, s8
	s_add_i32 s9, s9, s8
	s_mul_hi_u32 s8, s7, s9
	s_mul_i32 s9, s8, s5
	s_sub_i32 s7, s7, s9
	s_add_i32 s10, s8, 1
	s_sub_i32 s9, s7, s5
	s_cmp_ge_u32 s7, s5
	s_cselect_b32 s8, s10, s8
	s_cselect_b32 s7, s9, s7
	s_add_i32 s9, s8, 1
	s_cmp_ge_u32 s7, s5
	s_cselect_b32 s5, s9, s8
	s_xor_b32 s5, s5, s6
	s_sub_i32 s13, s5, s6
	s_abs_i32 s12, s13
	v_cvt_f32_u32_e32 v1, s12
	s_load_dwordx2 s[8:9], s[0:1], 0xb8
	s_mul_i32 s5, s33, s71
	s_cmp_eq_u64 s[58:59], 0
	v_rcp_iflag_f32_e32 v1, v1
	s_nop 0
	v_mul_f32_e32 v1, 0x4f7ffffe, v1
	v_cvt_u32_f32_e32 v1, v1
	s_nop 0
	v_readfirstlane_b32 s14, v1
	s_cbranch_scc1 .LBB0_2
; %bb.1:
	s_waitcnt lgkmcnt(0)
	s_abs_i32 s8, s8
	v_cvt_f32_u32_e32 v1, s8
	s_sub_i32 s15, 0, s8
	s_abs_i32 s11, s33
	s_ashr_i32 s10, s33, 31
	v_rcp_iflag_f32_e32 v1, v1
	s_load_dwordx2 s[6:7], s[0:1], 0xc8
	v_mul_f32_e32 v1, 0x4f7ffffe, v1
	v_cvt_u32_f32_e32 v1, v1
	s_nop 0
	v_readfirstlane_b32 s16, v1
	s_mul_i32 s15, s15, s16
	s_mul_hi_u32 s15, s16, s15
	s_add_i32 s16, s16, s15
	s_mul_hi_u32 s15, s11, s16
	s_mul_i32 s15, s15, s8
	s_sub_i32 s11, s11, s15
	s_sub_i32 s15, s11, s8
	s_cmp_ge_u32 s11, s8
	s_cselect_b32 s11, s15, s11
	s_sub_i32 s15, s11, s8
	s_cmp_ge_u32 s11, s8
	s_cselect_b32 s8, s15, s11
	s_xor_b32 s8, s8, s10
	s_sub_i32 s8, s8, s10
	s_ashr_i32 s10, s8, 31
	s_waitcnt lgkmcnt(0)
	s_mul_hi_u32 s11, s6, s8
	s_mul_i32 s10, s6, s10
	s_mul_i32 s7, s7, s8
	s_add_i32 s10, s11, s10
	s_add_i32 s10, s10, s7
	s_mul_i32 s6, s6, s8
	s_add_u32 s74, s58, s6
	s_addc_u32 s75, s59, s10
.LBB0_2:
	v_bfe_u32 v1, v0, 10, 10
	v_lshl_add_u32 v105, s2, 3, v1
	v_and_b32_e32 v106, 0x3ff, v0
	v_mul_hi_u32 v0, s68, v105
	v_add_u32_e32 v0, v105, v0
	v_lshrrev_b32_e32 v0, s69, v0
	v_mul_lo_u32 v0, v0, s70
	s_sub_i32 s50, s4, s5
	v_cmp_gt_u32_e64 s[48:49], 28, v106
	v_sub_u32_e32 v0, v105, v0
	v_lshlrev_b32_e32 v36, 2, v106
	v_lshlrev_b32_e32 v131, 3, v106
	s_and_saveexec_b64 s[10:11], s[48:49]
	s_cbranch_execz .LBB0_4
; %bb.3:
	s_load_dwordx4 s[4:7], s[0:1], 0x70
	s_waitcnt lgkmcnt(0)
	s_mul_i32 s7, s33, s6
	s_ashr_i32 s15, s7, 31
	s_mul_i32 s8, s50, s5
	s_add_u32 s7, s52, s7
	s_addc_u32 s15, s53, s15
	s_ashr_i32 s17, s8, 31
	s_add_u32 s16, s7, s8
	s_mov_b32 s6, s4
	s_addc_u32 s17, s15, s17
	s_ashr_i32 s7, s4, 31
	s_lshr_b64 s[18:19], s[6:7], 2
	s_lshr_b32 s4, s7, 2
	v_mad_u64_u32 v[2:3], s[6:7], s18, v0, 0
	v_mov_b32_e32 v4, v3
	v_mad_u64_u32 v[4:5], s[6:7], s4, v0, v[4:5]
	v_mov_b32_e32 v3, v4
	v_lshl_add_u64 v[2:3], v[2:3], 2, s[16:17]
	v_lshlrev_b32_e32 v4, 2, v36
	v_mov_b32_e32 v5, 0
	s_ashr_i32 s17, s5, 31
	s_mov_b32 s16, s5
	v_lshl_add_u64 v[30:31], v[2:3], 0, v[4:5]
	s_lshr_b64 s[6:7], s[16:17], 2
	s_and_b32 s16, s5, -4
	global_load_dwordx4 v[2:5], v[30:31], off
	v_lshl_add_u64 v[6:7], v[30:31], 0, s[16:17]
	v_mad_u64_u32 v[14:15], s[4:5], s6, 12, v[30:31]
	global_load_dwordx4 v[6:9], v[6:7], off
	v_lshl_add_u64 v[10:11], s[6:7], 3, v[30:31]
	s_lshr_b32 s7, s17, 2
	v_mov_b32_e32 v16, v15
	global_load_dwordx4 v[10:13], v[10:11], off
	v_mad_u64_u32 v[16:17], s[4:5], s7, 12, v[16:17]
	v_mov_b32_e32 v15, v16
	global_load_dwordx4 v[14:17], v[14:15], off
	s_andn2_b32 s17, s17, -2.0
	v_lshl_add_u64 v[18:19], s[16:17], 2, v[30:31]
	global_load_dwordx4 v[18:21], v[18:19], off
	v_mad_u64_u32 v[22:23], s[4:5], s6, 20, v[30:31]
	v_mov_b32_e32 v24, v23
	v_mad_u64_u32 v[24:25], s[4:5], s7, 20, v[24:25]
	v_mov_b32_e32 v23, v24
	global_load_dwordx4 v[22:25], v[22:23], off
	v_mad_u64_u32 v[26:27], s[4:5], s6, 24, v[30:31]
	v_mov_b32_e32 v28, v27
	v_mad_u64_u32 v[28:29], s[4:5], s7, 24, v[28:29]
	v_mov_b32_e32 v27, v28
	s_movk_i32 s4, 0x700
	global_load_dwordx4 v[26:29], v[26:27], off
	v_mad_u32_u24 v34, v1, s4, v131
	v_mad_u64_u32 v[30:31], s[4:5], s6, 28, v[30:31]
	v_mov_b32_e32 v32, v31
	v_mad_u64_u32 v[32:33], s[4:5], s7, 28, v[32:33]
	v_mov_b32_e32 v31, v32
	global_load_dwordx4 v[30:33], v[30:31], off
	s_load_dword s8, s[0:1], 0x40
	s_waitcnt vmcnt(7) lgkmcnt(0)
	v_fma_mixlo_f16 v2, s8, v2, 0
	v_fma_mixlo_f16 v3, s8, v3, 0
	;; [unrolled: 1-line block ×4, first 2 shown]
	v_lshlrev_b32_e32 v3, 16, v3
	v_and_b32_e32 v2, 0xffff, v2
	v_lshlrev_b32_e32 v5, 16, v5
	v_and_b32_e32 v4, 0xffff, v4
	s_waitcnt vmcnt(6)
	v_fma_mixlo_f16 v6, s8, v6, 0
	v_fma_mixlo_f16 v7, s8, v7, 0
	;; [unrolled: 1-line block ×4, first 2 shown]
	s_waitcnt vmcnt(5)
	v_fma_mixlo_f16 v10, s8, v10, 0
	v_fma_mixlo_f16 v11, s8, v11, 0
	v_or_b32_e32 v2, v3, v2
	v_or3_b32 v3, v5, v4, 0
	v_lshlrev_b32_e32 v4, 16, v7
	v_and_b32_e32 v5, 0xffff, v6
	v_lshlrev_b32_e32 v6, 16, v9
	v_and_b32_e32 v7, 0xffff, v8
	;; [unrolled: 2-line block ×3, first 2 shown]
	v_or_b32_e32 v4, v4, v5
	v_or3_b32 v2, 0, 0, v2
	v_or3_b32 v5, v6, v7, 0
	v_or_b32_e32 v6, v8, v9
	v_or3_b32 v4, 0, 0, v4
	s_waitcnt vmcnt(4)
	v_fma_mixlo_f16 v8, s8, v14, 0
	v_fma_mixlo_f16 v9, s8, v15, 0
	ds_write2_b64 v34, v[2:3], v[4:5] offset1:28
	v_lshlrev_b32_e32 v2, 16, v9
	v_and_b32_e32 v3, 0xffff, v8
	v_fma_mixlo_f16 v12, s8, v12, 0
	v_fma_mixlo_f16 v13, s8, v13, 0
	v_or_b32_e32 v2, v2, v3
	v_fma_mixlo_f16 v3, s8, v16, 0
	v_fma_mixlo_f16 v4, s8, v17, 0
	v_lshlrev_b32_e32 v10, 16, v13
	v_and_b32_e32 v11, 0xffff, v12
	v_lshlrev_b32_e32 v4, 16, v4
	v_and_b32_e32 v3, 0xffff, v3
	v_or3_b32 v7, v10, v11, 0
	v_or3_b32 v6, 0, 0, v6
	;; [unrolled: 1-line block ×4, first 2 shown]
	ds_write2_b64 v34, v[6:7], v[2:3] offset0:56 offset1:84
	s_waitcnt vmcnt(3)
	v_fma_mixlo_f16 v2, s8, v18, 0
	v_fma_mixlo_f16 v3, s8, v19, 0
	v_lshlrev_b32_e32 v3, 16, v3
	v_and_b32_e32 v2, 0xffff, v2
	v_or_b32_e32 v2, v3, v2
	v_fma_mixlo_f16 v3, s8, v20, 0
	v_fma_mixlo_f16 v4, s8, v21, 0
	v_lshlrev_b32_e32 v4, 16, v4
	v_and_b32_e32 v3, 0xffff, v3
	v_or3_b32 v3, v4, v3, 0
	s_waitcnt vmcnt(2)
	v_fma_mixlo_f16 v4, s8, v22, 0
	v_fma_mixlo_f16 v5, s8, v23, 0
	v_lshlrev_b32_e32 v5, 16, v5
	v_and_b32_e32 v4, 0xffff, v4
	v_or_b32_e32 v4, v5, v4
	v_fma_mixlo_f16 v5, s8, v24, 0
	v_fma_mixlo_f16 v6, s8, v25, 0
	v_lshlrev_b32_e32 v6, 16, v6
	v_and_b32_e32 v5, 0xffff, v5
	v_or3_b32 v2, 0, 0, v2
	v_or3_b32 v5, v6, v5, 0
	;; [unrolled: 1-line block ×3, first 2 shown]
	ds_write2_b64 v34, v[2:3], v[4:5] offset0:112 offset1:140
	s_waitcnt vmcnt(1)
	v_fma_mixlo_f16 v2, s8, v26, 0
	v_fma_mixlo_f16 v3, s8, v27, 0
	v_lshlrev_b32_e32 v3, 16, v3
	v_and_b32_e32 v2, 0xffff, v2
	v_or_b32_e32 v2, v3, v2
	v_fma_mixlo_f16 v3, s8, v28, 0
	v_fma_mixlo_f16 v4, s8, v29, 0
	v_lshlrev_b32_e32 v4, 16, v4
	v_and_b32_e32 v3, 0xffff, v3
	v_or3_b32 v3, v4, v3, 0
	s_waitcnt vmcnt(0)
	v_fma_mixlo_f16 v4, s8, v30, 0
	v_fma_mixlo_f16 v5, s8, v31, 0
	v_lshlrev_b32_e32 v5, 16, v5
	v_and_b32_e32 v4, 0xffff, v4
	v_or_b32_e32 v4, v5, v4
	v_fma_mixlo_f16 v5, s8, v32, 0
	v_fma_mixlo_f16 v6, s8, v33, 0
	v_lshlrev_b32_e32 v6, 16, v6
	v_and_b32_e32 v5, 0xffff, v5
	v_or3_b32 v2, 0, 0, v2
	v_or3_b32 v5, v6, v5, 0
	;; [unrolled: 1-line block ×3, first 2 shown]
	ds_write2_b64 v34, v[2:3], v[4:5] offset0:168 offset1:196
.LBB0_4:
	s_or_b64 exec, exec, s[10:11]
	s_cmp_eq_u64 s[62:63], 0
	s_waitcnt lgkmcnt(0)
	s_barrier
	s_cbranch_scc1 .LBB0_6
; %bb.5:
	s_load_dword s4, s[0:1], 0xd0
	s_mov_b32 s5, 0
	s_waitcnt lgkmcnt(0)
	s_mul_i32 s4, s4, s33
	s_add_i32 s4, s4, s2
	s_lshl_b64 s[4:5], s[4:5], 2
	s_add_u32 s4, s62, s4
	s_addc_u32 s5, s63, s5
	s_load_dword s72, s[4:5], 0x0
.LBB0_6:
	s_lshl_b32 s2, s3, 5
	s_waitcnt lgkmcnt(0)
	s_cmp_lt_i32 s2, s72
	v_mbcnt_lo_u32_b32 v2, -1, 0
	s_cbranch_scc1 .LBB0_41
; %bb.7:
	v_mbcnt_hi_u32_b32 v160, -1, v2
	v_and_b32_e32 v3, 0x60, v160
	v_add_u32_e32 v178, 32, v3
	v_xor_b32_e32 v180, 16, v160
	v_xor_b32_e32 v181, 8, v160
	v_xor_b32_e32 v183, 4, v160
	v_xor_b32_e32 v182, 2, v160
	v_xor_b32_e32 v179, 1, v160
	s_cbranch_execz .LBB0_42
; %bb.8:
	v_mov_b32_e32 v109, 0
	v_mov_b32_e32 v171, 0
	;; [unrolled: 1-line block ×32, first 2 shown]
.LBB0_9:
	v_cmp_lt_i32_e32 vcc, v180, v178
	s_cmp_lg_u64 s[60:61], 0
	s_cselect_b64 s[4:5], -1, 0
	v_cndmask_b32_e32 v8, v160, v180, vcc
	v_lshlrev_b32_e32 v17, 2, v8
	ds_bpermute_b32 v12, v17, v112
	ds_bpermute_b32 v13, v17, v113
	v_cmp_lt_i32_e32 vcc, v181, v178
	ds_bpermute_b32 v8, v17, v114
	ds_bpermute_b32 v9, v17, v115
	v_cndmask_b32_e32 v10, v160, v181, vcc
	v_cmp_lt_i32_e32 vcc, v183, v178
	v_lshlrev_b32_e32 v23, 2, v10
	s_waitcnt lgkmcnt(2)
	v_pk_add_f32 v[12:13], v[112:113], v[12:13]
	v_cndmask_b32_e32 v10, v160, v183, vcc
	v_cmp_lt_i32_e32 vcc, v182, v178
	ds_bpermute_b32 v15, v23, v13
	v_lshlrev_b32_e32 v24, 2, v10
	v_cndmask_b32_e32 v14, v160, v182, vcc
	v_lshlrev_b32_e32 v25, 2, v14
	ds_bpermute_b32 v14, v23, v12
	ds_bpermute_b32 v18, v17, v108
	ds_bpermute_b32 v19, v17, v109
	s_waitcnt lgkmcnt(4)
	v_pk_add_f32 v[8:9], v[114:115], v[8:9]
	v_cmp_lt_i32_e32 vcc, v179, v178
	s_waitcnt lgkmcnt(2)
	v_pk_add_f32 v[12:13], v[12:13], v[14:15]
	ds_bpermute_b32 v14, v24, v12
	ds_bpermute_b32 v15, v24, v13
	s_waitcnt lgkmcnt(2)
	v_pk_add_f32 v[18:19], v[108:109], v[18:19]
	ds_bpermute_b32 v10, v23, v8
	ds_bpermute_b32 v11, v23, v9
	v_cndmask_b32_e32 v16, v160, v179, vcc
	s_waitcnt lgkmcnt(2)
	v_pk_add_f32 v[12:13], v[12:13], v[14:15]
	ds_bpermute_b32 v14, v17, v110
	ds_bpermute_b32 v15, v17, v111
	;; [unrolled: 1-line block ×3, first 2 shown]
	v_lshlrev_b32_e32 v27, 2, v16
	ds_bpermute_b32 v16, v25, v12
	ds_bpermute_b32 v17, v25, v13
	s_waitcnt lgkmcnt(3)
	v_pk_add_f32 v[14:15], v[110:111], v[14:15]
	ds_bpermute_b32 v20, v23, v14
	ds_bpermute_b32 v21, v23, v15
	;; [unrolled: 1-line block ×3, first 2 shown]
	v_pk_add_f32 v[8:9], v[8:9], v[10:11]
	ds_bpermute_b32 v10, v24, v8
	ds_bpermute_b32 v11, v24, v9
	s_waitcnt lgkmcnt(3)
	v_pk_add_f32 v[14:15], v[14:15], v[20:21]
	s_waitcnt lgkmcnt(2)
	v_pk_add_f32 v[18:19], v[18:19], v[22:23]
	v_pk_add_f32 v[12:13], v[12:13], v[16:17]
	ds_bpermute_b32 v16, v24, v14
	ds_bpermute_b32 v17, v24, v15
	;; [unrolled: 1-line block ×4, first 2 shown]
	s_waitcnt lgkmcnt(4)
	v_pk_add_f32 v[8:9], v[8:9], v[10:11]
	ds_bpermute_b32 v10, v25, v8
	s_waitcnt lgkmcnt(3)
	v_pk_add_f32 v[14:15], v[14:15], v[16:17]
	ds_bpermute_b32 v11, v25, v9
	;; [unrolled: 3-line block ×3, first 2 shown]
	ds_bpermute_b32 v17, v25, v15
	ds_bpermute_b32 v20, v25, v18
	;; [unrolled: 1-line block ×3, first 2 shown]
	s_waitcnt lgkmcnt(4)
	v_pk_add_f32 v[8:9], v[8:9], v[10:11]
	ds_bpermute_b32 v10, v27, v8
	s_waitcnt lgkmcnt(3)
	v_pk_add_f32 v[14:15], v[14:15], v[16:17]
	ds_bpermute_b32 v11, v27, v9
	;; [unrolled: 3-line block ×3, first 2 shown]
	ds_bpermute_b32 v23, v27, v13
	ds_bpermute_b32 v16, v27, v14
	ds_bpermute_b32 v17, v27, v15
	ds_bpermute_b32 v26, v27, v18
	ds_bpermute_b32 v27, v27, v19
	s_cmp_eq_u32 s3, 0
	s_cselect_b64 s[6:7], -1, 0
	s_and_b64 s[4:5], s[6:7], s[4:5]
	s_waitcnt lgkmcnt(6)
	v_pk_add_f32 v[24:25], v[8:9], v[10:11]
	s_waitcnt lgkmcnt(4)
	v_pk_add_f32 v[22:23], v[12:13], v[22:23]
	;; [unrolled: 2-line block ×4, first 2 shown]
	s_and_b64 vcc, exec, s[4:5]
	s_cbranch_vccz .LBB0_11
; %bb.10:
	s_ashr_i32 s51, s50, 31
	s_lshl_b64 s[4:5], s[50:51], 2
	s_add_u32 s4, s60, s4
	s_addc_u32 s5, s61, s5
	v_mov_b32_e32 v8, 0
	global_load_dwordx4 v[26:29], v8, s[4:5]
	global_load_dwordx4 v[14:17], v8, s[4:5] offset:16
	v_max_f32_e32 v8, v0, v0
	v_max_f32_e32 v9, v1, v1
	s_mov_b32 s5, 0x3fb8aa3b
	v_max_f32_e32 v10, v2, v2
	s_mov_b32 s2, 0xc2ce8ed0
	s_mov_b32 s4, 0x42b17218
	v_mov_b32_e32 v32, 0x7f800000
	s_waitcnt vmcnt(1)
	v_max_f32_e32 v11, v26, v26
	v_max_f32_e32 v8, v8, v11
	v_max_f32_e32 v12, v27, v27
	v_sub_f32_e32 v0, v0, v8
	v_max_f32_e32 v13, v28, v28
	v_max_f32_e32 v9, v9, v12
	v_sub_f32_e32 v11, v26, v8
	v_mul_f32_e32 v26, 0x3fb8aa3b, v0
	v_max_f32_e32 v10, v10, v13
	v_sub_f32_e32 v1, v1, v9
	v_sub_f32_e32 v12, v27, v9
	v_mul_f32_e32 v27, 0x3fb8aa3b, v11
	v_fma_f32 v34, v0, s5, -v26
	v_rndne_f32_e32 v35, v26
	v_sub_f32_e32 v13, v28, v10
	v_mul_f32_e32 v28, 0x3fb8aa3b, v1
	v_fma_f32 v36, v11, s5, -v27
	v_rndne_f32_e32 v37, v27
	v_fmac_f32_e32 v34, 0x32a5705f, v0
	v_sub_f32_e32 v26, v26, v35
	v_mul_f32_e32 v30, 0x3fb8aa3b, v12
	v_fma_f32 v38, v1, s5, -v28
	v_rndne_f32_e32 v39, v28
	v_fmac_f32_e32 v36, 0x32a5705f, v11
	v_sub_f32_e32 v27, v27, v37
	v_add_f32_e32 v26, v26, v34
	v_fma_f32 v40, v12, s5, -v30
	v_rndne_f32_e32 v41, v30
	v_cvt_i32_f32_e32 v35, v35
	v_fmac_f32_e32 v38, 0x32a5705f, v1
	v_sub_f32_e32 v28, v28, v39
	v_add_f32_e32 v27, v27, v36
	v_exp_f32_e32 v26, v26
	v_cvt_i32_f32_e32 v37, v37
	v_fmac_f32_e32 v40, 0x32a5705f, v12
	v_sub_f32_e32 v30, v30, v41
	v_add_f32_e32 v28, v28, v38
	v_exp_f32_e32 v27, v27
	v_cvt_i32_f32_e32 v39, v39
	v_add_f32_e32 v30, v30, v40
	v_exp_f32_e32 v28, v28
	v_cvt_i32_f32_e32 v41, v41
	v_exp_f32_e32 v30, v30
	v_ldexp_f32 v26, v26, v35
	v_cmp_ngt_f32_e32 vcc, s2, v0
	v_sub_f32_e32 v2, v2, v10
	v_ldexp_f32 v27, v27, v37
	v_cndmask_b32_e32 v26, 0, v26, vcc
	v_cmp_ngt_f32_e32 vcc, s2, v11
	v_mul_f32_e32 v31, 0x3fb8aa3b, v2
	v_ldexp_f32 v28, v28, v39
	v_cndmask_b32_e32 v27, 0, v27, vcc
	v_cmp_ngt_f32_e32 vcc, s2, v1
	v_fma_f32 v42, v2, s5, -v31
	v_rndne_f32_e32 v43, v31
	v_ldexp_f32 v30, v30, v41
	v_cndmask_b32_e32 v28, 0, v28, vcc
	v_cmp_ngt_f32_e32 vcc, s2, v12
	v_mul_f32_e32 v33, 0x3fb8aa3b, v13
	v_fmac_f32_e32 v42, 0x32a5705f, v2
	v_sub_f32_e32 v31, v31, v43
	v_cndmask_b32_e32 v30, 0, v30, vcc
	v_cmp_nlt_f32_e32 vcc, s4, v0
	v_fma_f32 v44, v13, s5, -v33
	v_rndne_f32_e32 v45, v33
	v_add_f32_e32 v31, v31, v42
	v_cndmask_b32_e32 v0, v32, v26, vcc
	v_cvt_i32_f32_e32 v43, v43
	v_fmac_f32_e32 v44, 0x32a5705f, v13
	v_sub_f32_e32 v33, v33, v45
	v_exp_f32_e32 v31, v31
	v_cmp_nlt_f32_e32 vcc, s4, v11
	v_cvt_f16_f32_e32 v11, v0
	v_add_f32_e32 v33, v33, v44
	v_cvt_i32_f32_e32 v45, v45
	v_exp_f32_e32 v33, v33
	v_cndmask_b32_e32 v26, v32, v27, vcc
	v_cmp_nlt_f32_e32 vcc, s4, v1
	v_ldexp_f32 v31, v31, v43
	v_mul_u32_u24_e32 v11, 0x10001, v11
	v_cndmask_b32_e32 v1, v32, v28, vcc
	v_cmp_nlt_f32_e32 vcc, s4, v12
	v_cvt_f16_f32_e32 v28, v1
	v_pk_mul_f16 v171, v171, v11
	v_cndmask_b32_e32 v27, v32, v30, vcc
	v_cmp_ngt_f32_e32 vcc, s2, v2
	v_pk_mul_f16 v174, v174, v11
	v_mul_u32_u24_e32 v12, 0x10001, v28
	v_cndmask_b32_e32 v11, 0, v31, vcc
	v_cmp_nlt_f32_e32 vcc, s4, v2
	v_pk_mul_f16 v163, v163, v12
	v_pk_mul_f16 v164, v164, v12
	v_cndmask_b32_e32 v2, v32, v11, vcc
	v_ldexp_f32 v11, v33, v45
	v_cmp_ngt_f32_e32 vcc, s2, v13
	v_cvt_f16_f32_e32 v12, v2
	v_pk_fma_f32 v[24:25], v[24:25], v[0:1], v[26:27]
	v_cndmask_b32_e32 v11, 0, v11, vcc
	v_cmp_nlt_f32_e32 vcc, s4, v13
	v_max_f32_e32 v13, v3, v3
	v_mul_u32_u24_e32 v12, 0x10001, v12
	v_cndmask_b32_e32 v28, v32, v11, vcc
	v_max_f32_e32 v11, v29, v29
	v_max_f32_e32 v11, v13, v11
	v_sub_f32_e32 v3, v3, v11
	v_mul_f32_e32 v13, 0x3fb8aa3b, v3
	v_fma_f32 v30, v3, s5, -v13
	v_rndne_f32_e32 v31, v13
	v_fmac_f32_e32 v30, 0x32a5705f, v3
	v_sub_f32_e32 v13, v13, v31
	v_add_f32_e32 v13, v13, v30
	v_exp_f32_e32 v13, v13
	v_cvt_i32_f32_e32 v30, v31
	v_pk_mul_f16 v161, v161, v12
	v_pk_mul_f16 v162, v162, v12
	v_cmp_ngt_f32_e32 vcc, s2, v3
	v_ldexp_f32 v12, v13, v30
	v_sub_f32_e32 v13, v29, v11
	v_mul_f32_e32 v29, 0x3fb8aa3b, v13
	v_fma_f32 v30, v13, s5, -v29
	v_rndne_f32_e32 v31, v29
	v_fmac_f32_e32 v30, 0x32a5705f, v13
	v_sub_f32_e32 v29, v29, v31
	v_add_f32_e32 v29, v29, v30
	v_exp_f32_e32 v29, v29
	v_cvt_i32_f32_e32 v30, v31
	v_cndmask_b32_e32 v12, 0, v12, vcc
	v_cmp_nlt_f32_e32 vcc, s4, v3
	s_nop 1
	v_cndmask_b32_e32 v3, v32, v12, vcc
	v_ldexp_f32 v12, v29, v30
	v_cmp_ngt_f32_e32 vcc, s2, v13
	v_max_f32_e32 v30, v4, v4
	s_nop 0
	v_cndmask_b32_e32 v12, 0, v12, vcc
	v_cmp_nlt_f32_e32 vcc, s4, v13
	v_cvt_f16_f32_e32 v13, v3
	v_mul_u32_u24_e32 v13, 0x10001, v13
	v_cndmask_b32_e32 v29, v32, v12, vcc
	s_waitcnt vmcnt(0)
	v_max_f32_e32 v12, v14, v14
	v_max_f32_e32 v12, v30, v12
	v_sub_f32_e32 v4, v4, v12
	v_mul_f32_e32 v30, 0x3fb8aa3b, v4
	v_fma_f32 v31, v4, s5, -v30
	v_rndne_f32_e32 v33, v30
	v_fmac_f32_e32 v31, 0x32a5705f, v4
	v_sub_f32_e32 v30, v30, v33
	v_add_f32_e32 v30, v30, v31
	v_exp_f32_e32 v30, v30
	v_cvt_i32_f32_e32 v31, v33
	v_sub_f32_e32 v14, v14, v12
	v_pk_mul_f16 v158, v158, v13
	v_pk_mul_f16 v159, v159, v13
	v_ldexp_f32 v13, v30, v31
	v_mul_f32_e32 v30, 0x3fb8aa3b, v14
	v_fma_f32 v31, v14, s5, -v30
	v_rndne_f32_e32 v33, v30
	v_fmac_f32_e32 v31, 0x32a5705f, v14
	v_sub_f32_e32 v30, v30, v33
	v_add_f32_e32 v30, v30, v31
	v_exp_f32_e32 v30, v30
	v_cvt_i32_f32_e32 v31, v33
	v_cmp_ngt_f32_e32 vcc, s2, v4
	v_pk_fma_f32 v[22:23], v[22:23], v[2:3], v[28:29]
	s_nop 0
	v_cndmask_b32_e32 v13, 0, v13, vcc
	v_cmp_nlt_f32_e32 vcc, s4, v4
	s_nop 1
	v_cndmask_b32_e32 v4, v32, v13, vcc
	v_ldexp_f32 v13, v30, v31
	v_cmp_ngt_f32_e32 vcc, s2, v14
	v_max_f32_e32 v31, v5, v5
	s_nop 0
	v_cndmask_b32_e32 v13, 0, v13, vcc
	v_cmp_nlt_f32_e32 vcc, s4, v14
	v_cvt_f16_f32_e32 v14, v4
	v_mul_u32_u24_e32 v14, 0x10001, v14
	v_cndmask_b32_e32 v30, v32, v13, vcc
	v_max_f32_e32 v13, v15, v15
	v_max_f32_e32 v13, v31, v13
	v_sub_f32_e32 v5, v5, v13
	v_mul_f32_e32 v31, 0x3fb8aa3b, v5
	v_fma_f32 v33, v5, s5, -v31
	v_rndne_f32_e32 v34, v31
	v_fmac_f32_e32 v33, 0x32a5705f, v5
	v_sub_f32_e32 v31, v31, v34
	v_add_f32_e32 v31, v31, v33
	v_exp_f32_e32 v31, v31
	v_cvt_i32_f32_e32 v33, v34
	v_sub_f32_e32 v15, v15, v13
	v_pk_mul_f16 v156, v156, v14
	v_pk_mul_f16 v157, v157, v14
	v_ldexp_f32 v14, v31, v33
	v_mul_f32_e32 v31, 0x3fb8aa3b, v15
	v_fma_f32 v33, v15, s5, -v31
	v_rndne_f32_e32 v34, v31
	v_fmac_f32_e32 v33, 0x32a5705f, v15
	v_sub_f32_e32 v31, v31, v34
	v_add_f32_e32 v31, v31, v33
	v_exp_f32_e32 v31, v31
	v_cvt_i32_f32_e32 v33, v34
	v_cmp_ngt_f32_e32 vcc, s2, v5
	s_nop 1
	v_cndmask_b32_e32 v14, 0, v14, vcc
	v_cmp_nlt_f32_e32 vcc, s4, v5
	s_nop 1
	v_cndmask_b32_e32 v5, v32, v14, vcc
	v_ldexp_f32 v14, v31, v33
	v_cmp_ngt_f32_e32 vcc, s2, v15
	v_max_f32_e32 v33, v6, v6
	s_nop 0
	v_cndmask_b32_e32 v14, 0, v14, vcc
	v_cmp_nlt_f32_e32 vcc, s4, v15
	v_cvt_f16_f32_e32 v15, v5
	v_mul_u32_u24_e32 v15, 0x10001, v15
	v_cndmask_b32_e32 v31, v32, v14, vcc
	v_max_f32_e32 v14, v16, v16
	v_max_f32_e32 v14, v33, v14
	v_sub_f32_e32 v6, v6, v14
	v_mul_f32_e32 v33, 0x3fb8aa3b, v6
	v_fma_f32 v34, v6, s5, -v33
	v_rndne_f32_e32 v35, v33
	v_fmac_f32_e32 v34, 0x32a5705f, v6
	v_sub_f32_e32 v33, v33, v35
	v_add_f32_e32 v33, v33, v34
	v_exp_f32_e32 v33, v33
	v_cvt_i32_f32_e32 v34, v35
	v_sub_f32_e32 v16, v16, v14
	v_pk_mul_f16 v154, v154, v15
	v_pk_mul_f16 v155, v155, v15
	v_ldexp_f32 v15, v33, v34
	v_mul_f32_e32 v33, 0x3fb8aa3b, v16
	v_fma_f32 v34, v16, s5, -v33
	v_rndne_f32_e32 v35, v33
	v_fmac_f32_e32 v34, 0x32a5705f, v16
	v_sub_f32_e32 v33, v33, v35
	v_add_f32_e32 v33, v33, v34
	v_exp_f32_e32 v33, v33
	v_cvt_i32_f32_e32 v34, v35
	v_cmp_ngt_f32_e32 vcc, s2, v6
	v_pk_fma_f32 v[20:21], v[20:21], v[4:5], v[30:31]
	s_nop 0
	v_cndmask_b32_e32 v15, 0, v15, vcc
	v_cmp_nlt_f32_e32 vcc, s4, v6
	s_nop 1
	v_cndmask_b32_e32 v6, v32, v15, vcc
	v_ldexp_f32 v15, v33, v34
	v_cmp_ngt_f32_e32 vcc, s2, v16
	v_max_f32_e32 v34, v7, v7
	v_cvt_f16_f32_e32 v33, v6
	v_cndmask_b32_e32 v15, 0, v15, vcc
	v_cmp_nlt_f32_e32 vcc, s4, v16
	v_mul_u32_u24_e32 v33, 0x10001, v33
	s_nop 0
	v_cndmask_b32_e32 v16, v32, v15, vcc
	v_max_f32_e32 v15, v17, v17
	v_max_f32_e32 v15, v34, v15
	v_sub_f32_e32 v7, v7, v15
	v_mul_f32_e32 v34, 0x3fb8aa3b, v7
	v_fma_f32 v35, v7, s5, -v34
	v_rndne_f32_e32 v36, v34
	v_fmac_f32_e32 v35, 0x32a5705f, v7
	v_sub_f32_e32 v34, v34, v36
	v_add_f32_e32 v34, v34, v35
	v_exp_f32_e32 v34, v34
	v_cvt_i32_f32_e32 v35, v36
	v_sub_f32_e32 v17, v17, v15
	v_pk_mul_f16 v152, v152, v33
	v_pk_mul_f16 v153, v153, v33
	v_ldexp_f32 v33, v34, v35
	v_mul_f32_e32 v34, 0x3fb8aa3b, v17
	v_fma_f32 v35, v17, s5, -v34
	v_rndne_f32_e32 v36, v34
	v_fmac_f32_e32 v35, 0x32a5705f, v17
	v_sub_f32_e32 v34, v34, v36
	v_add_f32_e32 v34, v34, v35
	v_exp_f32_e32 v34, v34
	v_cvt_i32_f32_e32 v35, v36
	v_cmp_ngt_f32_e32 vcc, s2, v7
	s_nop 1
	v_cndmask_b32_e32 v33, 0, v33, vcc
	v_cmp_nlt_f32_e32 vcc, s4, v7
	s_nop 1
	v_cndmask_b32_e32 v7, v32, v33, vcc
	v_ldexp_f32 v33, v34, v35
	v_cvt_f16_f32_e32 v34, v7
	v_cmp_ngt_f32_e32 vcc, s2, v17
	s_nop 1
	v_cndmask_b32_e32 v33, 0, v33, vcc
	v_cmp_nlt_f32_e32 vcc, s4, v17
	s_nop 1
	v_cndmask_b32_e32 v17, v32, v33, vcc
	v_mul_u32_u24_e32 v32, 0x10001, v34
	v_pk_fma_f32 v[18:19], v[18:19], v[6:7], v[16:17]
	v_mov_b64_e32 v[0:1], v[8:9]
	v_pk_mul_f16 v107, v107, v32
	v_pk_mul_f16 v125, v125, v32
	v_mov_b64_e32 v[2:3], v[10:11]
	v_mov_b64_e32 v[4:5], v[12:13]
	;; [unrolled: 1-line block ×3, first 2 shown]
.LBB0_11:
	v_lshlrev_b32_e32 v28, 2, v106
	v_cmp_gt_i32_e32 vcc, s70, v105
	s_and_saveexec_b64 s[4:5], vcc
	s_cbranch_execz .LBB0_40
; %bb.12:
	s_load_dword s2, s[0:1], 0xd4
	v_mov_b32_e32 v8, 1.0
	s_waitcnt lgkmcnt(0)
	s_cmp_lg_u32 s2, 1
	s_cselect_b64 s[0:1], -1, 0
	s_cmp_eq_u32 s2, 1
	s_cselect_b64 s[6:7], -1, 0
	s_and_b64 vcc, exec, s[0:1]
	s_cbranch_vccnz .LBB0_14
; %bb.13:
	v_div_scale_f32 v8, s[4:5], v24, v24, 1.0
	v_rcp_f32_e32 v9, v8
	v_div_scale_f32 v10, vcc, 1.0, v24, 1.0
	v_fma_f32 v11, -v8, v9, 1.0
	v_fmac_f32_e32 v9, v11, v9
	v_mul_f32_e32 v11, v10, v9
	v_fma_f32 v12, -v8, v11, v10
	v_fmac_f32_e32 v11, v12, v9
	v_fma_f32 v8, -v8, v11, v10
	v_div_fmas_f32 v8, v8, v9, v11
	v_div_fixup_f32 v8, v8, v24, 1.0
.LBB0_14:
	s_mul_i32 s33, s33, s70
	v_add_u32_e32 v9, s33, v105
	v_mul_lo_u32 v9, v9, s71
	v_add_u32_e32 v9, s50, v9
	v_mul_lo_u32 v9, s2, v9
	v_add_u32_e32 v10, s3, v9
	s_and_saveexec_b64 s[4:5], s[48:49]
	s_cbranch_execz .LBB0_16
; %bb.15:
	v_cvt_f32_f16_sdwa v15, v171 dst_sel:DWORD dst_unused:UNUSED_PAD src0_sel:WORD_1
	v_cvt_f32_f16_e32 v14, v171
	v_cvt_f32_f16_sdwa v17, v174 dst_sel:DWORD dst_unused:UNUSED_PAD src0_sel:WORD_1
	v_cvt_f32_f16_e32 v16, v174
	s_movk_i32 s8, 0x70
	v_mad_u64_u32 v[12:13], s[8:9], v10, s8, v[28:29]
	v_mov_b32_e32 v13, 0
	v_lshl_add_u64 v[26:27], v[12:13], 2, s[64:65]
	v_pk_mul_f32 v[12:13], v[8:9], v[14:15] op_sel_hi:[0,1]
	v_pk_mul_f32 v[14:15], v[8:9], v[16:17] op_sel_hi:[0,1]
	global_store_dwordx4 v[26:27], v[12:15], off
.LBB0_16:
	s_or_b64 exec, exec, s[4:5]
	v_cmp_eq_u32_e32 vcc, 0, v106
	s_and_b64 s[4:5], vcc, s[0:1]
	s_and_saveexec_b64 s[0:1], s[4:5]
	s_cbranch_execz .LBB0_18
; %bb.17:
	v_ashrrev_i32_e32 v11, 31, v10
	v_lshl_add_u64 v[10:11], v[10:11], 3, s[66:67]
	v_mov_b32_e32 v12, v0
	v_mov_b32_e32 v13, v24
	global_store_dwordx2 v[10:11], v[12:13], off
.LBB0_18:
	s_or_b64 exec, exec, s[0:1]
	v_cndmask_b32_e64 v0, 0, 1, s[6:7]
	v_cmp_ne_u32_e64 s[0:1], 1, v0
	s_andn2_b64 vcc, exec, s[6:7]
	v_mov_b32_e32 v0, 1.0
	s_cbranch_vccz .LBB0_69
; %bb.19:
	v_add_u32_e32 v10, s2, v9
	v_add_u32_e32 v8, s3, v10
	s_and_saveexec_b64 s[6:7], s[48:49]
	s_cbranch_execnz .LBB0_70
.LBB0_20:
	s_or_b64 exec, exec, s[6:7]
	s_and_saveexec_b64 s[6:7], s[4:5]
	s_cbranch_execnz .LBB0_71
.LBB0_21:
	s_or_b64 exec, exec, s[6:7]
	s_and_b64 vcc, exec, s[0:1]
	v_mov_b32_e32 v8, 1.0
	s_cbranch_vccz .LBB0_72
.LBB0_22:
	v_add_u32_e32 v9, s2, v10
	v_add_u32_e32 v0, s3, v9
	s_and_saveexec_b64 s[6:7], s[48:49]
	s_cbranch_execnz .LBB0_73
.LBB0_23:
	s_or_b64 exec, exec, s[6:7]
	s_and_saveexec_b64 s[6:7], s[4:5]
	s_cbranch_execnz .LBB0_74
.LBB0_24:
	s_or_b64 exec, exec, s[6:7]
	s_and_b64 vcc, exec, s[0:1]
	v_mov_b32_e32 v2, 1.0
	s_cbranch_vccz .LBB0_75
.LBB0_25:
	v_add_u32_e32 v8, s2, v9
	v_add_u32_e32 v0, s3, v8
	s_and_saveexec_b64 s[6:7], s[48:49]
	s_cbranch_execnz .LBB0_76
.LBB0_26:
	s_or_b64 exec, exec, s[6:7]
	s_and_saveexec_b64 s[6:7], s[4:5]
	s_cbranch_execnz .LBB0_77
.LBB0_27:
	s_or_b64 exec, exec, s[6:7]
	s_and_b64 vcc, exec, s[0:1]
	v_mov_b32_e32 v2, 1.0
	s_cbranch_vccz .LBB0_78
.LBB0_28:
	v_add_u32_e32 v3, s2, v8
	v_add_u32_e32 v0, s3, v3
	s_and_saveexec_b64 s[6:7], s[48:49]
	s_cbranch_execnz .LBB0_79
.LBB0_29:
	s_or_b64 exec, exec, s[6:7]
	s_and_saveexec_b64 s[6:7], s[4:5]
	s_cbranch_execnz .LBB0_80
.LBB0_30:
	s_or_b64 exec, exec, s[6:7]
	s_and_b64 vcc, exec, s[0:1]
	v_mov_b32_e32 v2, 1.0
	s_cbranch_vccz .LBB0_81
.LBB0_31:
	v_add_u32_e32 v3, s2, v3
	v_add_u32_e32 v0, s3, v3
	s_and_saveexec_b64 s[6:7], s[48:49]
	s_cbranch_execnz .LBB0_82
.LBB0_32:
	s_or_b64 exec, exec, s[6:7]
	s_and_saveexec_b64 s[6:7], s[4:5]
	s_cbranch_execnz .LBB0_83
.LBB0_33:
	s_or_b64 exec, exec, s[6:7]
	s_and_b64 vcc, exec, s[0:1]
	v_mov_b32_e32 v2, 1.0
	s_cbranch_vccz .LBB0_84
.LBB0_34:
	v_add_u32_e32 v3, s2, v3
	v_add_u32_e32 v0, s3, v3
	s_and_saveexec_b64 s[6:7], s[48:49]
	s_cbranch_execnz .LBB0_85
.LBB0_35:
	s_or_b64 exec, exec, s[6:7]
	s_and_saveexec_b64 s[6:7], s[4:5]
	s_cbranch_execnz .LBB0_86
.LBB0_36:
	s_or_b64 exec, exec, s[6:7]
	s_and_b64 vcc, exec, s[0:1]
	v_mov_b32_e32 v2, 1.0
	s_cbranch_vccz .LBB0_87
.LBB0_37:
	s_add_i32 s3, s3, s2
	v_add_u32_e32 v0, s3, v3
	s_and_saveexec_b64 s[0:1], s[48:49]
	s_cbranch_execnz .LBB0_88
.LBB0_38:
	s_or_b64 exec, exec, s[0:1]
	s_and_b64 exec, exec, s[4:5]
	s_cbranch_execz .LBB0_40
.LBB0_39:
	v_ashrrev_i32_e32 v1, 31, v0
	v_lshl_add_u64 v[0:1], v[0:1], 3, s[66:67]
	v_mov_b32_e32 v18, v7
	global_store_dwordx2 v[0:1], v[18:19], off
.LBB0_40:
	s_endpgm
.LBB0_41:
                                        ; implicit-def: $vgpr160
                                        ; implicit-def: $vgpr178
                                        ; implicit-def: $vgpr180
                                        ; implicit-def: $vgpr181
                                        ; implicit-def: $vgpr183
                                        ; implicit-def: $vgpr182
                                        ; implicit-def: $vgpr179
.LBB0_42:
	s_sub_i32 s4, 0, s12
	s_mul_i32 s4, s4, s14
	s_mul_hi_u32 s4, s14, s4
	s_add_i32 s14, s14, s4
	s_load_dwordx2 s[10:11], s[0:1], 0x8c
	s_load_dwordx4 s[4:7], s[0:1], 0x98
	s_abs_i32 s8, s50
	s_ashr_i32 s17, s50, 31
	s_ashr_i32 s13, s13, 31
	s_waitcnt lgkmcnt(0)
	s_ashr_i32 s58, s10, 2
	s_ashr_i32 s51, s6, 2
	;; [unrolled: 1-line block ×3, first 2 shown]
	s_mul_hi_u32 s10, s4, s33
	s_mul_i32 s18, s4, s6
	s_add_i32 s10, s10, s18
	s_mul_i32 s5, s5, s33
	s_ashr_i32 s9, s9, 1
	s_add_i32 s10, s10, s5
	s_mul_i32 s4, s4, s33
	s_mul_hi_u32 s16, s8, s14
	s_add_u32 s4, s54, s4
	s_addc_u32 s5, s55, s10
	s_xor_b32 s10, s17, s13
	s_mul_i32 s13, s16, s12
	s_sub_i32 s8, s8, s13
	s_add_i32 s13, s16, 1
	s_sub_i32 s17, s8, s12
	s_cmp_ge_u32 s8, s12
	s_cselect_b32 s13, s13, s16
	s_cselect_b32 s8, s17, s8
	s_add_i32 s16, s13, 1
	s_cmp_ge_u32 s8, s12
	v_lshrrev_b32_e32 v4, 1, v106
	s_cselect_b32 s8, s16, s13
	v_lshl_add_u32 v5, v1, 4, v4
	v_lshrrev_b32_e32 v4, 2, v106
	s_load_dwordx2 s[14:15], s[0:1], 0xa8
	s_xor_b32 s8, s8, s10
	v_lshl_add_u32 v7, v1, 3, v4
	v_lshlrev_b32_e32 v4, 7, v106
	s_sub_i32 s8, s8, s10
	v_lshl_add_u32 v3, v1, 5, v106
	v_add_u32_e32 v165, 0x3800, v4
	v_add_u32_e32 v167, 0x3860, v4
	v_and_b32_e32 v4, 4, v36
	s_mul_i32 s10, s8, s11
	v_cmp_gt_u32_e32 vcc, 32, v3
	v_mul_lo_u32 v116, s58, v3
	v_lshlrev_b32_e32 v3, 2, v4
	s_ashr_i32 s11, s10, 31
	v_lshl_or_b32 v6, v5, 7, v3
	s_add_u32 s59, s4, s10
	v_add_u32_e32 v168, 0x3840, v6
	v_and_b32_e32 v6, 12, v36
	s_addc_u32 s62, s5, s11
	s_waitcnt lgkmcnt(0)
	s_mul_hi_u32 s4, s14, s33
	s_mul_i32 s5, s14, s6
	v_lshlrev_b32_e32 v8, 2, v6
	s_add_i32 s4, s4, s5
	s_mul_i32 s5, s15, s33
	v_lshl_or_b32 v9, v7, 7, v8
	s_add_i32 s4, s4, s5
	s_mul_i32 s5, s14, s33
	v_add_u32_e32 v169, 0x3800, v9
	v_mov_b32_e32 v9, 0x4840
	s_add_u32 s5, s56, s5
	s_mul_i32 s8, s8, s7
	v_lshl_add_u32 v170, v1, 9, v9
	v_lshrrev_b32_e32 v9, 3, v106
	s_addc_u32 s4, s57, s4
	s_ashr_i32 s6, s8, 31
	v_mul_u32_u24_e32 v166, 0x700, v1
	v_lshl_add_u32 v1, v1, 2, v9
	v_mul_u32_u24_e32 v9, 0xe0, v5
	s_add_u32 s63, s5, s8
	v_or_b32_e32 v3, v9, v3
	s_addc_u32 s68, s4, s6
	v_mad_u64_u32 v[124:125], s[8:9], v0, s9, v[106:107]
	v_add_u32_e32 v172, 0x38c0, v3
	v_mul_u32_u24_e32 v3, 0xe0, v7
	s_movk_i32 s15, 0x3880
	v_and_b32_e32 v130, 28, v36
	v_cmp_gt_u32_e64 s[4:5], 32, v5
	s_movk_i32 s14, 0x3800
	v_mul_lo_u32 v118, s58, v5
	v_mov_b32_e32 v121, 0
	v_mul_lo_u32 v122, s58, v7
	v_lshlrev_b32_e32 v0, 4, v106
	v_cmp_gt_u32_e64 s[8:9], 16, v5
	v_mul_lo_u32 v126, s51, v5
	v_add3_u32 v173, v3, v8, s15
	v_mul_lo_u32 v128, s51, v7
	v_mul_u32_u24_e32 v3, 0xe0, v1
	v_lshlrev_b32_e32 v5, 2, v130
	v_mul_lo_u32 v132, s51, v1
	s_add_u32 s52, s0, 0xd0
	v_cmp_gt_u32_e64 s[6:7], 32, v7
	v_ashrrev_i32_e32 v117, 31, v116
	v_ashrrev_i32_e32 v119, 31, v118
	;; [unrolled: 1-line block ×3, first 2 shown]
	v_cmp_gt_u32_e64 s[10:11], 16, v7
	v_cmp_gt_u32_e64 s[12:13], 16, v1
	v_ashrrev_i32_e32 v127, 31, v126
	v_ashrrev_i32_e32 v129, 31, v128
	v_add3_u32 v175, v3, v5, s14
	v_ashrrev_i32_e32 v133, 31, v132
	s_addc_u32 s53, s1, 0
	v_mov_b32_e32 v8, 0xfeffffff
	s_mov_b32 s69, 0x3fb8aa3b
	s_mov_b32 s73, 0xc2ce8ed0
	;; [unrolled: 1-line block ×3, first 2 shown]
	v_add_u32_e32 v176, v170, v0
	s_mov_b32 s77, 0x10001
	v_lshlrev_b32_e32 v120, 2, v4
	v_lshlrev_b32_e32 v134, 2, v6
	v_mbcnt_hi_u32_b32 v160, -1, v2
	v_mov_b32_e32 v177, 0x7f800000
	v_mov_b32_e32 v125, v121
	;; [unrolled: 1-line block ×32, first 2 shown]
.LBB0_43:                               ; =>This Inner Loop Header: Depth=1
	s_mul_hi_i32 s15, s2, s58
	s_mul_i32 s14, s2, s58
	s_lshl_b64 s[14:15], s[14:15], 2
	s_add_u32 s14, s59, s14
	s_addc_u32 s15, s62, s15
	v_lshl_add_u64 v[4:5], v[116:117], 2, s[14:15]
	s_and_saveexec_b64 s[16:17], vcc
	s_cbranch_execnz .LBB0_61
; %bb.44:                               ;   in Loop: Header=BB0_43 Depth=1
	s_or_b64 exec, exec, s[16:17]
	v_lshl_add_u64 v[0:1], v[118:119], 2, s[14:15]
	s_and_saveexec_b64 s[16:17], s[4:5]
	s_cbranch_execnz .LBB0_62
.LBB0_45:                               ;   in Loop: Header=BB0_43 Depth=1
	s_or_b64 exec, exec, s[16:17]
	v_lshl_add_u64 v[2:3], v[122:123], 2, s[14:15]
	s_and_saveexec_b64 s[14:15], s[6:7]
	s_cbranch_execz .LBB0_47
.LBB0_46:                               ;   in Loop: Header=BB0_43 Depth=1
	v_mov_b32_e32 v135, v121
	v_lshl_add_u64 v[6:7], v[2:3], 0, v[134:135]
	global_load_dwordx4 v[16:19], v[6:7], off
	s_waitcnt vmcnt(0)
	ds_write_b128 v169, v[16:19]
.LBB0_47:                               ;   in Loop: Header=BB0_43 Depth=1
	s_or_b64 exec, exec, s[14:15]
	v_mov_b32_e32 v21, 0
	s_waitcnt lgkmcnt(0)
	s_barrier
	ds_read_b128 v[22:25], v165
	ds_read_b128 v[16:19], v166
	ds_read_b128 v[26:29], v166 offset:224
	ds_read_b128 v[30:33], v166 offset:448
	;; [unrolled: 1-line block ×7, first 2 shown]
	s_waitcnt lgkmcnt(7)
	;;#ASMSTART
	v_dot2_f32_f16 v21, v22, v16, v21
	;;#ASMEND
	v_mov_b32_e32 v20, 0
	;;#ASMSTART
	v_dot2_f32_f16 v21, v23, v17, v21
	;;#ASMEND
	v_mov_b32_e32 v17, 0
	;; [unrolled: 4-line block ×3, first 2 shown]
	;;#ASMSTART
	v_dot2_f32_f16 v21, v25, v19, v21
	;;#ASMEND
	s_waitcnt lgkmcnt(6)
	;;#ASMSTART
	v_dot2_f32_f16 v20, v22, v26, v20
	;;#ASMEND
	v_mov_b32_e32 v19, 0
	;;#ASMSTART
	v_dot2_f32_f16 v20, v23, v27, v20
	;;#ASMEND
	v_mov_b32_e32 v16, 0
	;; [unrolled: 4-line block ×3, first 2 shown]
	;;#ASMSTART
	v_dot2_f32_f16 v20, v25, v29, v20
	;;#ASMEND
	s_waitcnt lgkmcnt(5)
	;;#ASMSTART
	v_dot2_f32_f16 v19, v22, v30, v19
	;;#ASMEND
	v_mov_b32_e32 v6, 0
	;;#ASMSTART
	v_dot2_f32_f16 v19, v23, v31, v19
	;;#ASMEND
	s_nop 0
	;;#ASMSTART
	v_dot2_f32_f16 v19, v24, v32, v19
	;;#ASMEND
	s_nop 0
	;;#ASMSTART
	v_dot2_f32_f16 v19, v25, v33, v19
	;;#ASMEND
	s_waitcnt lgkmcnt(4)
	;;#ASMSTART
	v_dot2_f32_f16 v18, v22, v34, v18
	;;#ASMEND
	s_nop 0
	;;#ASMSTART
	v_dot2_f32_f16 v18, v23, v35, v18
	;;#ASMEND
	s_nop 0
	;;#ASMSTART
	v_dot2_f32_f16 v18, v24, v36, v18
	;;#ASMEND
	s_nop 0
	;;#ASMSTART
	v_dot2_f32_f16 v18, v25, v37, v18
	;;#ASMEND
	s_waitcnt lgkmcnt(3)
	;;#ASMSTART
	v_dot2_f32_f16 v17, v22, v38, v17
	;;#ASMEND
	s_nop 0
	;; [unrolled: 16-line block ×5, first 2 shown]
	;;#ASMSTART
	v_dot2_f32_f16 v6, v23, v51, v6
	;;#ASMEND
	s_nop 0
	;;#ASMSTART
	v_dot2_f32_f16 v6, v24, v52, v6
	;;#ASMEND
	s_nop 0
	;;#ASMSTART
	v_dot2_f32_f16 v6, v25, v53, v6
	;;#ASMEND
	ds_read_b128 v[22:25], v165 offset:16
	ds_read_b128 v[26:29], v166 offset:16
	;; [unrolled: 1-line block ×9, first 2 shown]
	s_waitcnt lgkmcnt(7)
	;;#ASMSTART
	v_dot2_f32_f16 v21, v22, v26, v21
	;;#ASMEND
	s_nop 0
	;;#ASMSTART
	v_dot2_f32_f16 v21, v23, v27, v21
	;;#ASMEND
	s_nop 0
	;;#ASMSTART
	v_dot2_f32_f16 v21, v24, v28, v21
	;;#ASMEND
	s_nop 0
	;;#ASMSTART
	v_dot2_f32_f16 v21, v25, v29, v21
	;;#ASMEND
	s_waitcnt lgkmcnt(6)
	;;#ASMSTART
	v_dot2_f32_f16 v20, v22, v30, v20
	;;#ASMEND
	s_nop 0
	;;#ASMSTART
	v_dot2_f32_f16 v20, v23, v31, v20
	;;#ASMEND
	s_nop 0
	;;#ASMSTART
	v_dot2_f32_f16 v20, v24, v32, v20
	;;#ASMEND
	s_nop 0
	;;#ASMSTART
	v_dot2_f32_f16 v20, v25, v33, v20
	;;#ASMEND
	;; [unrolled: 16-line block ×8, first 2 shown]
	ds_read_b128 v[22:25], v165 offset:32
	ds_read_b128 v[26:29], v166 offset:32
	;; [unrolled: 1-line block ×9, first 2 shown]
	s_waitcnt lgkmcnt(7)
	;;#ASMSTART
	v_dot2_f32_f16 v21, v22, v26, v21
	;;#ASMEND
	s_nop 0
	;;#ASMSTART
	v_dot2_f32_f16 v21, v23, v27, v21
	;;#ASMEND
	s_nop 0
	;;#ASMSTART
	v_dot2_f32_f16 v21, v24, v28, v21
	;;#ASMEND
	s_nop 0
	;;#ASMSTART
	v_dot2_f32_f16 v21, v25, v29, v21
	;;#ASMEND
	s_waitcnt lgkmcnt(6)
	;;#ASMSTART
	v_dot2_f32_f16 v20, v22, v30, v20
	;;#ASMEND
	s_nop 0
	;;#ASMSTART
	v_dot2_f32_f16 v20, v23, v31, v20
	;;#ASMEND
	s_nop 0
	;;#ASMSTART
	v_dot2_f32_f16 v20, v24, v32, v20
	;;#ASMEND
	s_nop 0
	;;#ASMSTART
	v_dot2_f32_f16 v20, v25, v33, v20
	;;#ASMEND
	;; [unrolled: 16-line block ×8, first 2 shown]
	ds_read_b128 v[22:25], v165 offset:48
	ds_read_b128 v[26:29], v166 offset:48
	;; [unrolled: 1-line block ×9, first 2 shown]
	s_waitcnt lgkmcnt(7)
	;;#ASMSTART
	v_dot2_f32_f16 v21, v22, v26, v21
	;;#ASMEND
	s_nop 0
	;;#ASMSTART
	v_dot2_f32_f16 v21, v23, v27, v21
	;;#ASMEND
	s_nop 0
	;;#ASMSTART
	v_dot2_f32_f16 v21, v24, v28, v21
	;;#ASMEND
	s_nop 0
	;;#ASMSTART
	v_dot2_f32_f16 v21, v25, v29, v21
	;;#ASMEND
	s_waitcnt lgkmcnt(6)
	;;#ASMSTART
	v_dot2_f32_f16 v20, v22, v30, v20
	;;#ASMEND
	s_nop 0
	;;#ASMSTART
	v_dot2_f32_f16 v20, v23, v31, v20
	;;#ASMEND
	s_nop 0
	;;#ASMSTART
	v_dot2_f32_f16 v20, v24, v32, v20
	;;#ASMEND
	s_nop 0
	;;#ASMSTART
	v_dot2_f32_f16 v20, v25, v33, v20
	;;#ASMEND
	;; [unrolled: 16-line block ×8, first 2 shown]
	ds_read_b128 v[22:25], v165 offset:64
	ds_read_b128 v[26:29], v166 offset:64
	;; [unrolled: 1-line block ×9, first 2 shown]
	s_waitcnt lgkmcnt(7)
	;;#ASMSTART
	v_dot2_f32_f16 v21, v22, v26, v21
	;;#ASMEND
	s_nop 0
	;;#ASMSTART
	v_dot2_f32_f16 v21, v23, v27, v21
	;;#ASMEND
	s_nop 0
	;;#ASMSTART
	v_dot2_f32_f16 v21, v24, v28, v21
	;;#ASMEND
	s_nop 0
	;;#ASMSTART
	v_dot2_f32_f16 v21, v25, v29, v21
	;;#ASMEND
	s_waitcnt lgkmcnt(6)
	;;#ASMSTART
	v_dot2_f32_f16 v20, v22, v30, v20
	;;#ASMEND
	s_nop 0
	;;#ASMSTART
	v_dot2_f32_f16 v20, v23, v31, v20
	;;#ASMEND
	s_nop 0
	;;#ASMSTART
	v_dot2_f32_f16 v20, v24, v32, v20
	;;#ASMEND
	s_nop 0
	;;#ASMSTART
	v_dot2_f32_f16 v20, v25, v33, v20
	;;#ASMEND
	;; [unrolled: 16-line block ×8, first 2 shown]
	ds_read_b128 v[22:25], v165 offset:80
	ds_read_b128 v[26:29], v166 offset:80
	;; [unrolled: 1-line block ×9, first 2 shown]
	s_waitcnt lgkmcnt(7)
	;;#ASMSTART
	v_dot2_f32_f16 v21, v22, v26, v21
	;;#ASMEND
	s_nop 0
	;;#ASMSTART
	v_dot2_f32_f16 v21, v23, v27, v21
	;;#ASMEND
	s_nop 0
	;;#ASMSTART
	v_dot2_f32_f16 v21, v24, v28, v21
	;;#ASMEND
	s_nop 0
	;;#ASMSTART
	v_dot2_f32_f16 v21, v25, v29, v21
	;;#ASMEND
	s_waitcnt lgkmcnt(6)
	;;#ASMSTART
	v_dot2_f32_f16 v20, v22, v30, v20
	;;#ASMEND
	s_nop 0
	;;#ASMSTART
	v_dot2_f32_f16 v20, v23, v31, v20
	;;#ASMEND
	s_nop 0
	;;#ASMSTART
	v_dot2_f32_f16 v20, v24, v32, v20
	;;#ASMEND
	s_nop 0
	;;#ASMSTART
	v_dot2_f32_f16 v20, v25, v33, v20
	;;#ASMEND
	;; [unrolled: 16-line block ×8, first 2 shown]
	ds_read_b128 v[22:25], v165 offset:96
	ds_read_b128 v[26:29], v166 offset:96
	;; [unrolled: 1-line block ×9, first 2 shown]
	s_waitcnt lgkmcnt(7)
	;;#ASMSTART
	v_dot2_f32_f16 v21, v22, v26, v21
	;;#ASMEND
	s_nop 0
	;;#ASMSTART
	v_dot2_f32_f16 v21, v23, v27, v21
	;;#ASMEND
	s_nop 0
	;;#ASMSTART
	v_dot2_f32_f16 v21, v24, v28, v21
	;;#ASMEND
	s_nop 0
	;;#ASMSTART
	v_dot2_f32_f16 v21, v25, v29, v21
	;;#ASMEND
	s_waitcnt lgkmcnt(6)
	;;#ASMSTART
	v_dot2_f32_f16 v20, v22, v30, v20
	;;#ASMEND
	s_nop 0
	;;#ASMSTART
	v_dot2_f32_f16 v20, v23, v31, v20
	;;#ASMEND
	s_nop 0
	;;#ASMSTART
	v_dot2_f32_f16 v20, v24, v32, v20
	;;#ASMEND
	s_nop 0
	;;#ASMSTART
	v_dot2_f32_f16 v20, v25, v33, v20
	;;#ASMEND
	;; [unrolled: 16-line block ×8, first 2 shown]
	s_barrier
	s_and_saveexec_b64 s[14:15], vcc
	s_cbranch_execnz .LBB0_63
; %bb.48:                               ;   in Loop: Header=BB0_43 Depth=1
	s_or_b64 exec, exec, s[14:15]
	s_and_saveexec_b64 s[14:15], s[4:5]
	s_cbranch_execnz .LBB0_64
.LBB0_49:                               ;   in Loop: Header=BB0_43 Depth=1
	s_or_b64 exec, exec, s[14:15]
	s_and_saveexec_b64 s[14:15], s[6:7]
	s_cbranch_execz .LBB0_51
.LBB0_50:                               ;   in Loop: Header=BB0_43 Depth=1
	v_mov_b32_e32 v135, v121
	v_lshl_add_u64 v[0:1], v[2:3], 0, v[134:135]
	global_load_dwordx4 v[0:3], v[0:1], off offset:112
	s_waitcnt vmcnt(0)
	ds_write_b128 v169, v[0:3]
.LBB0_51:                               ;   in Loop: Header=BB0_43 Depth=1
	s_or_b64 exec, exec, s[14:15]
	s_waitcnt lgkmcnt(0)
	s_barrier
	ds_read_b128 v[0:3], v165
	ds_read_b128 v[22:25], v166 offset:112
	ds_read_b128 v[26:29], v166 offset:336
	;; [unrolled: 1-line block ×8, first 2 shown]
	s_waitcnt lgkmcnt(7)
	;;#ASMSTART
	v_dot2_f32_f16 v21, v0, v22, v21
	;;#ASMEND
	v_xor_b32_e32 v180, 16, v160
	;;#ASMSTART
	v_dot2_f32_f16 v21, v1, v23, v21
	;;#ASMEND
	v_xor_b32_e32 v181, 8, v160
	;; [unrolled: 4-line block ×3, first 2 shown]
	;;#ASMSTART
	v_dot2_f32_f16 v21, v3, v25, v21
	;;#ASMEND
	s_waitcnt lgkmcnt(6)
	;;#ASMSTART
	v_dot2_f32_f16 v20, v0, v26, v20
	;;#ASMEND
	v_xor_b32_e32 v182, 2, v160
	;;#ASMSTART
	v_dot2_f32_f16 v20, v1, v27, v20
	;;#ASMEND
	v_xor_b32_e32 v179, 1, v160
	;;#ASMSTART
	v_dot2_f32_f16 v20, v2, v28, v20
	;;#ASMEND
	s_nop 0
	;;#ASMSTART
	v_dot2_f32_f16 v20, v3, v29, v20
	;;#ASMEND
	s_waitcnt lgkmcnt(5)
	;;#ASMSTART
	v_dot2_f32_f16 v19, v0, v30, v19
	;;#ASMEND
	s_nop 0
	;;#ASMSTART
	v_dot2_f32_f16 v19, v1, v31, v19
	;;#ASMEND
	s_nop 0
	;;#ASMSTART
	v_dot2_f32_f16 v19, v2, v32, v19
	;;#ASMEND
	s_nop 0
	;;#ASMSTART
	v_dot2_f32_f16 v19, v3, v33, v19
	;;#ASMEND
	s_waitcnt lgkmcnt(4)
	;;#ASMSTART
	v_dot2_f32_f16 v18, v0, v34, v18
	;;#ASMEND
	s_nop 0
	;;#ASMSTART
	v_dot2_f32_f16 v18, v1, v35, v18
	;;#ASMEND
	s_nop 0
	;; [unrolled: 16-line block ×6, first 2 shown]
	;;#ASMSTART
	v_dot2_f32_f16 v6, v2, v52, v6
	;;#ASMEND
	s_nop 0
	;;#ASMSTART
	v_dot2_f32_f16 v6, v3, v53, v6
	;;#ASMEND
	ds_read_b128 v[0:3], v165 offset:16
	ds_read_b128 v[22:25], v166 offset:128
	;; [unrolled: 1-line block ×9, first 2 shown]
	s_waitcnt lgkmcnt(7)
	;;#ASMSTART
	v_dot2_f32_f16 v21, v0, v22, v21
	;;#ASMEND
	s_nop 0
	;;#ASMSTART
	v_dot2_f32_f16 v21, v1, v23, v21
	;;#ASMEND
	s_nop 0
	;;#ASMSTART
	v_dot2_f32_f16 v21, v2, v24, v21
	;;#ASMEND
	s_nop 0
	;;#ASMSTART
	v_dot2_f32_f16 v21, v3, v25, v21
	;;#ASMEND
	s_waitcnt lgkmcnt(6)
	;;#ASMSTART
	v_dot2_f32_f16 v20, v0, v26, v20
	;;#ASMEND
	s_nop 0
	;;#ASMSTART
	v_dot2_f32_f16 v20, v1, v27, v20
	;;#ASMEND
	s_nop 0
	;;#ASMSTART
	v_dot2_f32_f16 v20, v2, v28, v20
	;;#ASMEND
	s_nop 0
	;;#ASMSTART
	v_dot2_f32_f16 v20, v3, v29, v20
	;;#ASMEND
	;; [unrolled: 16-line block ×8, first 2 shown]
	ds_read_b128 v[0:3], v165 offset:32
	ds_read_b128 v[22:25], v166 offset:144
	;; [unrolled: 1-line block ×9, first 2 shown]
	s_waitcnt lgkmcnt(7)
	;;#ASMSTART
	v_dot2_f32_f16 v21, v0, v22, v21
	;;#ASMEND
	s_nop 0
	;;#ASMSTART
	v_dot2_f32_f16 v21, v1, v23, v21
	;;#ASMEND
	s_nop 0
	;;#ASMSTART
	v_dot2_f32_f16 v21, v2, v24, v21
	;;#ASMEND
	s_nop 0
	;;#ASMSTART
	v_dot2_f32_f16 v21, v3, v25, v21
	;;#ASMEND
	s_waitcnt lgkmcnt(6)
	;;#ASMSTART
	v_dot2_f32_f16 v20, v0, v26, v20
	;;#ASMEND
	s_nop 0
	;;#ASMSTART
	v_dot2_f32_f16 v20, v1, v27, v20
	;;#ASMEND
	s_nop 0
	;;#ASMSTART
	v_dot2_f32_f16 v20, v2, v28, v20
	;;#ASMEND
	s_nop 0
	;;#ASMSTART
	v_dot2_f32_f16 v20, v3, v29, v20
	;;#ASMEND
	;; [unrolled: 16-line block ×8, first 2 shown]
	ds_read_b128 v[0:3], v165 offset:48
	ds_read_b128 v[22:25], v166 offset:160
	;; [unrolled: 1-line block ×9, first 2 shown]
	s_waitcnt lgkmcnt(7)
	;;#ASMSTART
	v_dot2_f32_f16 v21, v0, v22, v21
	;;#ASMEND
	s_nop 0
	;;#ASMSTART
	v_dot2_f32_f16 v21, v1, v23, v21
	;;#ASMEND
	s_nop 0
	;;#ASMSTART
	v_dot2_f32_f16 v21, v2, v24, v21
	;;#ASMEND
	s_nop 0
	;;#ASMSTART
	v_dot2_f32_f16 v21, v3, v25, v21
	;;#ASMEND
	s_waitcnt lgkmcnt(6)
	;;#ASMSTART
	v_dot2_f32_f16 v20, v0, v26, v20
	;;#ASMEND
	s_nop 0
	;;#ASMSTART
	v_dot2_f32_f16 v20, v1, v27, v20
	;;#ASMEND
	s_nop 0
	;;#ASMSTART
	v_dot2_f32_f16 v20, v2, v28, v20
	;;#ASMEND
	s_nop 0
	;;#ASMSTART
	v_dot2_f32_f16 v20, v3, v29, v20
	;;#ASMEND
	;; [unrolled: 16-line block ×8, first 2 shown]
	ds_read_b128 v[0:3], v165 offset:64
	ds_read_b128 v[22:25], v166 offset:176
	;; [unrolled: 1-line block ×9, first 2 shown]
	s_waitcnt lgkmcnt(7)
	;;#ASMSTART
	v_dot2_f32_f16 v21, v0, v22, v21
	;;#ASMEND
	s_nop 0
	;;#ASMSTART
	v_dot2_f32_f16 v21, v1, v23, v21
	;;#ASMEND
	s_nop 0
	;;#ASMSTART
	v_dot2_f32_f16 v21, v2, v24, v21
	;;#ASMEND
	s_nop 0
	;;#ASMSTART
	v_dot2_f32_f16 v21, v3, v25, v21
	;;#ASMEND
	s_waitcnt lgkmcnt(6)
	;;#ASMSTART
	v_dot2_f32_f16 v20, v0, v26, v20
	;;#ASMEND
	s_nop 0
	;;#ASMSTART
	v_dot2_f32_f16 v20, v1, v27, v20
	;;#ASMEND
	s_nop 0
	;;#ASMSTART
	v_dot2_f32_f16 v20, v2, v28, v20
	;;#ASMEND
	s_nop 0
	;;#ASMSTART
	v_dot2_f32_f16 v20, v3, v29, v20
	;;#ASMEND
	;; [unrolled: 16-line block ×8, first 2 shown]
	ds_read_b128 v[0:3], v165 offset:80
	ds_read_b128 v[22:25], v166 offset:192
	;; [unrolled: 1-line block ×9, first 2 shown]
	s_waitcnt lgkmcnt(7)
	;;#ASMSTART
	v_dot2_f32_f16 v21, v0, v22, v21
	;;#ASMEND
	s_nop 0
	;;#ASMSTART
	v_dot2_f32_f16 v21, v1, v23, v21
	;;#ASMEND
	s_nop 0
	;;#ASMSTART
	v_dot2_f32_f16 v21, v2, v24, v21
	;;#ASMEND
	s_nop 0
	;;#ASMSTART
	v_dot2_f32_f16 v21, v3, v25, v21
	;;#ASMEND
	s_waitcnt lgkmcnt(6)
	;;#ASMSTART
	v_dot2_f32_f16 v20, v0, v26, v20
	;;#ASMEND
	s_nop 0
	;;#ASMSTART
	v_dot2_f32_f16 v20, v1, v27, v20
	;;#ASMEND
	s_nop 0
	;;#ASMSTART
	v_dot2_f32_f16 v20, v2, v28, v20
	;;#ASMEND
	s_nop 0
	;;#ASMSTART
	v_dot2_f32_f16 v20, v3, v29, v20
	;;#ASMEND
	;; [unrolled: 16-line block ×8, first 2 shown]
	ds_read_b128 v[0:3], v165 offset:96
	ds_read_b128 v[22:25], v166 offset:208
	;; [unrolled: 1-line block ×9, first 2 shown]
	s_waitcnt lgkmcnt(7)
	;;#ASMSTART
	v_dot2_f32_f16 v21, v0, v22, v21
	;;#ASMEND
	s_nop 0
	;;#ASMSTART
	v_dot2_f32_f16 v21, v1, v23, v21
	;;#ASMEND
	s_nop 0
	;; [unrolled: 4-line block ×3, first 2 shown]
	;;#ASMSTART
	v_dot2_f32_f16 v21, v3, v25, v21
	;;#ASMEND
	s_waitcnt lgkmcnt(6)
	;;#ASMSTART
	v_dot2_f32_f16 v20, v0, v26, v20
	;;#ASMEND
	s_nop 0
	;;#ASMSTART
	v_dot2_f32_f16 v20, v1, v27, v20
	;;#ASMEND
	s_nop 0
	;;#ASMSTART
	v_dot2_f32_f16 v20, v2, v28, v20
	;;#ASMEND
	v_max_f32_e32 v28, v13, v13
	;;#ASMSTART
	v_dot2_f32_f16 v20, v3, v29, v20
	;;#ASMEND
	s_waitcnt lgkmcnt(5)
	;;#ASMSTART
	v_dot2_f32_f16 v19, v0, v30, v19
	;;#ASMEND
	s_nop 0
	;;#ASMSTART
	v_dot2_f32_f16 v19, v1, v31, v19
	;;#ASMEND
	s_nop 0
	;;#ASMSTART
	v_dot2_f32_f16 v19, v2, v32, v19
	;;#ASMEND
	s_nop 0
	;;#ASMSTART
	v_dot2_f32_f16 v19, v3, v33, v19
	;;#ASMEND
	s_waitcnt lgkmcnt(4)
	;;#ASMSTART
	v_dot2_f32_f16 v18, v0, v34, v18
	;;#ASMEND
	s_nop 0
	;;#ASMSTART
	v_dot2_f32_f16 v18, v1, v35, v18
	;;#ASMEND
	s_nop 0
	;;#ASMSTART
	v_dot2_f32_f16 v18, v2, v36, v18
	;;#ASMEND
	s_nop 0
	;; [unrolled: 16-line block ×5, first 2 shown]
	;;#ASMSTART
	v_dot2_f32_f16 v7, v3, v49, v7
	;;#ASMEND
	s_waitcnt lgkmcnt(0)
	;;#ASMSTART
	v_dot2_f32_f16 v6, v0, v50, v6
	;;#ASMEND
	v_add_u32_e32 v0, s2, v124
	;;#ASMSTART
	v_dot2_f32_f16 v6, v1, v51, v6
	;;#ASMEND
	v_ashrrev_i32_e32 v1, 31, v0
	;;#ASMSTART
	v_dot2_f32_f16 v6, v2, v52, v6
	;;#ASMEND
	v_lshl_add_u64 v[0:1], v[0:1], 1, s[74:75]
	;;#ASMSTART
	v_dot2_f32_f16 v6, v3, v53, v6
	;;#ASMEND
	global_load_ushort v0, v[0:1], off
	v_max_f32_e32 v1, v8, v8
	v_max_f32_e32 v3, v15, v15
	s_barrier
	s_waitcnt vmcnt(0)
	v_cvt_f32_f16_e32 v5, v0
	v_and_b32_e32 v0, 0x60, v160
	v_add_u32_e32 v178, 32, v0
	v_cmp_lt_i32_e64 s[14:15], v180, v178
	v_add_f32_e32 v21, v21, v5
	v_add_f32_e32 v20, v20, v5
	v_cndmask_b32_e64 v0, v160, v180, s[14:15]
	v_cmp_lt_i32_e64 s[14:15], v181, v178
	v_lshlrev_b32_e32 v22, 2, v0
	v_add_f32_e32 v19, v19, v5
	v_cndmask_b32_e64 v0, v160, v181, s[14:15]
	v_lshlrev_b32_e32 v23, 2, v0
	v_add_f32_e32 v0, 0x40051340, v21
	v_max_f32_e32 v0, v1, v0
	ds_bpermute_b32 v1, v22, v0
	v_cmp_lt_i32_e64 s[14:15], v183, v178
	v_add_f32_e32 v18, v18, v5
	v_add_f32_e32 v17, v17, v5
	v_cndmask_b32_e64 v2, v160, v183, s[14:15]
	s_waitcnt lgkmcnt(0)
	v_max_f32_e32 v1, v1, v1
	v_max_f32_e32 v0, v0, v1
	ds_bpermute_b32 v1, v23, v0
	v_cmp_lt_i32_e64 s[14:15], v182, v178
	v_lshlrev_b32_e32 v24, 2, v2
	v_add_f32_e32 v16, v16, v5
	v_cndmask_b32_e64 v2, v160, v182, s[14:15]
	s_waitcnt lgkmcnt(0)
	v_max_f32_e32 v1, v1, v1
	v_lshlrev_b32_e32 v25, 2, v2
	v_max_f32_e32 v0, v0, v1
	v_add_f32_e32 v2, 0x40051340, v20
	ds_bpermute_b32 v1, v24, v0
	v_max_f32_e32 v2, v3, v2
	ds_bpermute_b32 v3, v22, v2
	v_cmp_lt_i32_e64 s[14:15], v179, v178
	s_waitcnt lgkmcnt(1)
	v_max_f32_e32 v1, v1, v1
	v_max_f32_e32 v0, v0, v1
	s_waitcnt lgkmcnt(0)
	v_max_f32_e32 v3, v3, v3
	ds_bpermute_b32 v1, v25, v0
	v_max_f32_e32 v2, v2, v3
	ds_bpermute_b32 v3, v23, v2
	v_cndmask_b32_e64 v4, v160, v179, s[14:15]
	v_lshlrev_b32_e32 v26, 2, v4
	s_waitcnt lgkmcnt(1)
	v_max_f32_e32 v1, v1, v1
	v_max_f32_e32 v0, v0, v1
	s_waitcnt lgkmcnt(0)
	v_max_f32_e32 v1, v3, v3
	v_max_f32_e32 v1, v2, v1
	v_add_f32_e32 v3, 0x40051340, v19
	v_max_f32_e32 v4, v14, v14
	ds_bpermute_b32 v2, v24, v1
	v_max_f32_e32 v3, v4, v3
	ds_bpermute_b32 v4, v22, v3
	ds_bpermute_b32 v27, v26, v0
	s_waitcnt lgkmcnt(2)
	v_max_f32_e32 v2, v2, v2
	v_max_f32_e32 v1, v1, v2
	s_waitcnt lgkmcnt(1)
	v_max_f32_e32 v4, v4, v4
	ds_bpermute_b32 v2, v25, v1
	v_max_f32_e32 v3, v3, v4
	ds_bpermute_b32 v4, v23, v3
	s_waitcnt lgkmcnt(2)
	v_max_f32_e32 v27, v27, v27
	v_max_f32_e32 v0, v0, v27
	s_waitcnt lgkmcnt(1)
	v_max_f32_e32 v2, v2, v2
	v_max_f32_e32 v1, v1, v2
	;; [unrolled: 3-line block ×3, first 2 shown]
	v_add_f32_e32 v4, 0x40051340, v18
	ds_bpermute_b32 v3, v24, v2
	v_max_f32_e32 v4, v28, v4
	ds_bpermute_b32 v28, v22, v4
	ds_bpermute_b32 v29, v26, v1
	v_sub_f32_e32 v21, v21, v0
	s_waitcnt lgkmcnt(2)
	v_max_f32_e32 v3, v3, v3
	v_max_f32_e32 v2, v2, v3
	s_waitcnt lgkmcnt(1)
	v_max_f32_e32 v28, v28, v28
	ds_bpermute_b32 v3, v25, v2
	v_max_f32_e32 v4, v4, v28
	ds_bpermute_b32 v28, v23, v4
	s_waitcnt lgkmcnt(2)
	v_max_f32_e32 v27, v29, v29
	v_max_f32_e32 v29, v12, v12
	s_waitcnt lgkmcnt(1)
	v_max_f32_e32 v3, v3, v3
	v_max_f32_e32 v2, v2, v3
	s_waitcnt lgkmcnt(0)
	v_max_f32_e32 v3, v28, v28
	v_add_f32_e32 v28, 0x40051340, v17
	v_max_f32_e32 v28, v29, v28
	ds_bpermute_b32 v29, v22, v28
	v_max_f32_e32 v3, v4, v3
	ds_bpermute_b32 v4, v24, v3
	ds_bpermute_b32 v30, v26, v2
	v_max_f32_e32 v1, v1, v27
	s_waitcnt lgkmcnt(2)
	v_max_f32_e32 v29, v29, v29
	v_max_f32_e32 v28, v28, v29
	ds_bpermute_b32 v29, v23, v28
	s_waitcnt lgkmcnt(2)
	v_max_f32_e32 v4, v4, v4
	s_waitcnt lgkmcnt(1)
	v_max_f32_e32 v27, v30, v30
	v_max_f32_e32 v3, v3, v4
	;; [unrolled: 1-line block ×3, first 2 shown]
	s_waitcnt lgkmcnt(0)
	v_max_f32_e32 v27, v29, v29
	ds_bpermute_b32 v4, v25, v3
	v_max_f32_e32 v27, v28, v27
	v_add_f32_e32 v29, 0x40051340, v16
	v_max_f32_e32 v30, v11, v11
	ds_bpermute_b32 v28, v24, v27
	v_max_f32_e32 v29, v30, v29
	ds_bpermute_b32 v30, v22, v29
	s_waitcnt lgkmcnt(2)
	v_max_f32_e32 v4, v4, v4
	v_max_f32_e32 v3, v3, v4
	s_waitcnt lgkmcnt(1)
	v_max_f32_e32 v4, v28, v28
	v_max_f32_e32 v4, v27, v4
	s_waitcnt lgkmcnt(0)
	v_max_f32_e32 v28, v30, v30
	ds_bpermute_b32 v27, v25, v4
	v_max_f32_e32 v28, v29, v28
	ds_bpermute_b32 v29, v23, v28
	ds_bpermute_b32 v30, v26, v3
	v_sub_f32_e32 v20, v20, v1
	s_waitcnt lgkmcnt(2)
	v_max_f32_e32 v27, v27, v27
	v_max_f32_e32 v4, v4, v27
	s_waitcnt lgkmcnt(1)
	v_max_f32_e32 v29, v29, v29
	ds_bpermute_b32 v27, v26, v4
	v_max_f32_e32 v28, v28, v29
	ds_bpermute_b32 v29, v24, v28
	s_waitcnt lgkmcnt(2)
	v_max_f32_e32 v30, v30, v30
	v_max_f32_e32 v3, v3, v30
	s_waitcnt lgkmcnt(1)
	v_max_f32_e32 v27, v27, v27
	v_max_f32_e32 v4, v4, v27
	;; [unrolled: 3-line block ×3, first 2 shown]
	v_add_f32_e32 v28, v7, v5
	v_add_f32_e32 v7, 0x40051340, v28
	v_max_f32_e32 v29, v10, v10
	v_max_f32_e32 v7, v29, v7
	ds_bpermute_b32 v29, v22, v7
	v_add_f32_e32 v30, v6, v5
	v_add_f32_e32 v5, 0x40051340, v30
	v_max_f32_e32 v6, v9, v9
	v_max_f32_e32 v5, v6, v5
	ds_bpermute_b32 v6, v22, v5
	s_waitcnt lgkmcnt(1)
	v_max_f32_e32 v29, v29, v29
	v_max_f32_e32 v7, v7, v29
	ds_bpermute_b32 v29, v23, v7
	ds_bpermute_b32 v22, v25, v27
	s_waitcnt lgkmcnt(2)
	v_max_f32_e32 v6, v6, v6
	v_max_f32_e32 v5, v5, v6
	ds_bpermute_b32 v6, v23, v5
	s_waitcnt lgkmcnt(2)
	v_max_f32_e32 v23, v29, v29
	v_max_f32_e32 v7, v7, v23
	ds_bpermute_b32 v23, v24, v7
	s_waitcnt lgkmcnt(2)
	v_max_f32_e32 v22, v22, v22
	s_waitcnt lgkmcnt(1)
	v_max_f32_e32 v6, v6, v6
	v_max_f32_e32 v5, v5, v6
	ds_bpermute_b32 v6, v24, v5
	s_waitcnt lgkmcnt(1)
	v_max_f32_e32 v23, v23, v23
	v_max_f32_e32 v7, v7, v23
	ds_bpermute_b32 v23, v25, v7
	v_max_f32_e32 v22, v27, v22
	s_waitcnt lgkmcnt(1)
	v_max_f32_e32 v6, v6, v6
	v_max_f32_e32 v5, v5, v6
	ds_bpermute_b32 v6, v25, v5
	ds_bpermute_b32 v24, v26, v22
	s_waitcnt lgkmcnt(2)
	v_max_f32_e32 v23, v23, v23
	v_max_f32_e32 v7, v7, v23
	ds_bpermute_b32 v23, v26, v7
	s_waitcnt lgkmcnt(2)
	v_max_f32_e32 v6, v6, v6
	v_max_f32_e32 v25, v5, v6
	s_waitcnt lgkmcnt(1)
	v_max_f32_e32 v5, v24, v24
	v_max_f32_e32 v5, v22, v5
	v_mul_f32_e32 v22, 0x3fb8aa3b, v21
	s_waitcnt lgkmcnt(0)
	v_max_f32_e32 v6, v23, v23
	v_fma_f32 v23, v21, s69, -v22
	v_rndne_f32_e32 v24, v22
	v_fmac_f32_e32 v23, 0x32a5705f, v21
	v_sub_f32_e32 v22, v22, v24
	ds_bpermute_b32 v26, v26, v25
	v_add_f32_e32 v22, v22, v23
	v_exp_f32_e32 v22, v22
	v_cvt_i32_f32_e32 v23, v24
	v_max_f32_e32 v6, v7, v6
	s_waitcnt lgkmcnt(0)
	v_max_f32_e32 v7, v26, v26
	v_max_f32_e32 v7, v25, v7
	v_ldexp_f32 v22, v22, v23
	v_mul_f32_e32 v23, 0x3fb8aa3b, v20
	v_fma_f32 v24, v20, s69, -v23
	v_rndne_f32_e32 v25, v23
	v_fmac_f32_e32 v24, 0x32a5705f, v20
	v_sub_f32_e32 v23, v23, v25
	v_add_f32_e32 v23, v23, v24
	v_exp_f32_e32 v23, v23
	v_cvt_i32_f32_e32 v24, v25
	v_cmp_ngt_f32_e64 s[14:15], s73, v21
	v_sub_f32_e32 v19, v19, v2
	v_sub_f32_e32 v18, v18, v3
	v_cndmask_b32_e64 v22, 0, v22, s[14:15]
	v_cmp_nlt_f32_e64 s[14:15], s76, v21
	v_ldexp_f32 v21, v23, v24
	v_sub_f32_e32 v17, v17, v4
	v_cndmask_b32_e64 v136, v177, v22, s[14:15]
	v_mul_f32_e32 v22, 0x3fb8aa3b, v19
	v_fma_f32 v23, v19, s69, -v22
	v_rndne_f32_e32 v24, v22
	v_fmac_f32_e32 v23, 0x32a5705f, v19
	v_sub_f32_e32 v22, v22, v24
	v_add_f32_e32 v22, v22, v23
	v_exp_f32_e32 v22, v22
	v_cvt_i32_f32_e32 v23, v24
	v_cmp_ngt_f32_e64 s[14:15], s73, v20
	v_sub_f32_e32 v16, v16, v5
	s_nop 0
	v_cndmask_b32_e64 v21, 0, v21, s[14:15]
	v_cmp_nlt_f32_e64 s[14:15], s76, v20
	v_ldexp_f32 v20, v22, v23
	s_nop 0
	v_cndmask_b32_e64 v137, v177, v21, s[14:15]
	v_mul_f32_e32 v21, 0x3fb8aa3b, v18
	v_fma_f32 v22, v18, s69, -v21
	v_rndne_f32_e32 v23, v21
	v_fmac_f32_e32 v22, 0x32a5705f, v18
	v_sub_f32_e32 v21, v21, v23
	v_add_f32_e32 v21, v21, v22
	v_exp_f32_e32 v21, v21
	v_cvt_i32_f32_e32 v22, v23
	v_cmp_ngt_f32_e64 s[14:15], s73, v19
	s_nop 1
	v_cndmask_b32_e64 v20, 0, v20, s[14:15]
	v_cmp_nlt_f32_e64 s[14:15], s76, v19
	v_ldexp_f32 v19, v21, v22
	s_nop 0
	v_cndmask_b32_e64 v138, v177, v20, s[14:15]
	v_mul_f32_e32 v20, 0x3fb8aa3b, v17
	v_fma_f32 v21, v17, s69, -v20
	v_rndne_f32_e32 v22, v20
	v_fmac_f32_e32 v21, 0x32a5705f, v17
	v_sub_f32_e32 v20, v20, v22
	v_add_f32_e32 v20, v20, v21
	v_exp_f32_e32 v20, v20
	v_cvt_i32_f32_e32 v21, v22
	v_cmp_ngt_f32_e64 s[14:15], s73, v18
	;; [unrolled: 15-line block ×3, first 2 shown]
	s_nop 1
	v_cndmask_b32_e64 v18, 0, v18, s[14:15]
	v_cmp_nlt_f32_e64 s[14:15], s76, v17
	v_ldexp_f32 v17, v19, v20
	s_nop 0
	v_cndmask_b32_e64 v140, v177, v18, s[14:15]
	v_sub_f32_e32 v18, v28, v6
	v_mul_f32_e32 v19, 0x3fb8aa3b, v18
	v_fma_f32 v20, v18, s69, -v19
	v_rndne_f32_e32 v21, v19
	v_fmac_f32_e32 v20, 0x32a5705f, v18
	v_sub_f32_e32 v19, v19, v21
	v_add_f32_e32 v19, v19, v20
	v_exp_f32_e32 v19, v19
	v_cvt_i32_f32_e32 v20, v21
	v_cmp_ngt_f32_e64 s[14:15], s73, v16
	s_nop 1
	v_cndmask_b32_e64 v17, 0, v17, s[14:15]
	v_cmp_nlt_f32_e64 s[14:15], s76, v16
	v_ldexp_f32 v16, v19, v20
	s_nop 0
	v_cndmask_b32_e64 v141, v177, v17, s[14:15]
	v_sub_f32_e32 v17, v30, v7
	v_mul_f32_e32 v19, 0x3fb8aa3b, v17
	v_fma_f32 v20, v17, s69, -v19
	v_rndne_f32_e32 v21, v19
	v_fmac_f32_e32 v20, 0x32a5705f, v17
	v_sub_f32_e32 v19, v19, v21
	v_add_f32_e32 v19, v19, v20
	v_exp_f32_e32 v19, v19
	v_cvt_i32_f32_e32 v20, v21
	v_cmp_ngt_f32_e64 s[14:15], s73, v18
	s_nop 1
	v_cndmask_b32_e64 v16, 0, v16, s[14:15]
	v_cmp_nlt_f32_e64 s[14:15], s76, v18
	v_cvt_pk_f16_f32 v18, v140, v141
	s_nop 0
	v_cndmask_b32_e64 v142, v177, v16, s[14:15]
	v_ldexp_f32 v16, v19, v20
	v_cmp_ngt_f32_e64 s[14:15], s73, v17
	s_nop 1
	v_cndmask_b32_e64 v16, 0, v16, s[14:15]
	v_cmp_nlt_f32_e64 s[14:15], s76, v17
	v_cvt_pk_f16_f32 v17, v138, v139
	s_nop 0
	v_cndmask_b32_e64 v143, v177, v16, s[14:15]
	s_mul_hi_i32 s15, s2, s51
	s_mul_i32 s14, s2, s51
	s_lshl_b64 s[14:15], s[14:15], 2
	s_add_u32 s14, s63, s14
	v_cvt_pk_f16_f32 v19, v142, v143
	v_cvt_pk_f16_f32 v16, v136, v137
	s_addc_u32 s15, s68, s15
	ds_write_b128 v176, v[16:19]
	s_and_saveexec_b64 s[16:17], s[8:9]
	s_cbranch_execnz .LBB0_65
; %bb.52:                               ;   in Loop: Header=BB0_43 Depth=1
	s_or_b64 exec, exec, s[16:17]
	s_and_saveexec_b64 s[16:17], s[10:11]
	s_cbranch_execnz .LBB0_66
.LBB0_53:                               ;   in Loop: Header=BB0_43 Depth=1
	s_or_b64 exec, exec, s[16:17]
	v_lshlrev_b32_e32 v144, 2, v130
	s_and_saveexec_b64 s[16:17], s[12:13]
	s_cbranch_execz .LBB0_55
.LBB0_54:                               ;   in Loop: Header=BB0_43 Depth=1
	v_lshl_add_u64 v[16:17], v[132:133], 2, s[14:15]
	v_mov_b32_e32 v145, v121
	v_lshl_add_u64 v[16:17], v[16:17], 0, v[144:145]
	global_load_dwordx4 v[16:19], v[16:17], off
	s_waitcnt vmcnt(0)
	ds_write_b128 v175, v[16:19]
.LBB0_55:                               ;   in Loop: Header=BB0_43 Depth=1
	s_or_b64 exec, exec, s[16:17]
	v_add_u32_e32 v185, 0x3800, v131
	s_waitcnt lgkmcnt(0)
	s_barrier
	ds_read2_b64 v[36:39], v185 offset1:28
	ds_read_b128 v[100:103], v170
	ds_read_b128 v[96:99], v170 offset:16
	ds_read_b128 v[92:95], v170 offset:32
	;; [unrolled: 1-line block ×3, first 2 shown]
	ds_read2_b64 v[32:35], v185 offset0:56 offset1:84
	ds_read2_b64 v[28:31], v185 offset0:112 offset1:140
	ds_read_b128 v[84:87], v170 offset:64
	ds_read_b128 v[80:83], v170 offset:80
	ds_read2_b64 v[24:27], v185 offset0:168 offset1:196
	ds_read_b128 v[76:79], v170 offset:96
	ds_read_b128 v[72:75], v170 offset:112
	;; [unrolled: 3-line block ×3, first 2 shown]
	v_add_u32_e32 v184, 0x4000, v131
	v_sub_f32_e32 v187, v8, v0
	v_sub_f32_e32 v186, v15, v1
	;; [unrolled: 1-line block ×8, first 2 shown]
	ds_read2_b64 v[16:19], v184 offset0:24 offset1:52
	ds_read_b128 v[60:63], v170 offset:160
	ds_read_b128 v[56:59], v170 offset:176
	ds_read2_b64 v[12:15], v184 offset0:80 offset1:108
	ds_read_b128 v[52:55], v170 offset:192
	ds_read_b128 v[48:51], v170 offset:208
	;; [unrolled: 3-line block ×3, first 2 shown]
	s_or_b32 s54, s2, 16
	s_mul_hi_i32 s55, s54, s51
	s_mul_i32 s54, s54, s51
	s_lshl_b64 s[54:55], s[54:55], 2
	s_add_u32 s54, s63, s54
	v_cmp_ngt_f32_e64 s[44:45], s73, v187
	v_cmp_nlt_f32_e64 s[46:47], s76, v187
	v_cmp_ngt_f32_e64 s[40:41], s73, v186
	v_cmp_nlt_f32_e64 s[42:43], s76, v186
	v_cmp_ngt_f32_e64 s[36:37], s73, v147
	v_cmp_nlt_f32_e64 s[38:39], s76, v147
	v_cmp_ngt_f32_e64 s[30:31], s73, v146
	v_cmp_nlt_f32_e64 s[34:35], s76, v146
	v_cmp_ngt_f32_e64 s[26:27], s73, v151
	v_cmp_nlt_f32_e64 s[28:29], s76, v151
	v_cmp_ngt_f32_e64 s[22:23], s73, v148
	v_cmp_nlt_f32_e64 s[24:25], s76, v148
	v_cmp_ngt_f32_e64 s[18:19], s73, v149
	v_cmp_nlt_f32_e64 s[20:21], s76, v149
	v_cmp_ngt_f32_e64 s[14:15], s73, v150
	v_cmp_nlt_f32_e64 s[16:17], s76, v150
	s_addc_u32 s55, s68, s55
	s_waitcnt lgkmcnt(0)
	s_barrier
	s_and_saveexec_b64 s[56:57], s[8:9]
	s_cbranch_execnz .LBB0_67
; %bb.56:                               ;   in Loop: Header=BB0_43 Depth=1
	s_or_b64 exec, exec, s[56:57]
	s_and_saveexec_b64 s[56:57], s[10:11]
	s_cbranch_execnz .LBB0_68
.LBB0_57:                               ;   in Loop: Header=BB0_43 Depth=1
	s_or_b64 exec, exec, s[56:57]
	s_and_saveexec_b64 s[56:57], s[12:13]
	s_cbranch_execz .LBB0_59
.LBB0_58:                               ;   in Loop: Header=BB0_43 Depth=1
	v_lshl_add_u64 v[188:189], v[132:133], 2, s[54:55]
	v_mov_b32_e32 v145, v121
	v_lshl_add_u64 v[144:145], v[188:189], 0, v[144:145]
	global_load_dwordx4 v[188:191], v[144:145], off
	s_waitcnt vmcnt(0)
	ds_write_b128 v175, v[188:191]
.LBB0_59:                               ;   in Loop: Header=BB0_43 Depth=1
	s_or_b64 exec, exec, s[56:57]
	v_mul_f32_e32 v135, 0x3fb8aa3b, v187
	v_fma_f32 v144, v187, s69, -v135
	v_rndne_f32_e32 v145, v135
	v_fmac_f32_e32 v144, 0x32a5705f, v187
	v_sub_f32_e32 v135, v135, v145
	v_add_f32_e32 v135, v135, v144
	v_cvt_i32_f32_e32 v144, v145
	v_mul_f32_e32 v145, 0x3fb8aa3b, v186
	v_fma_f32 v187, v186, s69, -v145
	v_fmac_f32_e32 v187, 0x32a5705f, v186
	v_rndne_f32_e32 v186, v145
	v_sub_f32_e32 v145, v145, v186
	v_add_f32_e32 v145, v145, v187
	v_exp_f32_e32 v145, v145
	v_cvt_i32_f32_e32 v186, v186
	v_exp_f32_e32 v135, v135
	v_mul_u32_u24_sdwa v194, v101, s77 dst_sel:DWORD dst_unused:UNUSED_PAD src0_sel:WORD_0 src1_sel:DWORD
	v_mul_u32_u24_sdwa v101, v101, s77 dst_sel:DWORD dst_unused:UNUSED_PAD src0_sel:WORD_1 src1_sel:DWORD
	v_ldexp_f32 v145, v145, v186
	v_mul_f32_e32 v186, 0x3fb8aa3b, v147
	v_fma_f32 v187, v147, s69, -v186
	v_fmac_f32_e32 v187, 0x32a5705f, v147
	v_rndne_f32_e32 v147, v186
	v_sub_f32_e32 v186, v186, v147
	v_add_f32_e32 v186, v186, v187
	v_exp_f32_e32 v186, v186
	v_cvt_i32_f32_e32 v147, v147
	v_ldexp_f32 v135, v135, v144
	v_cndmask_b32_e64 v135, 0, v135, s[44:45]
	v_cndmask_b32_e64 v145, 0, v145, s[40:41]
	v_ldexp_f32 v147, v186, v147
	v_mul_f32_e32 v186, 0x3fb8aa3b, v146
	v_fma_f32 v188, v146, s69, -v186
	v_fmac_f32_e32 v188, 0x32a5705f, v146
	v_rndne_f32_e32 v146, v186
	v_sub_f32_e32 v186, v186, v146
	v_add_f32_e32 v186, v186, v188
	v_exp_f32_e32 v186, v186
	v_cvt_i32_f32_e32 v188, v146
	v_cndmask_b32_e64 v146, 0, v147, s[36:37]
	v_cndmask_b32_e64 v144, v177, v135, s[46:47]
	v_cndmask_b32_e64 v145, v177, v145, s[42:43]
	v_ldexp_f32 v147, v186, v188
	v_mul_f32_e32 v188, 0x3fb8aa3b, v151
	v_fma_f32 v190, v151, s69, -v188
	v_fmac_f32_e32 v190, 0x32a5705f, v151
	v_rndne_f32_e32 v151, v188
	v_sub_f32_e32 v188, v188, v151
	v_add_f32_e32 v188, v188, v190
	v_exp_f32_e32 v188, v188
	v_cvt_i32_f32_e32 v151, v151
	v_cndmask_b32_e64 v147, 0, v147, s[30:31]
	;; [unrolled: 12-line block ×3, first 2 shown]
	v_cndmask_b32_e64 v148, v177, v148, s[28:29]
	v_cvt_f16_f32_e32 v135, v144
	v_ldexp_f32 v151, v188, v190
	v_mul_f32_e32 v188, 0x3fb8aa3b, v149
	v_fma_f32 v190, v149, s69, -v188
	v_fmac_f32_e32 v190, 0x32a5705f, v149
	v_rndne_f32_e32 v149, v188
	v_sub_f32_e32 v188, v188, v149
	v_add_f32_e32 v188, v188, v190
	v_exp_f32_e32 v188, v188
	v_cvt_i32_f32_e32 v190, v149
	v_cndmask_b32_e64 v149, 0, v151, s[22:23]
	v_cndmask_b32_e64 v149, v177, v149, s[24:25]
	v_cvt_f16_f32_e32 v187, v145
	v_ldexp_f32 v151, v188, v190
	v_mul_f32_e32 v188, 0x3fb8aa3b, v150
	v_fma_f32 v190, v150, s69, -v188
	v_fmac_f32_e32 v190, 0x32a5705f, v150
	v_rndne_f32_e32 v150, v188
	v_sub_f32_e32 v188, v188, v150
	v_add_f32_e32 v188, v188, v190
	v_exp_f32_e32 v188, v188
	v_cvt_i32_f32_e32 v190, v150
	v_cndmask_b32_e64 v150, 0, v151, s[18:19]
	v_cndmask_b32_e64 v150, v177, v150, s[20:21]
	v_cvt_f16_f32_e32 v189, v146
	v_ldexp_f32 v151, v188, v190
	v_cndmask_b32_e64 v151, 0, v151, s[14:15]
	v_cndmask_b32_e64 v151, v177, v151, s[16:17]
	v_cvt_f16_f32_e32 v186, v147
	v_cvt_f16_f32_e32 v191, v148
	;; [unrolled: 1-line block ×5, first 2 shown]
	v_mul_u32_u24_e32 v135, 0x10001, v135
	v_mul_u32_u24_e32 v187, 0x10001, v187
	;; [unrolled: 1-line block ×8, first 2 shown]
	v_mul_u32_u24_sdwa v193, v100, s77 dst_sel:DWORD dst_unused:UNUSED_PAD src0_sel:WORD_0 src1_sel:DWORD
	v_mul_u32_u24_sdwa v100, v100, s77 dst_sel:DWORD dst_unused:UNUSED_PAD src0_sel:WORD_1 src1_sel:DWORD
	v_mul_u32_u24_sdwa v195, v102, s77 dst_sel:DWORD dst_unused:UNUSED_PAD src0_sel:WORD_0 src1_sel:DWORD
	v_mul_u32_u24_sdwa v102, v102, s77 dst_sel:DWORD dst_unused:UNUSED_PAD src0_sel:WORD_1 src1_sel:DWORD
	;; [unrolled: 2-line block ×3, first 2 shown]
	v_pk_mul_f16 v171, v171, v135
	v_pk_mul_f16 v135, v174, v135
	;; [unrolled: 1-line block ×16, first 2 shown]
	v_mul_u32_u24_sdwa v197, v96, s77 dst_sel:DWORD dst_unused:UNUSED_PAD src0_sel:WORD_0 src1_sel:DWORD
	v_mul_u32_u24_sdwa v96, v96, s77 dst_sel:DWORD dst_unused:UNUSED_PAD src0_sel:WORD_1 src1_sel:DWORD
	v_mul_u32_u24_sdwa v198, v97, s77 dst_sel:DWORD dst_unused:UNUSED_PAD src0_sel:WORD_0 src1_sel:DWORD
	v_mul_u32_u24_sdwa v97, v97, s77 dst_sel:DWORD dst_unused:UNUSED_PAD src0_sel:WORD_1 src1_sel:DWORD
	v_mul_u32_u24_sdwa v199, v98, s77 dst_sel:DWORD dst_unused:UNUSED_PAD src0_sel:WORD_0 src1_sel:DWORD
	v_mul_u32_u24_sdwa v98, v98, s77 dst_sel:DWORD dst_unused:UNUSED_PAD src0_sel:WORD_1 src1_sel:DWORD
	v_mul_u32_u24_sdwa v200, v99, s77 dst_sel:DWORD dst_unused:UNUSED_PAD src0_sel:WORD_0 src1_sel:DWORD
	v_mul_u32_u24_sdwa v99, v99, s77 dst_sel:DWORD dst_unused:UNUSED_PAD src0_sel:WORD_1 src1_sel:DWORD
	v_pk_fma_f16 v171, v36, v193, v171
	v_pk_fma_f16 v163, v36, v100, v163
	v_pk_fma_f16 v161, v36, v194, v161
	v_pk_fma_f16 v158, v36, v101, v158
	v_pk_fma_f16 v156, v36, v195, v156
	v_pk_fma_f16 v154, v36, v102, v154
	v_pk_fma_f16 v152, v36, v196, v152
	v_pk_fma_f16 v36, v36, v103, v107
	v_pk_fma_f16 v107, v37, v193, v135
	v_pk_fma_f16 v100, v37, v100, v164
	v_pk_fma_f16 v135, v37, v194, v162
	v_pk_fma_f16 v101, v37, v101, v159
	v_pk_fma_f16 v157, v37, v195, v157
	v_pk_fma_f16 v102, v37, v102, v155
	v_pk_fma_f16 v153, v37, v196, v153
	v_pk_fma_f16 v37, v37, v103, v125
	v_mul_u32_u24_sdwa v201, v92, s77 dst_sel:DWORD dst_unused:UNUSED_PAD src0_sel:WORD_0 src1_sel:DWORD
	v_mul_u32_u24_sdwa v92, v92, s77 dst_sel:DWORD dst_unused:UNUSED_PAD src0_sel:WORD_1 src1_sel:DWORD
	v_mul_u32_u24_sdwa v202, v93, s77 dst_sel:DWORD dst_unused:UNUSED_PAD src0_sel:WORD_0 src1_sel:DWORD
	v_mul_u32_u24_sdwa v93, v93, s77 dst_sel:DWORD dst_unused:UNUSED_PAD src0_sel:WORD_1 src1_sel:DWORD
	v_mul_u32_u24_sdwa v203, v94, s77 dst_sel:DWORD dst_unused:UNUSED_PAD src0_sel:WORD_0 src1_sel:DWORD
	v_mul_u32_u24_sdwa v94, v94, s77 dst_sel:DWORD dst_unused:UNUSED_PAD src0_sel:WORD_1 src1_sel:DWORD
	v_mul_u32_u24_sdwa v204, v95, s77 dst_sel:DWORD dst_unused:UNUSED_PAD src0_sel:WORD_0 src1_sel:DWORD
	v_mul_u32_u24_sdwa v95, v95, s77 dst_sel:DWORD dst_unused:UNUSED_PAD src0_sel:WORD_1 src1_sel:DWORD
	v_pk_fma_f16 v103, v38, v197, v171
	v_pk_fma_f16 v125, v38, v96, v163
	v_pk_fma_f16 v155, v38, v198, v161
	v_pk_fma_f16 v158, v38, v97, v158
	v_pk_fma_f16 v156, v38, v199, v156
	v_pk_fma_f16 v154, v38, v98, v154
	v_pk_fma_f16 v152, v38, v200, v152
	v_pk_fma_f16 v36, v38, v99, v36
	v_pk_fma_f16 v38, v39, v197, v107
	v_pk_fma_f16 v96, v39, v96, v100
	v_pk_fma_f16 v100, v39, v198, v135
	v_pk_fma_f16 v97, v39, v97, v101
	v_pk_fma_f16 v101, v39, v199, v157
	v_pk_fma_f16 v98, v39, v98, v102
	v_pk_fma_f16 v102, v39, v200, v153
	v_pk_fma_f16 v37, v39, v99, v37
	v_mul_u32_u24_sdwa v205, v88, s77 dst_sel:DWORD dst_unused:UNUSED_PAD src0_sel:WORD_0 src1_sel:DWORD
	v_mul_u32_u24_sdwa v88, v88, s77 dst_sel:DWORD dst_unused:UNUSED_PAD src0_sel:WORD_1 src1_sel:DWORD
	v_mul_u32_u24_sdwa v206, v89, s77 dst_sel:DWORD dst_unused:UNUSED_PAD src0_sel:WORD_0 src1_sel:DWORD
	v_mul_u32_u24_sdwa v89, v89, s77 dst_sel:DWORD dst_unused:UNUSED_PAD src0_sel:WORD_1 src1_sel:DWORD
	v_mul_u32_u24_sdwa v207, v90, s77 dst_sel:DWORD dst_unused:UNUSED_PAD src0_sel:WORD_0 src1_sel:DWORD
	v_mul_u32_u24_sdwa v90, v90, s77 dst_sel:DWORD dst_unused:UNUSED_PAD src0_sel:WORD_1 src1_sel:DWORD
	v_mul_u32_u24_sdwa v208, v91, s77 dst_sel:DWORD dst_unused:UNUSED_PAD src0_sel:WORD_0 src1_sel:DWORD
	v_mul_u32_u24_sdwa v91, v91, s77 dst_sel:DWORD dst_unused:UNUSED_PAD src0_sel:WORD_1 src1_sel:DWORD
	v_pk_fma_f16 v39, v32, v201, v103
	v_pk_fma_f16 v99, v32, v92, v125
	v_pk_fma_f16 v103, v32, v202, v155
	v_pk_fma_f16 v107, v32, v93, v158
	v_pk_fma_f16 v125, v32, v203, v156
	v_pk_fma_f16 v135, v32, v94, v154
	v_pk_fma_f16 v152, v32, v204, v152
	v_pk_fma_f16 v32, v32, v95, v36
	v_pk_fma_f16 v36, v33, v201, v38
	v_pk_fma_f16 v38, v33, v92, v96
	v_pk_fma_f16 v92, v33, v202, v100
	v_pk_fma_f16 v93, v33, v93, v97
	v_pk_fma_f16 v96, v33, v203, v101
	v_pk_fma_f16 v94, v33, v94, v98
	v_pk_fma_f16 v97, v33, v204, v102
	v_pk_fma_f16 v33, v33, v95, v37
	v_mul_u32_u24_sdwa v209, v84, s77 dst_sel:DWORD dst_unused:UNUSED_PAD src0_sel:WORD_0 src1_sel:DWORD
	v_mul_u32_u24_sdwa v84, v84, s77 dst_sel:DWORD dst_unused:UNUSED_PAD src0_sel:WORD_1 src1_sel:DWORD
	v_mul_u32_u24_sdwa v210, v85, s77 dst_sel:DWORD dst_unused:UNUSED_PAD src0_sel:WORD_0 src1_sel:DWORD
	v_mul_u32_u24_sdwa v85, v85, s77 dst_sel:DWORD dst_unused:UNUSED_PAD src0_sel:WORD_1 src1_sel:DWORD
	v_mul_u32_u24_sdwa v211, v86, s77 dst_sel:DWORD dst_unused:UNUSED_PAD src0_sel:WORD_0 src1_sel:DWORD
	v_mul_u32_u24_sdwa v86, v86, s77 dst_sel:DWORD dst_unused:UNUSED_PAD src0_sel:WORD_1 src1_sel:DWORD
	v_mul_u32_u24_sdwa v212, v87, s77 dst_sel:DWORD dst_unused:UNUSED_PAD src0_sel:WORD_0 src1_sel:DWORD
	v_mul_u32_u24_sdwa v87, v87, s77 dst_sel:DWORD dst_unused:UNUSED_PAD src0_sel:WORD_1 src1_sel:DWORD
	v_pk_fma_f16 v37, v34, v205, v39
	v_pk_fma_f16 v39, v34, v88, v99
	v_pk_fma_f16 v95, v34, v206, v103
	v_pk_fma_f16 v98, v34, v89, v107
	v_pk_fma_f16 v99, v34, v207, v125
	v_pk_fma_f16 v100, v34, v90, v135
	v_pk_fma_f16 v101, v34, v208, v152
	v_pk_fma_f16 v32, v34, v91, v32
	v_pk_fma_f16 v34, v35, v205, v36
	v_pk_fma_f16 v36, v35, v88, v38
	v_pk_fma_f16 v38, v35, v206, v92
	v_pk_fma_f16 v88, v35, v89, v93
	v_pk_fma_f16 v89, v35, v207, v96
	v_pk_fma_f16 v90, v35, v90, v94
	v_pk_fma_f16 v92, v35, v208, v97
	v_pk_fma_f16 v33, v35, v91, v33
	v_mul_u32_u24_sdwa v213, v80, s77 dst_sel:DWORD dst_unused:UNUSED_PAD src0_sel:WORD_0 src1_sel:DWORD
	v_mul_u32_u24_sdwa v80, v80, s77 dst_sel:DWORD dst_unused:UNUSED_PAD src0_sel:WORD_1 src1_sel:DWORD
	v_mul_u32_u24_sdwa v214, v81, s77 dst_sel:DWORD dst_unused:UNUSED_PAD src0_sel:WORD_0 src1_sel:DWORD
	v_mul_u32_u24_sdwa v81, v81, s77 dst_sel:DWORD dst_unused:UNUSED_PAD src0_sel:WORD_1 src1_sel:DWORD
	v_mul_u32_u24_sdwa v215, v82, s77 dst_sel:DWORD dst_unused:UNUSED_PAD src0_sel:WORD_0 src1_sel:DWORD
	v_mul_u32_u24_sdwa v82, v82, s77 dst_sel:DWORD dst_unused:UNUSED_PAD src0_sel:WORD_1 src1_sel:DWORD
	v_mul_u32_u24_sdwa v216, v83, s77 dst_sel:DWORD dst_unused:UNUSED_PAD src0_sel:WORD_0 src1_sel:DWORD
	v_mul_u32_u24_sdwa v83, v83, s77 dst_sel:DWORD dst_unused:UNUSED_PAD src0_sel:WORD_1 src1_sel:DWORD
	v_pk_fma_f16 v35, v28, v209, v37
	v_pk_fma_f16 v37, v28, v84, v39
	v_pk_fma_f16 v39, v28, v210, v95
	v_pk_fma_f16 v91, v28, v85, v98
	v_pk_fma_f16 v93, v28, v211, v99
	v_pk_fma_f16 v94, v28, v86, v100
	v_pk_fma_f16 v95, v28, v212, v101
	v_pk_fma_f16 v28, v28, v87, v32
	v_pk_fma_f16 v32, v29, v209, v34
	v_pk_fma_f16 v34, v29, v84, v36
	v_pk_fma_f16 v36, v29, v210, v38
	v_pk_fma_f16 v38, v29, v85, v88
	v_pk_fma_f16 v84, v29, v211, v89
	v_pk_fma_f16 v85, v29, v86, v90
	v_pk_fma_f16 v86, v29, v212, v92
	v_pk_fma_f16 v29, v29, v87, v33
	v_mul_u32_u24_sdwa v217, v76, s77 dst_sel:DWORD dst_unused:UNUSED_PAD src0_sel:WORD_0 src1_sel:DWORD
	v_mul_u32_u24_sdwa v76, v76, s77 dst_sel:DWORD dst_unused:UNUSED_PAD src0_sel:WORD_1 src1_sel:DWORD
	v_mul_u32_u24_sdwa v218, v77, s77 dst_sel:DWORD dst_unused:UNUSED_PAD src0_sel:WORD_0 src1_sel:DWORD
	v_mul_u32_u24_sdwa v77, v77, s77 dst_sel:DWORD dst_unused:UNUSED_PAD src0_sel:WORD_1 src1_sel:DWORD
	v_mul_u32_u24_sdwa v219, v78, s77 dst_sel:DWORD dst_unused:UNUSED_PAD src0_sel:WORD_0 src1_sel:DWORD
	v_mul_u32_u24_sdwa v78, v78, s77 dst_sel:DWORD dst_unused:UNUSED_PAD src0_sel:WORD_1 src1_sel:DWORD
	v_mul_u32_u24_sdwa v220, v79, s77 dst_sel:DWORD dst_unused:UNUSED_PAD src0_sel:WORD_0 src1_sel:DWORD
	v_mul_u32_u24_sdwa v79, v79, s77 dst_sel:DWORD dst_unused:UNUSED_PAD src0_sel:WORD_1 src1_sel:DWORD
	v_pk_fma_f16 v33, v30, v213, v35
	v_pk_fma_f16 v35, v30, v80, v37
	v_pk_fma_f16 v37, v30, v214, v39
	v_pk_fma_f16 v39, v30, v81, v91
	v_pk_fma_f16 v87, v30, v215, v93
	v_pk_fma_f16 v88, v30, v82, v94
	v_pk_fma_f16 v89, v30, v216, v95
	v_pk_fma_f16 v28, v30, v83, v28
	v_pk_fma_f16 v30, v31, v213, v32
	v_pk_fma_f16 v32, v31, v80, v34
	v_pk_fma_f16 v34, v31, v214, v36
	v_pk_fma_f16 v36, v31, v81, v38
	v_pk_fma_f16 v38, v31, v215, v84
	v_pk_fma_f16 v80, v31, v82, v85
	v_pk_fma_f16 v81, v31, v216, v86
	v_pk_fma_f16 v29, v31, v83, v29
	v_mul_u32_u24_sdwa v221, v72, s77 dst_sel:DWORD dst_unused:UNUSED_PAD src0_sel:WORD_0 src1_sel:DWORD
	v_mul_u32_u24_sdwa v72, v72, s77 dst_sel:DWORD dst_unused:UNUSED_PAD src0_sel:WORD_1 src1_sel:DWORD
	v_mul_u32_u24_sdwa v222, v73, s77 dst_sel:DWORD dst_unused:UNUSED_PAD src0_sel:WORD_0 src1_sel:DWORD
	v_mul_u32_u24_sdwa v73, v73, s77 dst_sel:DWORD dst_unused:UNUSED_PAD src0_sel:WORD_1 src1_sel:DWORD
	v_mul_u32_u24_sdwa v223, v74, s77 dst_sel:DWORD dst_unused:UNUSED_PAD src0_sel:WORD_0 src1_sel:DWORD
	v_mul_u32_u24_sdwa v74, v74, s77 dst_sel:DWORD dst_unused:UNUSED_PAD src0_sel:WORD_1 src1_sel:DWORD
	v_mul_u32_u24_sdwa v224, v75, s77 dst_sel:DWORD dst_unused:UNUSED_PAD src0_sel:WORD_0 src1_sel:DWORD
	v_mul_u32_u24_sdwa v75, v75, s77 dst_sel:DWORD dst_unused:UNUSED_PAD src0_sel:WORD_1 src1_sel:DWORD
	v_pk_fma_f16 v31, v24, v217, v33
	v_pk_fma_f16 v33, v24, v76, v35
	v_pk_fma_f16 v35, v24, v218, v37
	v_pk_fma_f16 v37, v24, v77, v39
	v_pk_fma_f16 v39, v24, v219, v87
	v_pk_fma_f16 v82, v24, v78, v88
	v_pk_fma_f16 v83, v24, v220, v89
	v_pk_fma_f16 v24, v24, v79, v28
	v_pk_fma_f16 v28, v25, v217, v30
	v_pk_fma_f16 v30, v25, v76, v32
	v_pk_fma_f16 v32, v25, v218, v34
	v_pk_fma_f16 v34, v25, v77, v36
	v_pk_fma_f16 v36, v25, v219, v38
	v_pk_fma_f16 v38, v25, v78, v80
	v_pk_fma_f16 v76, v25, v220, v81
	v_pk_fma_f16 v25, v25, v79, v29
	v_mul_u32_u24_sdwa v225, v68, s77 dst_sel:DWORD dst_unused:UNUSED_PAD src0_sel:WORD_0 src1_sel:DWORD
	v_mul_u32_u24_sdwa v68, v68, s77 dst_sel:DWORD dst_unused:UNUSED_PAD src0_sel:WORD_1 src1_sel:DWORD
	v_mul_u32_u24_sdwa v226, v69, s77 dst_sel:DWORD dst_unused:UNUSED_PAD src0_sel:WORD_0 src1_sel:DWORD
	v_mul_u32_u24_sdwa v69, v69, s77 dst_sel:DWORD dst_unused:UNUSED_PAD src0_sel:WORD_1 src1_sel:DWORD
	v_mul_u32_u24_sdwa v227, v70, s77 dst_sel:DWORD dst_unused:UNUSED_PAD src0_sel:WORD_0 src1_sel:DWORD
	v_mul_u32_u24_sdwa v70, v70, s77 dst_sel:DWORD dst_unused:UNUSED_PAD src0_sel:WORD_1 src1_sel:DWORD
	v_mul_u32_u24_sdwa v228, v71, s77 dst_sel:DWORD dst_unused:UNUSED_PAD src0_sel:WORD_0 src1_sel:DWORD
	v_mul_u32_u24_sdwa v71, v71, s77 dst_sel:DWORD dst_unused:UNUSED_PAD src0_sel:WORD_1 src1_sel:DWORD
	v_pk_fma_f16 v29, v26, v221, v31
	v_pk_fma_f16 v31, v26, v72, v33
	v_pk_fma_f16 v33, v26, v222, v35
	v_pk_fma_f16 v35, v26, v73, v37
	v_pk_fma_f16 v37, v26, v223, v39
	v_pk_fma_f16 v39, v26, v74, v82
	v_pk_fma_f16 v77, v26, v224, v83
	v_pk_fma_f16 v24, v26, v75, v24
	v_pk_fma_f16 v26, v27, v221, v28
	v_pk_fma_f16 v28, v27, v72, v30
	v_pk_fma_f16 v30, v27, v222, v32
	v_pk_fma_f16 v32, v27, v73, v34
	v_pk_fma_f16 v34, v27, v223, v36
	v_pk_fma_f16 v36, v27, v74, v38
	v_pk_fma_f16 v38, v27, v224, v76
	v_pk_fma_f16 v25, v27, v75, v25
	v_mul_u32_u24_sdwa v229, v64, s77 dst_sel:DWORD dst_unused:UNUSED_PAD src0_sel:WORD_0 src1_sel:DWORD
	v_mul_u32_u24_sdwa v64, v64, s77 dst_sel:DWORD dst_unused:UNUSED_PAD src0_sel:WORD_1 src1_sel:DWORD
	v_mul_u32_u24_sdwa v230, v65, s77 dst_sel:DWORD dst_unused:UNUSED_PAD src0_sel:WORD_0 src1_sel:DWORD
	v_mul_u32_u24_sdwa v65, v65, s77 dst_sel:DWORD dst_unused:UNUSED_PAD src0_sel:WORD_1 src1_sel:DWORD
	v_mul_u32_u24_sdwa v231, v66, s77 dst_sel:DWORD dst_unused:UNUSED_PAD src0_sel:WORD_0 src1_sel:DWORD
	v_mul_u32_u24_sdwa v66, v66, s77 dst_sel:DWORD dst_unused:UNUSED_PAD src0_sel:WORD_1 src1_sel:DWORD
	v_mul_u32_u24_sdwa v232, v67, s77 dst_sel:DWORD dst_unused:UNUSED_PAD src0_sel:WORD_0 src1_sel:DWORD
	v_mul_u32_u24_sdwa v67, v67, s77 dst_sel:DWORD dst_unused:UNUSED_PAD src0_sel:WORD_1 src1_sel:DWORD
	v_pk_fma_f16 v27, v20, v225, v29
	v_pk_fma_f16 v29, v20, v68, v31
	v_pk_fma_f16 v31, v20, v226, v33
	v_pk_fma_f16 v33, v20, v69, v35
	v_pk_fma_f16 v35, v20, v227, v37
	v_pk_fma_f16 v37, v20, v70, v39
	v_pk_fma_f16 v39, v20, v228, v77
	v_pk_fma_f16 v20, v20, v71, v24
	v_pk_fma_f16 v24, v21, v225, v26
	v_pk_fma_f16 v26, v21, v68, v28
	v_pk_fma_f16 v28, v21, v226, v30
	v_pk_fma_f16 v30, v21, v69, v32
	v_pk_fma_f16 v32, v21, v227, v34
	v_pk_fma_f16 v34, v21, v70, v36
	v_pk_fma_f16 v36, v21, v228, v38
	v_pk_fma_f16 v21, v21, v71, v25
	v_mul_u32_u24_sdwa v233, v60, s77 dst_sel:DWORD dst_unused:UNUSED_PAD src0_sel:WORD_0 src1_sel:DWORD
	v_mul_u32_u24_sdwa v60, v60, s77 dst_sel:DWORD dst_unused:UNUSED_PAD src0_sel:WORD_1 src1_sel:DWORD
	v_mul_u32_u24_sdwa v234, v61, s77 dst_sel:DWORD dst_unused:UNUSED_PAD src0_sel:WORD_0 src1_sel:DWORD
	v_mul_u32_u24_sdwa v61, v61, s77 dst_sel:DWORD dst_unused:UNUSED_PAD src0_sel:WORD_1 src1_sel:DWORD
	v_mul_u32_u24_sdwa v235, v62, s77 dst_sel:DWORD dst_unused:UNUSED_PAD src0_sel:WORD_0 src1_sel:DWORD
	v_mul_u32_u24_sdwa v62, v62, s77 dst_sel:DWORD dst_unused:UNUSED_PAD src0_sel:WORD_1 src1_sel:DWORD
	v_mul_u32_u24_sdwa v236, v63, s77 dst_sel:DWORD dst_unused:UNUSED_PAD src0_sel:WORD_0 src1_sel:DWORD
	v_mul_u32_u24_sdwa v63, v63, s77 dst_sel:DWORD dst_unused:UNUSED_PAD src0_sel:WORD_1 src1_sel:DWORD
	v_pk_fma_f16 v25, v22, v229, v27
	v_pk_fma_f16 v27, v22, v64, v29
	v_pk_fma_f16 v29, v22, v230, v31
	v_pk_fma_f16 v31, v22, v65, v33
	v_pk_fma_f16 v33, v22, v231, v35
	v_pk_fma_f16 v35, v22, v66, v37
	v_pk_fma_f16 v37, v22, v232, v39
	v_pk_fma_f16 v20, v22, v67, v20
	v_pk_fma_f16 v22, v23, v229, v24
	v_pk_fma_f16 v24, v23, v64, v26
	v_pk_fma_f16 v26, v23, v230, v28
	v_pk_fma_f16 v28, v23, v65, v30
	v_pk_fma_f16 v30, v23, v231, v32
	v_pk_fma_f16 v32, v23, v66, v34
	v_pk_fma_f16 v34, v23, v232, v36
	v_pk_fma_f16 v21, v23, v67, v21
	v_mul_u32_u24_sdwa v237, v56, s77 dst_sel:DWORD dst_unused:UNUSED_PAD src0_sel:WORD_0 src1_sel:DWORD
	v_mul_u32_u24_sdwa v56, v56, s77 dst_sel:DWORD dst_unused:UNUSED_PAD src0_sel:WORD_1 src1_sel:DWORD
	v_mul_u32_u24_sdwa v238, v57, s77 dst_sel:DWORD dst_unused:UNUSED_PAD src0_sel:WORD_0 src1_sel:DWORD
	v_mul_u32_u24_sdwa v57, v57, s77 dst_sel:DWORD dst_unused:UNUSED_PAD src0_sel:WORD_1 src1_sel:DWORD
	v_mul_u32_u24_sdwa v239, v58, s77 dst_sel:DWORD dst_unused:UNUSED_PAD src0_sel:WORD_0 src1_sel:DWORD
	v_mul_u32_u24_sdwa v58, v58, s77 dst_sel:DWORD dst_unused:UNUSED_PAD src0_sel:WORD_1 src1_sel:DWORD
	v_mul_u32_u24_sdwa v240, v59, s77 dst_sel:DWORD dst_unused:UNUSED_PAD src0_sel:WORD_0 src1_sel:DWORD
	v_mul_u32_u24_sdwa v59, v59, s77 dst_sel:DWORD dst_unused:UNUSED_PAD src0_sel:WORD_1 src1_sel:DWORD
	v_pk_fma_f16 v23, v16, v233, v25
	v_pk_fma_f16 v25, v16, v60, v27
	v_pk_fma_f16 v27, v16, v234, v29
	v_pk_fma_f16 v29, v16, v61, v31
	v_pk_fma_f16 v31, v16, v235, v33
	v_pk_fma_f16 v33, v16, v62, v35
	v_pk_fma_f16 v35, v16, v236, v37
	v_pk_fma_f16 v16, v16, v63, v20
	v_pk_fma_f16 v20, v17, v233, v22
	v_pk_fma_f16 v22, v17, v60, v24
	v_pk_fma_f16 v24, v17, v234, v26
	v_pk_fma_f16 v26, v17, v61, v28
	v_pk_fma_f16 v28, v17, v235, v30
	v_pk_fma_f16 v30, v17, v62, v32
	v_pk_fma_f16 v32, v17, v236, v34
	v_pk_fma_f16 v17, v17, v63, v21
	v_mul_u32_u24_sdwa v241, v52, s77 dst_sel:DWORD dst_unused:UNUSED_PAD src0_sel:WORD_0 src1_sel:DWORD
	v_mul_u32_u24_sdwa v52, v52, s77 dst_sel:DWORD dst_unused:UNUSED_PAD src0_sel:WORD_1 src1_sel:DWORD
	v_mul_u32_u24_sdwa v242, v53, s77 dst_sel:DWORD dst_unused:UNUSED_PAD src0_sel:WORD_0 src1_sel:DWORD
	v_mul_u32_u24_sdwa v53, v53, s77 dst_sel:DWORD dst_unused:UNUSED_PAD src0_sel:WORD_1 src1_sel:DWORD
	v_mul_u32_u24_sdwa v243, v54, s77 dst_sel:DWORD dst_unused:UNUSED_PAD src0_sel:WORD_0 src1_sel:DWORD
	v_mul_u32_u24_sdwa v54, v54, s77 dst_sel:DWORD dst_unused:UNUSED_PAD src0_sel:WORD_1 src1_sel:DWORD
	v_mul_u32_u24_sdwa v244, v55, s77 dst_sel:DWORD dst_unused:UNUSED_PAD src0_sel:WORD_0 src1_sel:DWORD
	v_mul_u32_u24_sdwa v55, v55, s77 dst_sel:DWORD dst_unused:UNUSED_PAD src0_sel:WORD_1 src1_sel:DWORD
	v_pk_fma_f16 v21, v18, v237, v23
	v_pk_fma_f16 v23, v18, v56, v25
	v_pk_fma_f16 v25, v18, v238, v27
	v_pk_fma_f16 v27, v18, v57, v29
	v_pk_fma_f16 v29, v18, v239, v31
	v_pk_fma_f16 v31, v18, v58, v33
	v_pk_fma_f16 v33, v18, v240, v35
	v_pk_fma_f16 v16, v18, v59, v16
	v_pk_fma_f16 v18, v19, v237, v20
	v_pk_fma_f16 v20, v19, v56, v22
	v_pk_fma_f16 v22, v19, v238, v24
	v_pk_fma_f16 v24, v19, v57, v26
	v_pk_fma_f16 v26, v19, v239, v28
	v_pk_fma_f16 v28, v19, v58, v30
	v_pk_fma_f16 v30, v19, v240, v32
	v_pk_fma_f16 v17, v19, v59, v17
	v_mul_u32_u24_sdwa v245, v48, s77 dst_sel:DWORD dst_unused:UNUSED_PAD src0_sel:WORD_0 src1_sel:DWORD
	v_mul_u32_u24_sdwa v48, v48, s77 dst_sel:DWORD dst_unused:UNUSED_PAD src0_sel:WORD_1 src1_sel:DWORD
	v_mul_u32_u24_sdwa v246, v49, s77 dst_sel:DWORD dst_unused:UNUSED_PAD src0_sel:WORD_0 src1_sel:DWORD
	v_mul_u32_u24_sdwa v49, v49, s77 dst_sel:DWORD dst_unused:UNUSED_PAD src0_sel:WORD_1 src1_sel:DWORD
	v_mul_u32_u24_sdwa v247, v50, s77 dst_sel:DWORD dst_unused:UNUSED_PAD src0_sel:WORD_0 src1_sel:DWORD
	v_mul_u32_u24_sdwa v50, v50, s77 dst_sel:DWORD dst_unused:UNUSED_PAD src0_sel:WORD_1 src1_sel:DWORD
	v_mul_u32_u24_sdwa v248, v51, s77 dst_sel:DWORD dst_unused:UNUSED_PAD src0_sel:WORD_0 src1_sel:DWORD
	v_mul_u32_u24_sdwa v51, v51, s77 dst_sel:DWORD dst_unused:UNUSED_PAD src0_sel:WORD_1 src1_sel:DWORD
	v_pk_fma_f16 v19, v12, v241, v21
	v_pk_fma_f16 v21, v12, v52, v23
	v_pk_fma_f16 v23, v12, v242, v25
	v_pk_fma_f16 v25, v12, v53, v27
	v_pk_fma_f16 v27, v12, v243, v29
	v_pk_fma_f16 v29, v12, v54, v31
	v_pk_fma_f16 v31, v12, v244, v33
	v_pk_fma_f16 v12, v12, v55, v16
	v_pk_fma_f16 v16, v13, v241, v18
	v_pk_fma_f16 v18, v13, v52, v20
	v_pk_fma_f16 v20, v13, v242, v22
	v_pk_fma_f16 v22, v13, v53, v24
	v_pk_fma_f16 v24, v13, v243, v26
	v_pk_fma_f16 v26, v13, v54, v28
	v_pk_fma_f16 v28, v13, v244, v30
	v_pk_fma_f16 v13, v13, v55, v17
	v_mul_u32_u24_sdwa v249, v44, s77 dst_sel:DWORD dst_unused:UNUSED_PAD src0_sel:WORD_0 src1_sel:DWORD
	v_mul_u32_u24_sdwa v44, v44, s77 dst_sel:DWORD dst_unused:UNUSED_PAD src0_sel:WORD_1 src1_sel:DWORD
	v_mul_u32_u24_sdwa v250, v45, s77 dst_sel:DWORD dst_unused:UNUSED_PAD src0_sel:WORD_0 src1_sel:DWORD
	v_mul_u32_u24_sdwa v45, v45, s77 dst_sel:DWORD dst_unused:UNUSED_PAD src0_sel:WORD_1 src1_sel:DWORD
	v_mul_u32_u24_sdwa v251, v46, s77 dst_sel:DWORD dst_unused:UNUSED_PAD src0_sel:WORD_0 src1_sel:DWORD
	v_mul_u32_u24_sdwa v46, v46, s77 dst_sel:DWORD dst_unused:UNUSED_PAD src0_sel:WORD_1 src1_sel:DWORD
	v_mul_u32_u24_sdwa v252, v47, s77 dst_sel:DWORD dst_unused:UNUSED_PAD src0_sel:WORD_0 src1_sel:DWORD
	v_mul_u32_u24_sdwa v47, v47, s77 dst_sel:DWORD dst_unused:UNUSED_PAD src0_sel:WORD_1 src1_sel:DWORD
	v_pk_fma_f16 v17, v14, v245, v19
	v_pk_fma_f16 v19, v14, v48, v21
	v_pk_fma_f16 v21, v14, v246, v23
	v_pk_fma_f16 v23, v14, v49, v25
	v_pk_fma_f16 v25, v14, v247, v27
	v_pk_fma_f16 v27, v14, v50, v29
	v_pk_fma_f16 v29, v14, v248, v31
	v_pk_fma_f16 v12, v14, v51, v12
	v_pk_fma_f16 v14, v15, v245, v16
	v_pk_fma_f16 v16, v15, v48, v18
	v_pk_fma_f16 v18, v15, v246, v20
	v_pk_fma_f16 v20, v15, v49, v22
	v_pk_fma_f16 v22, v15, v247, v24
	v_pk_fma_f16 v24, v15, v50, v26
	v_pk_fma_f16 v26, v15, v248, v28
	v_pk_fma_f16 v13, v15, v51, v13
	v_mul_u32_u24_sdwa v253, v40, s77 dst_sel:DWORD dst_unused:UNUSED_PAD src0_sel:WORD_0 src1_sel:DWORD
	v_mul_u32_u24_sdwa v40, v40, s77 dst_sel:DWORD dst_unused:UNUSED_PAD src0_sel:WORD_1 src1_sel:DWORD
	v_mul_u32_u24_sdwa v254, v41, s77 dst_sel:DWORD dst_unused:UNUSED_PAD src0_sel:WORD_0 src1_sel:DWORD
	v_mul_u32_u24_sdwa v41, v41, s77 dst_sel:DWORD dst_unused:UNUSED_PAD src0_sel:WORD_1 src1_sel:DWORD
	v_mul_u32_u24_sdwa v255, v42, s77 dst_sel:DWORD dst_unused:UNUSED_PAD src0_sel:WORD_0 src1_sel:DWORD
	v_mul_u32_u24_sdwa v42, v42, s77 dst_sel:DWORD dst_unused:UNUSED_PAD src0_sel:WORD_1 src1_sel:DWORD
	v_mul_u32_u24_sdwa v104, v43, s77 dst_sel:DWORD dst_unused:UNUSED_PAD src0_sel:WORD_0 src1_sel:DWORD
	v_mul_u32_u24_sdwa v43, v43, s77 dst_sel:DWORD dst_unused:UNUSED_PAD src0_sel:WORD_1 src1_sel:DWORD
	v_pk_fma_f16 v15, v8, v249, v17
	v_pk_fma_f16 v17, v8, v44, v19
	v_pk_fma_f16 v19, v8, v250, v21
	v_pk_fma_f16 v21, v8, v45, v23
	v_pk_fma_f16 v23, v8, v251, v25
	v_pk_fma_f16 v25, v8, v46, v27
	v_pk_fma_f16 v27, v8, v252, v29
	v_pk_fma_f16 v8, v8, v47, v12
	v_pk_fma_f16 v12, v9, v249, v14
	v_pk_fma_f16 v14, v9, v44, v16
	v_pk_fma_f16 v16, v9, v250, v18
	v_pk_fma_f16 v18, v9, v45, v20
	v_pk_fma_f16 v20, v9, v251, v22
	v_pk_fma_f16 v22, v9, v46, v24
	v_pk_fma_f16 v24, v9, v252, v26
	v_pk_fma_f16 v9, v9, v47, v13
	v_pk_fma_f16 v28, v10, v253, v15
	v_pk_fma_f16 v29, v10, v40, v17
	;; [unrolled: 1-line block ×16, first 2 shown]
	s_waitcnt lgkmcnt(0)
	s_barrier
	ds_read_b128 v[8:11], v170 offset:256
	ds_read2_b64 v[12:15], v185 offset1:28
	ds_read_b128 v[16:19], v170 offset:272
	ds_read_b128 v[20:23], v170 offset:288
	;; [unrolled: 1-line block ×3, first 2 shown]
	s_waitcnt lgkmcnt(4)
	v_mul_u32_u24_sdwa v44, v8, s77 dst_sel:DWORD dst_unused:UNUSED_PAD src0_sel:WORD_0 src1_sel:DWORD
	v_mul_u32_u24_sdwa v8, v8, s77 dst_sel:DWORD dst_unused:UNUSED_PAD src0_sel:WORD_1 src1_sel:DWORD
	v_mul_u32_u24_sdwa v45, v9, s77 dst_sel:DWORD dst_unused:UNUSED_PAD src0_sel:WORD_0 src1_sel:DWORD
	v_mul_u32_u24_sdwa v9, v9, s77 dst_sel:DWORD dst_unused:UNUSED_PAD src0_sel:WORD_1 src1_sel:DWORD
	;; [unrolled: 2-line block ×4, first 2 shown]
	s_waitcnt lgkmcnt(3)
	v_pk_fma_f16 v28, v12, v44, v28
	v_pk_fma_f16 v29, v12, v8, v29
	;; [unrolled: 1-line block ×16, first 2 shown]
	s_waitcnt lgkmcnt(2)
	v_mul_u32_u24_sdwa v13, v16, s77 dst_sel:DWORD dst_unused:UNUSED_PAD src0_sel:WORD_0 src1_sel:DWORD
	v_mul_u32_u24_sdwa v16, v16, s77 dst_sel:DWORD dst_unused:UNUSED_PAD src0_sel:WORD_1 src1_sel:DWORD
	v_mul_u32_u24_sdwa v39, v17, s77 dst_sel:DWORD dst_unused:UNUSED_PAD src0_sel:WORD_0 src1_sel:DWORD
	v_mul_u32_u24_sdwa v17, v17, s77 dst_sel:DWORD dst_unused:UNUSED_PAD src0_sel:WORD_1 src1_sel:DWORD
	;; [unrolled: 2-line block ×4, first 2 shown]
	v_pk_fma_f16 v28, v14, v13, v28
	v_pk_fma_f16 v29, v14, v16, v29
	;; [unrolled: 1-line block ×16, first 2 shown]
	ds_read2_b64 v[8:11], v185 offset0:56 offset1:84
	s_waitcnt lgkmcnt(2)
	v_mul_u32_u24_sdwa v19, v20, s77 dst_sel:DWORD dst_unused:UNUSED_PAD src0_sel:WORD_0 src1_sel:DWORD
	v_mul_u32_u24_sdwa v20, v20, s77 dst_sel:DWORD dst_unused:UNUSED_PAD src0_sel:WORD_1 src1_sel:DWORD
	v_mul_u32_u24_sdwa v37, v21, s77 dst_sel:DWORD dst_unused:UNUSED_PAD src0_sel:WORD_0 src1_sel:DWORD
	v_mul_u32_u24_sdwa v21, v21, s77 dst_sel:DWORD dst_unused:UNUSED_PAD src0_sel:WORD_1 src1_sel:DWORD
	;; [unrolled: 2-line block ×4, first 2 shown]
	s_waitcnt lgkmcnt(0)
	v_pk_fma_f16 v28, v8, v19, v28
	v_pk_fma_f16 v29, v8, v20, v29
	;; [unrolled: 1-line block ×16, first 2 shown]
	v_mul_u32_u24_sdwa v15, v24, s77 dst_sel:DWORD dst_unused:UNUSED_PAD src0_sel:WORD_0 src1_sel:DWORD
	v_mul_u32_u24_sdwa v20, v24, s77 dst_sel:DWORD dst_unused:UNUSED_PAD src0_sel:WORD_1 src1_sel:DWORD
	v_mul_u32_u24_sdwa v21, v25, s77 dst_sel:DWORD dst_unused:UNUSED_PAD src0_sel:WORD_0 src1_sel:DWORD
	v_mul_u32_u24_sdwa v22, v25, s77 dst_sel:DWORD dst_unused:UNUSED_PAD src0_sel:WORD_1 src1_sel:DWORD
	;; [unrolled: 2-line block ×4, first 2 shown]
	v_pk_fma_f16 v27, v10, v15, v28
	v_pk_fma_f16 v28, v10, v20, v29
	;; [unrolled: 1-line block ×6, first 2 shown]
	ds_read_b128 v[12:15], v170 offset:320
	v_pk_fma_f16 v30, v10, v22, v31
	v_pk_fma_f16 v31, v10, v23, v32
	;; [unrolled: 1-line block ×10, first 2 shown]
	ds_read2_b64 v[8:11], v185 offset0:112 offset1:140
	ds_read_b128 v[16:19], v170 offset:336
	s_waitcnt lgkmcnt(2)
	v_mul_u32_u24_sdwa v36, v12, s77 dst_sel:DWORD dst_unused:UNUSED_PAD src0_sel:WORD_0 src1_sel:DWORD
	v_mul_u32_u24_sdwa v12, v12, s77 dst_sel:DWORD dst_unused:UNUSED_PAD src0_sel:WORD_1 src1_sel:DWORD
	v_mul_u32_u24_sdwa v37, v13, s77 dst_sel:DWORD dst_unused:UNUSED_PAD src0_sel:WORD_0 src1_sel:DWORD
	v_mul_u32_u24_sdwa v13, v13, s77 dst_sel:DWORD dst_unused:UNUSED_PAD src0_sel:WORD_1 src1_sel:DWORD
	;; [unrolled: 2-line block ×4, first 2 shown]
	s_waitcnt lgkmcnt(1)
	v_pk_fma_f16 v27, v8, v36, v27
	v_pk_fma_f16 v28, v8, v12, v28
	;; [unrolled: 1-line block ×16, first 2 shown]
	s_waitcnt lgkmcnt(0)
	v_mul_u32_u24_sdwa v15, v16, s77 dst_sel:DWORD dst_unused:UNUSED_PAD src0_sel:WORD_0 src1_sel:DWORD
	v_mul_u32_u24_sdwa v16, v16, s77 dst_sel:DWORD dst_unused:UNUSED_PAD src0_sel:WORD_1 src1_sel:DWORD
	v_mul_u32_u24_sdwa v23, v17, s77 dst_sel:DWORD dst_unused:UNUSED_PAD src0_sel:WORD_0 src1_sel:DWORD
	v_mul_u32_u24_sdwa v17, v17, s77 dst_sel:DWORD dst_unused:UNUSED_PAD src0_sel:WORD_1 src1_sel:DWORD
	;; [unrolled: 2-line block ×4, first 2 shown]
	v_pk_fma_f16 v26, v10, v15, v27
	v_pk_fma_f16 v27, v10, v16, v28
	;; [unrolled: 1-line block ×11, first 2 shown]
	ds_read_b128 v[12:15], v170 offset:352
	v_pk_fma_f16 v31, v10, v18, v32
	v_pk_fma_f16 v32, v10, v25, v33
	v_pk_fma_f16 v33, v10, v19, v8
	v_pk_fma_f16 v22, v11, v25, v22
	v_pk_fma_f16 v25, v11, v19, v9
	ds_read2_b64 v[8:11], v185 offset0:168 offset1:196
	ds_read_b128 v[16:19], v170 offset:368
	s_waitcnt lgkmcnt(2)
	v_mul_u32_u24_sdwa v36, v12, s77 dst_sel:DWORD dst_unused:UNUSED_PAD src0_sel:WORD_0 src1_sel:DWORD
	v_mul_u32_u24_sdwa v12, v12, s77 dst_sel:DWORD dst_unused:UNUSED_PAD src0_sel:WORD_1 src1_sel:DWORD
	v_mul_u32_u24_sdwa v37, v13, s77 dst_sel:DWORD dst_unused:UNUSED_PAD src0_sel:WORD_0 src1_sel:DWORD
	v_mul_u32_u24_sdwa v13, v13, s77 dst_sel:DWORD dst_unused:UNUSED_PAD src0_sel:WORD_1 src1_sel:DWORD
	v_mul_u32_u24_sdwa v38, v14, s77 dst_sel:DWORD dst_unused:UNUSED_PAD src0_sel:WORD_0 src1_sel:DWORD
	v_mul_u32_u24_sdwa v14, v14, s77 dst_sel:DWORD dst_unused:UNUSED_PAD src0_sel:WORD_1 src1_sel:DWORD
	v_mul_u32_u24_sdwa v39, v15, s77 dst_sel:DWORD dst_unused:UNUSED_PAD src0_sel:WORD_0 src1_sel:DWORD
	v_mul_u32_u24_sdwa v15, v15, s77 dst_sel:DWORD dst_unused:UNUSED_PAD src0_sel:WORD_1 src1_sel:DWORD
	s_waitcnt lgkmcnt(1)
	v_pk_fma_f16 v26, v8, v36, v26
	v_pk_fma_f16 v27, v8, v12, v27
	v_pk_fma_f16 v28, v8, v37, v28
	v_pk_fma_f16 v29, v8, v13, v29
	v_pk_fma_f16 v30, v8, v38, v30
	v_pk_fma_f16 v31, v8, v14, v31
	v_pk_fma_f16 v32, v8, v39, v32
	v_pk_fma_f16 v8, v8, v15, v33
	v_pk_fma_f16 v33, v9, v36, v34
	v_pk_fma_f16 v12, v9, v12, v35
	v_pk_fma_f16 v20, v9, v37, v20
	v_pk_fma_f16 v13, v9, v13, v23
	v_pk_fma_f16 v21, v9, v38, v21
	v_pk_fma_f16 v14, v9, v14, v24
	v_pk_fma_f16 v22, v9, v39, v22
	v_pk_fma_f16 v9, v9, v15, v25
	s_waitcnt lgkmcnt(0)
	v_mul_u32_u24_sdwa v15, v16, s77 dst_sel:DWORD dst_unused:UNUSED_PAD src0_sel:WORD_0 src1_sel:DWORD
	v_mul_u32_u24_sdwa v16, v16, s77 dst_sel:DWORD dst_unused:UNUSED_PAD src0_sel:WORD_1 src1_sel:DWORD
	v_mul_u32_u24_sdwa v23, v17, s77 dst_sel:DWORD dst_unused:UNUSED_PAD src0_sel:WORD_0 src1_sel:DWORD
	v_mul_u32_u24_sdwa v17, v17, s77 dst_sel:DWORD dst_unused:UNUSED_PAD src0_sel:WORD_1 src1_sel:DWORD
	v_mul_u32_u24_sdwa v24, v18, s77 dst_sel:DWORD dst_unused:UNUSED_PAD src0_sel:WORD_0 src1_sel:DWORD
	v_mul_u32_u24_sdwa v18, v18, s77 dst_sel:DWORD dst_unused:UNUSED_PAD src0_sel:WORD_1 src1_sel:DWORD
	v_mul_u32_u24_sdwa v25, v19, s77 dst_sel:DWORD dst_unused:UNUSED_PAD src0_sel:WORD_0 src1_sel:DWORD
	v_mul_u32_u24_sdwa v19, v19, s77 dst_sel:DWORD dst_unused:UNUSED_PAD src0_sel:WORD_1 src1_sel:DWORD
	v_pk_fma_f16 v26, v10, v15, v26
	v_pk_fma_f16 v28, v10, v23, v28
	v_pk_fma_f16 v30, v10, v24, v30
	v_pk_fma_f16 v33, v11, v15, v33
	v_pk_fma_f16 v35, v11, v16, v12
	v_pk_fma_f16 v20, v11, v23, v20
	v_pk_fma_f16 v23, v11, v17, v13
	v_pk_fma_f16 v21, v11, v24, v21
	v_pk_fma_f16 v24, v11, v18, v14
	ds_read_b128 v[12:15], v170 offset:384
	v_pk_fma_f16 v27, v10, v16, v27
	v_pk_fma_f16 v29, v10, v17, v29
	v_pk_fma_f16 v31, v10, v18, v31
	v_pk_fma_f16 v32, v10, v25, v32
	v_pk_fma_f16 v34, v10, v19, v8
	v_pk_fma_f16 v22, v11, v25, v22
	v_pk_fma_f16 v25, v11, v19, v9
	ds_read2_b64 v[8:11], v185 offset0:224 offset1:252
	ds_read_b128 v[16:19], v170 offset:400
	s_waitcnt lgkmcnt(2)
	v_mul_u32_u24_sdwa v36, v12, s77 dst_sel:DWORD dst_unused:UNUSED_PAD src0_sel:WORD_0 src1_sel:DWORD
	v_mul_u32_u24_sdwa v12, v12, s77 dst_sel:DWORD dst_unused:UNUSED_PAD src0_sel:WORD_1 src1_sel:DWORD
	v_mul_u32_u24_sdwa v37, v13, s77 dst_sel:DWORD dst_unused:UNUSED_PAD src0_sel:WORD_0 src1_sel:DWORD
	v_mul_u32_u24_sdwa v13, v13, s77 dst_sel:DWORD dst_unused:UNUSED_PAD src0_sel:WORD_1 src1_sel:DWORD
	v_mul_u32_u24_sdwa v38, v14, s77 dst_sel:DWORD dst_unused:UNUSED_PAD src0_sel:WORD_0 src1_sel:DWORD
	v_mul_u32_u24_sdwa v14, v14, s77 dst_sel:DWORD dst_unused:UNUSED_PAD src0_sel:WORD_1 src1_sel:DWORD
	v_mul_u32_u24_sdwa v39, v15, s77 dst_sel:DWORD dst_unused:UNUSED_PAD src0_sel:WORD_0 src1_sel:DWORD
	v_mul_u32_u24_sdwa v15, v15, s77 dst_sel:DWORD dst_unused:UNUSED_PAD src0_sel:WORD_1 src1_sel:DWORD
	s_waitcnt lgkmcnt(1)
	v_pk_fma_f16 v26, v8, v36, v26
	v_pk_fma_f16 v27, v8, v12, v27
	v_pk_fma_f16 v28, v8, v37, v28
	v_pk_fma_f16 v29, v8, v13, v29
	v_pk_fma_f16 v30, v8, v38, v30
	v_pk_fma_f16 v31, v8, v14, v31
	v_pk_fma_f16 v32, v8, v39, v32
	v_pk_fma_f16 v8, v8, v15, v34
	v_pk_fma_f16 v33, v9, v36, v33
	v_pk_fma_f16 v12, v9, v12, v35
	v_pk_fma_f16 v20, v9, v37, v20
	v_pk_fma_f16 v13, v9, v13, v23
	v_pk_fma_f16 v21, v9, v38, v21
	v_pk_fma_f16 v14, v9, v14, v24
	v_pk_fma_f16 v22, v9, v39, v22
	v_pk_fma_f16 v9, v9, v15, v25
	s_waitcnt lgkmcnt(0)
	v_mul_u32_u24_sdwa v15, v16, s77 dst_sel:DWORD dst_unused:UNUSED_PAD src0_sel:WORD_0 src1_sel:DWORD
	v_mul_u32_u24_sdwa v16, v16, s77 dst_sel:DWORD dst_unused:UNUSED_PAD src0_sel:WORD_1 src1_sel:DWORD
	v_mul_u32_u24_sdwa v23, v17, s77 dst_sel:DWORD dst_unused:UNUSED_PAD src0_sel:WORD_0 src1_sel:DWORD
	v_mul_u32_u24_sdwa v17, v17, s77 dst_sel:DWORD dst_unused:UNUSED_PAD src0_sel:WORD_1 src1_sel:DWORD
	v_mul_u32_u24_sdwa v24, v18, s77 dst_sel:DWORD dst_unused:UNUSED_PAD src0_sel:WORD_0 src1_sel:DWORD
	v_mul_u32_u24_sdwa v18, v18, s77 dst_sel:DWORD dst_unused:UNUSED_PAD src0_sel:WORD_1 src1_sel:DWORD
	v_mul_u32_u24_sdwa v25, v19, s77 dst_sel:DWORD dst_unused:UNUSED_PAD src0_sel:WORD_0 src1_sel:DWORD
	v_mul_u32_u24_sdwa v19, v19, s77 dst_sel:DWORD dst_unused:UNUSED_PAD src0_sel:WORD_1 src1_sel:DWORD
	v_pk_fma_f16 v26, v10, v15, v26
	v_pk_fma_f16 v28, v10, v23, v28
	v_pk_fma_f16 v30, v10, v24, v30
	v_pk_fma_f16 v33, v11, v15, v33
	v_pk_fma_f16 v35, v11, v16, v12
	v_pk_fma_f16 v20, v11, v23, v20
	v_pk_fma_f16 v23, v11, v17, v13
	v_pk_fma_f16 v21, v11, v24, v21
	v_pk_fma_f16 v24, v11, v18, v14
	ds_read_b128 v[12:15], v170 offset:416
	v_pk_fma_f16 v27, v10, v16, v27
	v_pk_fma_f16 v29, v10, v17, v29
	v_pk_fma_f16 v31, v10, v18, v31
	v_pk_fma_f16 v32, v10, v25, v32
	v_pk_fma_f16 v34, v10, v19, v8
	v_pk_fma_f16 v22, v11, v25, v22
	v_pk_fma_f16 v25, v11, v19, v9
	ds_read2_b64 v[8:11], v184 offset0:24 offset1:52
	ds_read_b128 v[16:19], v170 offset:432
	s_waitcnt lgkmcnt(2)
	v_mul_u32_u24_sdwa v36, v12, s77 dst_sel:DWORD dst_unused:UNUSED_PAD src0_sel:WORD_0 src1_sel:DWORD
	v_mul_u32_u24_sdwa v12, v12, s77 dst_sel:DWORD dst_unused:UNUSED_PAD src0_sel:WORD_1 src1_sel:DWORD
	v_mul_u32_u24_sdwa v37, v13, s77 dst_sel:DWORD dst_unused:UNUSED_PAD src0_sel:WORD_0 src1_sel:DWORD
	v_mul_u32_u24_sdwa v13, v13, s77 dst_sel:DWORD dst_unused:UNUSED_PAD src0_sel:WORD_1 src1_sel:DWORD
	v_mul_u32_u24_sdwa v38, v14, s77 dst_sel:DWORD dst_unused:UNUSED_PAD src0_sel:WORD_0 src1_sel:DWORD
	v_mul_u32_u24_sdwa v14, v14, s77 dst_sel:DWORD dst_unused:UNUSED_PAD src0_sel:WORD_1 src1_sel:DWORD
	v_mul_u32_u24_sdwa v39, v15, s77 dst_sel:DWORD dst_unused:UNUSED_PAD src0_sel:WORD_0 src1_sel:DWORD
	v_mul_u32_u24_sdwa v15, v15, s77 dst_sel:DWORD dst_unused:UNUSED_PAD src0_sel:WORD_1 src1_sel:DWORD
	s_waitcnt lgkmcnt(1)
	v_pk_fma_f16 v26, v8, v36, v26
	v_pk_fma_f16 v27, v8, v12, v27
	v_pk_fma_f16 v28, v8, v37, v28
	v_pk_fma_f16 v29, v8, v13, v29
	v_pk_fma_f16 v30, v8, v38, v30
	v_pk_fma_f16 v31, v8, v14, v31
	v_pk_fma_f16 v32, v8, v39, v32
	v_pk_fma_f16 v8, v8, v15, v34
	v_pk_fma_f16 v33, v9, v36, v33
	v_pk_fma_f16 v12, v9, v12, v35
	v_pk_fma_f16 v20, v9, v37, v20
	v_pk_fma_f16 v13, v9, v13, v23
	v_pk_fma_f16 v21, v9, v38, v21
	v_pk_fma_f16 v14, v9, v14, v24
	v_pk_fma_f16 v22, v9, v39, v22
	v_pk_fma_f16 v9, v9, v15, v25
	s_waitcnt lgkmcnt(0)
	v_mul_u32_u24_sdwa v15, v16, s77 dst_sel:DWORD dst_unused:UNUSED_PAD src0_sel:WORD_0 src1_sel:DWORD
	v_mul_u32_u24_sdwa v16, v16, s77 dst_sel:DWORD dst_unused:UNUSED_PAD src0_sel:WORD_1 src1_sel:DWORD
	v_mul_u32_u24_sdwa v23, v17, s77 dst_sel:DWORD dst_unused:UNUSED_PAD src0_sel:WORD_0 src1_sel:DWORD
	v_mul_u32_u24_sdwa v17, v17, s77 dst_sel:DWORD dst_unused:UNUSED_PAD src0_sel:WORD_1 src1_sel:DWORD
	v_mul_u32_u24_sdwa v24, v18, s77 dst_sel:DWORD dst_unused:UNUSED_PAD src0_sel:WORD_0 src1_sel:DWORD
	v_mul_u32_u24_sdwa v18, v18, s77 dst_sel:DWORD dst_unused:UNUSED_PAD src0_sel:WORD_1 src1_sel:DWORD
	v_mul_u32_u24_sdwa v25, v19, s77 dst_sel:DWORD dst_unused:UNUSED_PAD src0_sel:WORD_0 src1_sel:DWORD
	v_mul_u32_u24_sdwa v19, v19, s77 dst_sel:DWORD dst_unused:UNUSED_PAD src0_sel:WORD_1 src1_sel:DWORD
	v_pk_fma_f16 v26, v10, v15, v26
	v_pk_fma_f16 v28, v10, v23, v28
	v_pk_fma_f16 v30, v10, v24, v30
	v_pk_fma_f16 v33, v11, v15, v33
	v_pk_fma_f16 v35, v11, v16, v12
	v_pk_fma_f16 v20, v11, v23, v20
	v_pk_fma_f16 v23, v11, v17, v13
	v_pk_fma_f16 v21, v11, v24, v21
	v_pk_fma_f16 v24, v11, v18, v14
	ds_read_b128 v[12:15], v170 offset:448
	v_pk_fma_f16 v27, v10, v16, v27
	v_pk_fma_f16 v29, v10, v17, v29
	v_pk_fma_f16 v31, v10, v18, v31
	v_pk_fma_f16 v32, v10, v25, v32
	;; [unrolled: 1-line block ×5, first 2 shown]
	ds_read2_b64 v[8:11], v184 offset0:80 offset1:108
	ds_read_b128 v[16:19], v170 offset:464
	s_waitcnt lgkmcnt(2)
	v_mul_u32_u24_sdwa v36, v12, s77 dst_sel:DWORD dst_unused:UNUSED_PAD src0_sel:WORD_0 src1_sel:DWORD
	v_mul_u32_u24_sdwa v12, v12, s77 dst_sel:DWORD dst_unused:UNUSED_PAD src0_sel:WORD_1 src1_sel:DWORD
	v_mul_u32_u24_sdwa v37, v13, s77 dst_sel:DWORD dst_unused:UNUSED_PAD src0_sel:WORD_0 src1_sel:DWORD
	v_mul_u32_u24_sdwa v13, v13, s77 dst_sel:DWORD dst_unused:UNUSED_PAD src0_sel:WORD_1 src1_sel:DWORD
	v_mul_u32_u24_sdwa v38, v14, s77 dst_sel:DWORD dst_unused:UNUSED_PAD src0_sel:WORD_0 src1_sel:DWORD
	v_mul_u32_u24_sdwa v14, v14, s77 dst_sel:DWORD dst_unused:UNUSED_PAD src0_sel:WORD_1 src1_sel:DWORD
	v_mul_u32_u24_sdwa v39, v15, s77 dst_sel:DWORD dst_unused:UNUSED_PAD src0_sel:WORD_0 src1_sel:DWORD
	v_mul_u32_u24_sdwa v15, v15, s77 dst_sel:DWORD dst_unused:UNUSED_PAD src0_sel:WORD_1 src1_sel:DWORD
	s_waitcnt lgkmcnt(1)
	v_pk_fma_f16 v26, v8, v36, v26
	v_pk_fma_f16 v27, v8, v12, v27
	;; [unrolled: 1-line block ×16, first 2 shown]
	s_waitcnt lgkmcnt(0)
	v_mul_u32_u24_sdwa v15, v16, s77 dst_sel:DWORD dst_unused:UNUSED_PAD src0_sel:WORD_0 src1_sel:DWORD
	v_mul_u32_u24_sdwa v16, v16, s77 dst_sel:DWORD dst_unused:UNUSED_PAD src0_sel:WORD_1 src1_sel:DWORD
	v_mul_u32_u24_sdwa v23, v17, s77 dst_sel:DWORD dst_unused:UNUSED_PAD src0_sel:WORD_0 src1_sel:DWORD
	v_mul_u32_u24_sdwa v17, v17, s77 dst_sel:DWORD dst_unused:UNUSED_PAD src0_sel:WORD_1 src1_sel:DWORD
	;; [unrolled: 2-line block ×4, first 2 shown]
	v_pk_fma_f16 v26, v10, v15, v26
	v_pk_fma_f16 v27, v10, v16, v27
	;; [unrolled: 1-line block ×14, first 2 shown]
	ds_read_b128 v[12:15], v170 offset:480
	v_pk_fma_f16 v22, v11, v25, v22
	v_pk_fma_f16 v25, v11, v19, v9
	ds_read2_b64 v[8:11], v184 offset0:136 offset1:164
	ds_read_b128 v[16:19], v170 offset:496
	s_waitcnt lgkmcnt(0)
	s_barrier
	s_load_dword s14, s[52:53], 0x4
	v_mul_u32_u24_sdwa v36, v12, s77 dst_sel:DWORD dst_unused:UNUSED_PAD src0_sel:WORD_0 src1_sel:DWORD
	v_mul_u32_u24_sdwa v12, v12, s77 dst_sel:DWORD dst_unused:UNUSED_PAD src0_sel:WORD_1 src1_sel:DWORD
	v_mul_u32_u24_sdwa v37, v13, s77 dst_sel:DWORD dst_unused:UNUSED_PAD src0_sel:WORD_0 src1_sel:DWORD
	v_mul_u32_u24_sdwa v13, v13, s77 dst_sel:DWORD dst_unused:UNUSED_PAD src0_sel:WORD_1 src1_sel:DWORD
	v_mul_u32_u24_sdwa v38, v14, s77 dst_sel:DWORD dst_unused:UNUSED_PAD src0_sel:WORD_0 src1_sel:DWORD
	v_mul_u32_u24_sdwa v14, v14, s77 dst_sel:DWORD dst_unused:UNUSED_PAD src0_sel:WORD_1 src1_sel:DWORD
	v_mul_u32_u24_sdwa v39, v15, s77 dst_sel:DWORD dst_unused:UNUSED_PAD src0_sel:WORD_0 src1_sel:DWORD
	v_mul_u32_u24_sdwa v15, v15, s77 dst_sel:DWORD dst_unused:UNUSED_PAD src0_sel:WORD_1 src1_sel:DWORD
	s_waitcnt lgkmcnt(0)
	s_lshl_b32 s14, s14, 5
	v_pk_fma_f16 v26, v8, v36, v26
	v_pk_fma_f16 v27, v8, v12, v27
	;; [unrolled: 1-line block ×16, first 2 shown]
	v_mul_u32_u24_sdwa v15, v16, s77 dst_sel:DWORD dst_unused:UNUSED_PAD src0_sel:WORD_0 src1_sel:DWORD
	v_mul_u32_u24_sdwa v16, v16, s77 dst_sel:DWORD dst_unused:UNUSED_PAD src0_sel:WORD_1 src1_sel:DWORD
	v_mul_u32_u24_sdwa v23, v17, s77 dst_sel:DWORD dst_unused:UNUSED_PAD src0_sel:WORD_0 src1_sel:DWORD
	v_mul_u32_u24_sdwa v17, v17, s77 dst_sel:DWORD dst_unused:UNUSED_PAD src0_sel:WORD_1 src1_sel:DWORD
	;; [unrolled: 2-line block ×4, first 2 shown]
	s_add_i32 s2, s14, s2
	v_pk_fma_f32 v[108:109], v[108:109], v[150:151], v[142:143]
	v_pk_fma_f32 v[110:111], v[110:111], v[148:149], v[140:141]
	;; [unrolled: 1-line block ×4, first 2 shown]
	v_pk_fma_f16 v171, v10, v15, v26
	v_pk_fma_f16 v163, v10, v16, v27
	;; [unrolled: 1-line block ×15, first 2 shown]
	s_cmp_ge_i32 s2, s72
	v_pk_fma_f16 v125, v11, v19, v9
	s_cbranch_scc1 .LBB0_9
; %bb.60:                               ;   in Loop: Header=BB0_43 Depth=1
	v_mov_b32_e32 v8, v0
	v_mov_b32_e32 v15, v1
	;; [unrolled: 1-line block ×8, first 2 shown]
	s_branch .LBB0_43
.LBB0_61:                               ;   in Loop: Header=BB0_43 Depth=1
	global_load_dwordx4 v[0:3], v[4:5], off offset:96
	s_waitcnt vmcnt(0)
	ds_write_b128 v167, v[0:3]
	s_or_b64 exec, exec, s[16:17]
	v_lshl_add_u64 v[0:1], v[118:119], 2, s[14:15]
	s_and_saveexec_b64 s[16:17], s[4:5]
	s_cbranch_execz .LBB0_45
.LBB0_62:                               ;   in Loop: Header=BB0_43 Depth=1
	v_lshl_add_u64 v[2:3], v[0:1], 0, v[120:121]
	global_load_dwordx4 v[16:19], v[2:3], off offset:64
	s_waitcnt vmcnt(0)
	ds_write_b128 v168, v[16:19]
	s_or_b64 exec, exec, s[16:17]
	v_lshl_add_u64 v[2:3], v[122:123], 2, s[14:15]
	s_and_saveexec_b64 s[14:15], s[6:7]
	s_cbranch_execnz .LBB0_46
	s_branch .LBB0_47
.LBB0_63:                               ;   in Loop: Header=BB0_43 Depth=1
	global_load_dwordx4 v[22:25], v[4:5], off offset:208
	s_waitcnt vmcnt(0)
	ds_write_b128 v167, v[22:25]
	s_or_b64 exec, exec, s[14:15]
	s_and_saveexec_b64 s[14:15], s[4:5]
	s_cbranch_execz .LBB0_49
.LBB0_64:                               ;   in Loop: Header=BB0_43 Depth=1
	v_lshl_add_u64 v[0:1], v[0:1], 0, v[120:121]
	global_load_dwordx4 v[22:25], v[0:1], off offset:176
	s_waitcnt vmcnt(0)
	ds_write_b128 v168, v[22:25]
	s_or_b64 exec, exec, s[14:15]
	s_and_saveexec_b64 s[14:15], s[6:7]
	s_cbranch_execnz .LBB0_50
	s_branch .LBB0_51
.LBB0_65:                               ;   in Loop: Header=BB0_43 Depth=1
	v_lshl_add_u64 v[16:17], v[126:127], 2, s[14:15]
	v_lshl_add_u64 v[16:17], v[16:17], 0, v[120:121]
	global_load_dwordx4 v[16:19], v[16:17], off offset:192
	s_waitcnt vmcnt(0)
	ds_write_b128 v172, v[16:19]
	s_or_b64 exec, exec, s[16:17]
	s_and_saveexec_b64 s[16:17], s[10:11]
	s_cbranch_execz .LBB0_53
.LBB0_66:                               ;   in Loop: Header=BB0_43 Depth=1
	v_lshl_add_u64 v[16:17], v[128:129], 2, s[14:15]
	v_mov_b32_e32 v135, v121
	v_lshl_add_u64 v[16:17], v[16:17], 0, v[134:135]
	global_load_dwordx4 v[16:19], v[16:17], off offset:128
	s_waitcnt vmcnt(0)
	ds_write_b128 v173, v[16:19]
	s_or_b64 exec, exec, s[16:17]
	v_lshlrev_b32_e32 v144, 2, v130
	s_and_saveexec_b64 s[16:17], s[12:13]
	s_cbranch_execnz .LBB0_54
	s_branch .LBB0_55
.LBB0_67:                               ;   in Loop: Header=BB0_43 Depth=1
	v_lshl_add_u64 v[188:189], v[126:127], 2, s[54:55]
	v_lshl_add_u64 v[188:189], v[188:189], 0, v[120:121]
	global_load_dwordx4 v[188:191], v[188:189], off offset:192
	s_waitcnt vmcnt(0)
	ds_write_b128 v172, v[188:191]
	s_or_b64 exec, exec, s[56:57]
	s_and_saveexec_b64 s[56:57], s[10:11]
	s_cbranch_execz .LBB0_57
.LBB0_68:                               ;   in Loop: Header=BB0_43 Depth=1
	v_lshl_add_u64 v[188:189], v[128:129], 2, s[54:55]
	v_mov_b32_e32 v135, v121
	v_lshl_add_u64 v[188:189], v[188:189], 0, v[134:135]
	global_load_dwordx4 v[188:191], v[188:189], off offset:128
	s_waitcnt vmcnt(0)
	ds_write_b128 v173, v[188:191]
	s_or_b64 exec, exec, s[56:57]
	s_and_saveexec_b64 s[56:57], s[12:13]
	s_cbranch_execnz .LBB0_58
	s_branch .LBB0_59
.LBB0_69:
	v_div_scale_f32 v0, s[6:7], v25, v25, 1.0
	v_rcp_f32_e32 v8, v0
	v_div_scale_f32 v10, vcc, 1.0, v25, 1.0
	v_fma_f32 v11, -v0, v8, 1.0
	v_fmac_f32_e32 v8, v11, v8
	v_mul_f32_e32 v11, v10, v8
	v_fma_f32 v12, -v0, v11, v10
	v_fmac_f32_e32 v11, v12, v8
	v_fma_f32 v0, -v0, v11, v10
	v_div_fmas_f32 v0, v0, v8, v11
	v_div_fixup_f32 v0, v0, v25, 1.0
	v_add_u32_e32 v10, s2, v9
	v_add_u32_e32 v8, s3, v10
	s_and_saveexec_b64 s[6:7], s[48:49]
	s_cbranch_execz .LBB0_20
.LBB0_70:
	v_cvt_f32_f16_sdwa v15, v163 dst_sel:DWORD dst_unused:UNUSED_PAD src0_sel:WORD_1
	v_cvt_f32_f16_e32 v14, v163
	v_cvt_f32_f16_sdwa v17, v164 dst_sel:DWORD dst_unused:UNUSED_PAD src0_sel:WORD_1
	v_cvt_f32_f16_e32 v16, v164
	s_movk_i32 s8, 0x70
	v_mad_u64_u32 v[12:13], s[8:9], v8, s8, v[28:29]
	v_mov_b32_e32 v13, 0
	v_lshl_add_u64 v[26:27], v[12:13], 2, s[64:65]
	v_pk_mul_f32 v[12:13], v[0:1], v[14:15] op_sel_hi:[0,1]
	v_pk_mul_f32 v[14:15], v[0:1], v[16:17] op_sel_hi:[0,1]
	global_store_dwordx4 v[26:27], v[12:15], off
	s_or_b64 exec, exec, s[6:7]
	s_and_saveexec_b64 s[6:7], s[4:5]
	s_cbranch_execz .LBB0_21
.LBB0_71:
	v_ashrrev_i32_e32 v9, 31, v8
	v_lshl_add_u64 v[8:9], v[8:9], 3, s[66:67]
	v_mov_b32_e32 v24, v1
	global_store_dwordx2 v[8:9], v[24:25], off
	s_or_b64 exec, exec, s[6:7]
	s_and_b64 vcc, exec, s[0:1]
	v_mov_b32_e32 v8, 1.0
	s_cbranch_vccnz .LBB0_22
.LBB0_72:
	v_div_scale_f32 v0, s[6:7], v22, v22, 1.0
	v_rcp_f32_e32 v1, v0
	v_div_scale_f32 v8, vcc, 1.0, v22, 1.0
	v_fma_f32 v9, -v0, v1, 1.0
	v_fmac_f32_e32 v1, v9, v1
	v_mul_f32_e32 v9, v8, v1
	v_fma_f32 v11, -v0, v9, v8
	v_fmac_f32_e32 v9, v11, v1
	v_fma_f32 v0, -v0, v9, v8
	v_div_fmas_f32 v0, v0, v1, v9
	v_div_fixup_f32 v8, v0, v22, 1.0
	v_add_u32_e32 v9, s2, v10
	v_add_u32_e32 v0, s3, v9
	s_and_saveexec_b64 s[6:7], s[48:49]
	s_cbranch_execz .LBB0_23
.LBB0_73:
	v_cvt_f32_f16_sdwa v13, v161 dst_sel:DWORD dst_unused:UNUSED_PAD src0_sel:WORD_1
	v_cvt_f32_f16_e32 v12, v161
	v_cvt_f32_f16_sdwa v15, v162 dst_sel:DWORD dst_unused:UNUSED_PAD src0_sel:WORD_1
	v_cvt_f32_f16_e32 v14, v162
	s_movk_i32 s8, 0x70
	v_mad_u64_u32 v[10:11], s[8:9], v0, s8, v[28:29]
	v_mov_b32_e32 v11, 0
	v_lshl_add_u64 v[16:17], v[10:11], 2, s[64:65]
	v_pk_mul_f32 v[10:11], v[8:9], v[12:13] op_sel_hi:[0,1]
	v_pk_mul_f32 v[12:13], v[8:9], v[14:15] op_sel_hi:[0,1]
	global_store_dwordx4 v[16:17], v[10:13], off
	s_or_b64 exec, exec, s[6:7]
	s_and_saveexec_b64 s[6:7], s[4:5]
	s_cbranch_execz .LBB0_24
.LBB0_74:
	v_ashrrev_i32_e32 v1, 31, v0
	v_lshl_add_u64 v[0:1], v[0:1], 3, s[66:67]
	v_mov_b32_e32 v10, v2
	v_mov_b32_e32 v11, v22
	global_store_dwordx2 v[0:1], v[10:11], off
	s_or_b64 exec, exec, s[6:7]
	s_and_b64 vcc, exec, s[0:1]
	v_mov_b32_e32 v2, 1.0
	s_cbranch_vccnz .LBB0_25
.LBB0_75:
	v_div_scale_f32 v0, s[6:7], v23, v23, 1.0
	v_rcp_f32_e32 v1, v0
	v_div_scale_f32 v2, vcc, 1.0, v23, 1.0
	v_fma_f32 v8, -v0, v1, 1.0
	v_fmac_f32_e32 v1, v8, v1
	v_mul_f32_e32 v8, v2, v1
	v_fma_f32 v10, -v0, v8, v2
	v_fmac_f32_e32 v8, v10, v1
	v_fma_f32 v0, -v0, v8, v2
	v_div_fmas_f32 v0, v0, v1, v8
	v_div_fixup_f32 v2, v0, v23, 1.0
	v_add_u32_e32 v8, s2, v9
	v_add_u32_e32 v0, s3, v8
	s_and_saveexec_b64 s[6:7], s[48:49]
	s_cbranch_execz .LBB0_26
.LBB0_76:
	v_cvt_f32_f16_sdwa v13, v158 dst_sel:DWORD dst_unused:UNUSED_PAD src0_sel:WORD_1
	v_cvt_f32_f16_e32 v12, v158
	v_cvt_f32_f16_sdwa v15, v159 dst_sel:DWORD dst_unused:UNUSED_PAD src0_sel:WORD_1
	v_cvt_f32_f16_e32 v14, v159
	s_movk_i32 s8, 0x70
	v_mad_u64_u32 v[10:11], s[8:9], v0, s8, v[28:29]
	v_mov_b32_e32 v11, 0
	v_lshl_add_u64 v[16:17], v[10:11], 2, s[64:65]
	v_pk_mul_f32 v[10:11], v[2:3], v[12:13] op_sel_hi:[0,1]
	v_pk_mul_f32 v[12:13], v[2:3], v[14:15] op_sel_hi:[0,1]
	global_store_dwordx4 v[16:17], v[10:13], off
	s_or_b64 exec, exec, s[6:7]
	s_and_saveexec_b64 s[6:7], s[4:5]
	s_cbranch_execz .LBB0_27
.LBB0_77:
	v_ashrrev_i32_e32 v1, 31, v0
	v_lshl_add_u64 v[0:1], v[0:1], 3, s[66:67]
	v_mov_b32_e32 v22, v3
	global_store_dwordx2 v[0:1], v[22:23], off
	s_or_b64 exec, exec, s[6:7]
	s_and_b64 vcc, exec, s[0:1]
	v_mov_b32_e32 v2, 1.0
	s_cbranch_vccnz .LBB0_28
.LBB0_78:
	v_div_scale_f32 v0, s[6:7], v20, v20, 1.0
	v_rcp_f32_e32 v1, v0
	v_div_scale_f32 v2, vcc, 1.0, v20, 1.0
	v_fma_f32 v3, -v0, v1, 1.0
	v_fmac_f32_e32 v1, v3, v1
	v_mul_f32_e32 v3, v2, v1
	v_fma_f32 v9, -v0, v3, v2
	v_fmac_f32_e32 v3, v9, v1
	v_fma_f32 v0, -v0, v3, v2
	v_div_fmas_f32 v0, v0, v1, v3
	v_div_fixup_f32 v2, v0, v20, 1.0
	v_add_u32_e32 v3, s2, v8
	v_add_u32_e32 v0, s3, v3
	s_and_saveexec_b64 s[6:7], s[48:49]
	s_cbranch_execz .LBB0_29
.LBB0_79:
	v_cvt_f32_f16_sdwa v11, v156 dst_sel:DWORD dst_unused:UNUSED_PAD src0_sel:WORD_1
	v_cvt_f32_f16_e32 v10, v156
	v_cvt_f32_f16_sdwa v13, v157 dst_sel:DWORD dst_unused:UNUSED_PAD src0_sel:WORD_1
	v_cvt_f32_f16_e32 v12, v157
	s_movk_i32 s8, 0x70
	v_mad_u64_u32 v[8:9], s[8:9], v0, s8, v[28:29]
	v_mov_b32_e32 v9, 0
	v_lshl_add_u64 v[14:15], v[8:9], 2, s[64:65]
	v_pk_mul_f32 v[8:9], v[2:3], v[10:11] op_sel_hi:[0,1]
	v_pk_mul_f32 v[10:11], v[2:3], v[12:13] op_sel_hi:[0,1]
	global_store_dwordx4 v[14:15], v[8:11], off
	s_or_b64 exec, exec, s[6:7]
	s_and_saveexec_b64 s[6:7], s[4:5]
	s_cbranch_execz .LBB0_30
.LBB0_80:
	v_ashrrev_i32_e32 v1, 31, v0
	v_lshl_add_u64 v[0:1], v[0:1], 3, s[66:67]
	v_mov_b32_e32 v8, v4
	v_mov_b32_e32 v9, v20
	global_store_dwordx2 v[0:1], v[8:9], off
	s_or_b64 exec, exec, s[6:7]
	s_and_b64 vcc, exec, s[0:1]
	v_mov_b32_e32 v2, 1.0
	s_cbranch_vccnz .LBB0_31
.LBB0_81:
	v_div_scale_f32 v0, s[6:7], v21, v21, 1.0
	v_rcp_f32_e32 v1, v0
	v_div_scale_f32 v2, vcc, 1.0, v21, 1.0
	v_fma_f32 v4, -v0, v1, 1.0
	v_fmac_f32_e32 v1, v4, v1
	v_mul_f32_e32 v4, v2, v1
	v_fma_f32 v8, -v0, v4, v2
	v_fmac_f32_e32 v4, v8, v1
	v_fma_f32 v0, -v0, v4, v2
	v_div_fmas_f32 v0, v0, v1, v4
	v_div_fixup_f32 v2, v0, v21, 1.0
	v_add_u32_e32 v3, s2, v3
	v_add_u32_e32 v0, s3, v3
	s_and_saveexec_b64 s[6:7], s[48:49]
	s_cbranch_execz .LBB0_32
.LBB0_82:
	v_cvt_f32_f16_sdwa v11, v154 dst_sel:DWORD dst_unused:UNUSED_PAD src0_sel:WORD_1
	v_cvt_f32_f16_e32 v10, v154
	v_cvt_f32_f16_sdwa v13, v155 dst_sel:DWORD dst_unused:UNUSED_PAD src0_sel:WORD_1
	v_cvt_f32_f16_e32 v12, v155
	s_movk_i32 s8, 0x70
	v_mad_u64_u32 v[8:9], s[8:9], v0, s8, v[28:29]
	v_mov_b32_e32 v9, 0
	v_lshl_add_u64 v[14:15], v[8:9], 2, s[64:65]
	v_pk_mul_f32 v[8:9], v[2:3], v[10:11] op_sel_hi:[0,1]
	v_pk_mul_f32 v[10:11], v[2:3], v[12:13] op_sel_hi:[0,1]
	global_store_dwordx4 v[14:15], v[8:11], off
	s_or_b64 exec, exec, s[6:7]
	s_and_saveexec_b64 s[6:7], s[4:5]
	s_cbranch_execz .LBB0_33
.LBB0_83:
	v_ashrrev_i32_e32 v1, 31, v0
	v_lshl_add_u64 v[0:1], v[0:1], 3, s[66:67]
	v_mov_b32_e32 v20, v5
	global_store_dwordx2 v[0:1], v[20:21], off
	s_or_b64 exec, exec, s[6:7]
	s_and_b64 vcc, exec, s[0:1]
	v_mov_b32_e32 v2, 1.0
	s_cbranch_vccnz .LBB0_34
.LBB0_84:
	v_div_scale_f32 v0, s[6:7], v18, v18, 1.0
	v_rcp_f32_e32 v1, v0
	v_div_scale_f32 v2, vcc, 1.0, v18, 1.0
	v_fma_f32 v4, -v0, v1, 1.0
	v_fmac_f32_e32 v1, v4, v1
	v_mul_f32_e32 v4, v2, v1
	v_fma_f32 v5, -v0, v4, v2
	v_fmac_f32_e32 v4, v5, v1
	v_fma_f32 v0, -v0, v4, v2
	v_div_fmas_f32 v0, v0, v1, v4
	v_div_fixup_f32 v2, v0, v18, 1.0
	v_add_u32_e32 v3, s2, v3
	v_add_u32_e32 v0, s3, v3
	s_and_saveexec_b64 s[6:7], s[48:49]
	s_cbranch_execz .LBB0_35
.LBB0_85:
	v_cvt_f32_f16_sdwa v9, v152 dst_sel:DWORD dst_unused:UNUSED_PAD src0_sel:WORD_1
	v_cvt_f32_f16_e32 v8, v152
	v_cvt_f32_f16_sdwa v11, v153 dst_sel:DWORD dst_unused:UNUSED_PAD src0_sel:WORD_1
	v_cvt_f32_f16_e32 v10, v153
	s_movk_i32 s8, 0x70
	v_mad_u64_u32 v[4:5], s[8:9], v0, s8, v[28:29]
	v_mov_b32_e32 v5, 0
	v_lshl_add_u64 v[4:5], v[4:5], 2, s[64:65]
	v_pk_mul_f32 v[8:9], v[2:3], v[8:9] op_sel_hi:[0,1]
	v_pk_mul_f32 v[10:11], v[2:3], v[10:11] op_sel_hi:[0,1]
	global_store_dwordx4 v[4:5], v[8:11], off
	s_or_b64 exec, exec, s[6:7]
	s_and_saveexec_b64 s[6:7], s[4:5]
	s_cbranch_execz .LBB0_36
.LBB0_86:
	v_ashrrev_i32_e32 v1, 31, v0
	v_lshl_add_u64 v[0:1], v[0:1], 3, s[66:67]
	v_mov_b32_e32 v4, v6
	v_mov_b32_e32 v5, v18
	global_store_dwordx2 v[0:1], v[4:5], off
	s_or_b64 exec, exec, s[6:7]
	s_and_b64 vcc, exec, s[0:1]
	v_mov_b32_e32 v2, 1.0
	s_cbranch_vccnz .LBB0_37
.LBB0_87:
	v_div_scale_f32 v0, s[0:1], v19, v19, 1.0
	v_rcp_f32_e32 v1, v0
	v_div_scale_f32 v2, vcc, 1.0, v19, 1.0
	v_fma_f32 v4, -v0, v1, 1.0
	v_fmac_f32_e32 v1, v4, v1
	v_mul_f32_e32 v4, v2, v1
	v_fma_f32 v5, -v0, v4, v2
	v_fmac_f32_e32 v4, v5, v1
	v_fma_f32 v0, -v0, v4, v2
	v_div_fmas_f32 v0, v0, v1, v4
	v_div_fixup_f32 v2, v0, v19, 1.0
	s_add_i32 s3, s3, s2
	v_add_u32_e32 v0, s3, v3
	s_and_saveexec_b64 s[0:1], s[48:49]
	s_cbranch_execz .LBB0_38
.LBB0_88:
	v_cvt_f32_f16_sdwa v9, v107 dst_sel:DWORD dst_unused:UNUSED_PAD src0_sel:WORD_1
	v_cvt_f32_f16_e32 v8, v107
	v_cvt_f32_f16_sdwa v11, v125 dst_sel:DWORD dst_unused:UNUSED_PAD src0_sel:WORD_1
	v_cvt_f32_f16_e32 v10, v125
	s_movk_i32 s2, 0x70
	v_mad_u64_u32 v[4:5], s[2:3], v0, s2, v[28:29]
	v_mov_b32_e32 v5, 0
	v_lshl_add_u64 v[4:5], v[4:5], 2, s[64:65]
	v_pk_mul_f32 v[8:9], v[2:3], v[8:9] op_sel_hi:[0,1]
	v_pk_mul_f32 v[10:11], v[2:3], v[10:11] op_sel_hi:[0,1]
	global_store_dwordx4 v[4:5], v[8:11], off
	s_or_b64 exec, exec, s[0:1]
	s_and_b64 exec, exec, s[4:5]
	s_cbranch_execnz .LBB0_39
	s_branch .LBB0_40
	.section	.rodata,"a",@progbits
	.p2align	6, 0x0
	.amdhsa_kernel _ZL15flash_attn_tileILi112ELi112ELi8ELi8ELb0EEvPKcS1_S1_S1_S1_PKiPfP15HIP_vector_typeIfLj2EEffffjfiS5_IjLj3EEiiiiiiiiiiiliiliiiiil
		.amdhsa_group_segment_fixed_size 22592
		.amdhsa_private_segment_fixed_size 0
		.amdhsa_kernarg_size 464
		.amdhsa_user_sgpr_count 2
		.amdhsa_user_sgpr_dispatch_ptr 0
		.amdhsa_user_sgpr_queue_ptr 0
		.amdhsa_user_sgpr_kernarg_segment_ptr 1
		.amdhsa_user_sgpr_dispatch_id 0
		.amdhsa_user_sgpr_kernarg_preload_length 0
		.amdhsa_user_sgpr_kernarg_preload_offset 0
		.amdhsa_user_sgpr_private_segment_size 0
		.amdhsa_uses_dynamic_stack 0
		.amdhsa_enable_private_segment 0
		.amdhsa_system_sgpr_workgroup_id_x 1
		.amdhsa_system_sgpr_workgroup_id_y 1
		.amdhsa_system_sgpr_workgroup_id_z 1
		.amdhsa_system_sgpr_workgroup_info 0
		.amdhsa_system_vgpr_workitem_id 1
		.amdhsa_next_free_vgpr 256
		.amdhsa_next_free_sgpr 78
		.amdhsa_accum_offset 256
		.amdhsa_reserve_vcc 1
		.amdhsa_float_round_mode_32 0
		.amdhsa_float_round_mode_16_64 0
		.amdhsa_float_denorm_mode_32 3
		.amdhsa_float_denorm_mode_16_64 3
		.amdhsa_dx10_clamp 1
		.amdhsa_ieee_mode 1
		.amdhsa_fp16_overflow 0
		.amdhsa_tg_split 0
		.amdhsa_exception_fp_ieee_invalid_op 0
		.amdhsa_exception_fp_denorm_src 0
		.amdhsa_exception_fp_ieee_div_zero 0
		.amdhsa_exception_fp_ieee_overflow 0
		.amdhsa_exception_fp_ieee_underflow 0
		.amdhsa_exception_fp_ieee_inexact 0
		.amdhsa_exception_int_div_zero 0
	.end_amdhsa_kernel
	.section	.text._ZL15flash_attn_tileILi112ELi112ELi8ELi8ELb0EEvPKcS1_S1_S1_S1_PKiPfP15HIP_vector_typeIfLj2EEffffjfiS5_IjLj3EEiiiiiiiiiiiliiliiiiil,"axG",@progbits,_ZL15flash_attn_tileILi112ELi112ELi8ELi8ELb0EEvPKcS1_S1_S1_S1_PKiPfP15HIP_vector_typeIfLj2EEffffjfiS5_IjLj3EEiiiiiiiiiiiliiliiiiil,comdat
.Lfunc_end0:
	.size	_ZL15flash_attn_tileILi112ELi112ELi8ELi8ELb0EEvPKcS1_S1_S1_S1_PKiPfP15HIP_vector_typeIfLj2EEffffjfiS5_IjLj3EEiiiiiiiiiiiliiliiiiil, .Lfunc_end0-_ZL15flash_attn_tileILi112ELi112ELi8ELi8ELb0EEvPKcS1_S1_S1_S1_PKiPfP15HIP_vector_typeIfLj2EEffffjfiS5_IjLj3EEiiiiiiiiiiiliiliiiiil
                                        ; -- End function
	.set _ZL15flash_attn_tileILi112ELi112ELi8ELi8ELb0EEvPKcS1_S1_S1_S1_PKiPfP15HIP_vector_typeIfLj2EEffffjfiS5_IjLj3EEiiiiiiiiiiiliiliiiiil.num_vgpr, 256
	.set _ZL15flash_attn_tileILi112ELi112ELi8ELi8ELb0EEvPKcS1_S1_S1_S1_PKiPfP15HIP_vector_typeIfLj2EEffffjfiS5_IjLj3EEiiiiiiiiiiiliiliiiiil.num_agpr, 0
	.set _ZL15flash_attn_tileILi112ELi112ELi8ELi8ELb0EEvPKcS1_S1_S1_S1_PKiPfP15HIP_vector_typeIfLj2EEffffjfiS5_IjLj3EEiiiiiiiiiiiliiliiiiil.numbered_sgpr, 78
	.set _ZL15flash_attn_tileILi112ELi112ELi8ELi8ELb0EEvPKcS1_S1_S1_S1_PKiPfP15HIP_vector_typeIfLj2EEffffjfiS5_IjLj3EEiiiiiiiiiiiliiliiiiil.num_named_barrier, 0
	.set _ZL15flash_attn_tileILi112ELi112ELi8ELi8ELb0EEvPKcS1_S1_S1_S1_PKiPfP15HIP_vector_typeIfLj2EEffffjfiS5_IjLj3EEiiiiiiiiiiiliiliiiiil.private_seg_size, 0
	.set _ZL15flash_attn_tileILi112ELi112ELi8ELi8ELb0EEvPKcS1_S1_S1_S1_PKiPfP15HIP_vector_typeIfLj2EEffffjfiS5_IjLj3EEiiiiiiiiiiiliiliiiiil.uses_vcc, 1
	.set _ZL15flash_attn_tileILi112ELi112ELi8ELi8ELb0EEvPKcS1_S1_S1_S1_PKiPfP15HIP_vector_typeIfLj2EEffffjfiS5_IjLj3EEiiiiiiiiiiiliiliiiiil.uses_flat_scratch, 0
	.set _ZL15flash_attn_tileILi112ELi112ELi8ELi8ELb0EEvPKcS1_S1_S1_S1_PKiPfP15HIP_vector_typeIfLj2EEffffjfiS5_IjLj3EEiiiiiiiiiiiliiliiiiil.has_dyn_sized_stack, 0
	.set _ZL15flash_attn_tileILi112ELi112ELi8ELi8ELb0EEvPKcS1_S1_S1_S1_PKiPfP15HIP_vector_typeIfLj2EEffffjfiS5_IjLj3EEiiiiiiiiiiiliiliiiiil.has_recursion, 0
	.set _ZL15flash_attn_tileILi112ELi112ELi8ELi8ELb0EEvPKcS1_S1_S1_S1_PKiPfP15HIP_vector_typeIfLj2EEffffjfiS5_IjLj3EEiiiiiiiiiiiliiliiiiil.has_indirect_call, 0
	.section	.AMDGPU.csdata,"",@progbits
; Kernel info:
; codeLenInByte = 27360
; TotalNumSgprs: 84
; NumVgprs: 256
; NumAgprs: 0
; TotalNumVgprs: 256
; ScratchSize: 0
; MemoryBound: 0
; FloatMode: 240
; IeeeMode: 1
; LDSByteSize: 22592 bytes/workgroup (compile time only)
; SGPRBlocks: 10
; VGPRBlocks: 31
; NumSGPRsForWavesPerEU: 84
; NumVGPRsForWavesPerEU: 256
; AccumOffset: 256
; Occupancy: 2
; WaveLimiterHint : 1
; COMPUTE_PGM_RSRC2:SCRATCH_EN: 0
; COMPUTE_PGM_RSRC2:USER_SGPR: 2
; COMPUTE_PGM_RSRC2:TRAP_HANDLER: 0
; COMPUTE_PGM_RSRC2:TGID_X_EN: 1
; COMPUTE_PGM_RSRC2:TGID_Y_EN: 1
; COMPUTE_PGM_RSRC2:TGID_Z_EN: 1
; COMPUTE_PGM_RSRC2:TIDIG_COMP_CNT: 1
; COMPUTE_PGM_RSRC3_GFX90A:ACCUM_OFFSET: 63
; COMPUTE_PGM_RSRC3_GFX90A:TG_SPLIT: 0
	.section	.text._ZL25flash_attn_mask_to_KV_maxILi8EEvPK7__half2Piiii,"axG",@progbits,_ZL25flash_attn_mask_to_KV_maxILi8EEvPK7__half2Piiii,comdat
	.globl	_ZL25flash_attn_mask_to_KV_maxILi8EEvPK7__half2Piiii ; -- Begin function _ZL25flash_attn_mask_to_KV_maxILi8EEvPK7__half2Piiii
	.p2align	8
	.type	_ZL25flash_attn_mask_to_KV_maxILi8EEvPK7__half2Piiii,@function
_ZL25flash_attn_mask_to_KV_maxILi8EEvPK7__half2Piiii: ; @_ZL25flash_attn_mask_to_KV_maxILi8EEvPK7__half2Piiii
; %bb.0:
	s_load_dwordx4 s[4:7], s[0:1], 0x0
	v_cmp_gt_u32_e32 vcc, 32, v0
	s_and_saveexec_b64 s[8:9], vcc
; %bb.1:
	v_lshlrev_b32_e32 v1, 2, v0
	v_mov_b32_e32 v2, 1
	ds_write_b32 v1, v2
; %bb.2:
	s_or_b64 exec, exec, s[8:9]
	s_load_dwordx4 s[8:11], s[0:1], 0x10
	s_load_dword s33, s[0:1], 0x20
	v_and_b32_e32 v2, 31, v0
	v_lshlrev_b32_e32 v6, 2, v2
	v_lshrrev_b32_e32 v1, 3, v0
	s_waitcnt lgkmcnt(0)
	s_mul_i32 s1, s2, s9
	s_mul_i32 s0, s10, s3
	s_lshl_b32 s1, s1, 3
	s_add_i32 s0, s0, s1
	s_ashr_i32 s1, s0, 31
	s_lshl_b64 s[0:1], s[0:1], 2
	s_add_u32 s10, s4, s0
	s_addc_u32 s11, s5, s1
	v_cmp_eq_u32_e64 s[0:1], 0, v2
	v_mbcnt_lo_u32_b32 v2, -1, 0
	s_lshl_b32 s8, s8, 8
	s_mov_b64 s[12:13], 0
	v_mov_b32_e32 v3, 0
	s_movk_i32 s42, 0x204
	v_mbcnt_hi_u32_b32 v7, -1, v2
	s_barrier
                                        ; implicit-def: $sgpr4_sgpr5
	s_branch .LBB1_5
.LBB1_3:                                ;   in Loop: Header=BB1_5 Depth=1
	s_or_b64 exec, exec, s[14:15]
	s_waitcnt lgkmcnt(0)
	s_barrier
	ds_read_b32 v10, v6
	s_waitcnt lgkmcnt(0)
	s_barrier
	ds_bpermute_b32 v2, v2, v10
	v_cmp_ne_u32_e32 vcc, 0, v10
	s_waitcnt lgkmcnt(0)
	v_cmp_ne_u32_e64 s[4:5], 0, v2
	s_and_b64 s[4:5], vcc, s[4:5]
	s_nop 0
	v_cndmask_b32_e64 v2, 0, 1, s[4:5]
	ds_bpermute_b32 v2, v4, v2
	s_waitcnt lgkmcnt(0)
	v_cmp_ne_u32_e32 vcc, 0, v2
	s_and_b64 s[4:5], vcc, s[4:5]
	v_cndmask_b32_e64 v2, 0, 1, s[4:5]
	ds_bpermute_b32 v2, v5, v2
	s_waitcnt lgkmcnt(0)
	v_cmp_ne_u32_e32 vcc, 0, v2
	s_and_b64 s[4:5], vcc, s[4:5]
	;; [unrolled: 5-line block ×3, first 2 shown]
	v_cndmask_b32_e64 v2, 0, 1, s[4:5]
	ds_bpermute_b32 v2, v9, v2
	s_xor_b64 s[4:5], s[4:5], -1
	s_waitcnt lgkmcnt(0)
	v_cmp_eq_u32_e32 vcc, 0, v2
	s_or_b64 s[4:5], vcc, s[4:5]
.LBB1_4:                                ;   in Loop: Header=BB1_5 Depth=1
	s_and_b64 s[14:15], exec, s[4:5]
	s_or_b64 s[12:13], s[14:15], s[12:13]
	v_mov_b32_e32 v2, s8
	s_mov_b32 s8, s43
	s_andn2_b64 exec, exec, s[12:13]
	s_cbranch_execz .LBB1_36
.LBB1_5:                                ; =>This Inner Loop Header: Depth=1
	s_add_i32 s43, s8, 0xffffff00
	s_or_b64 s[4:5], s[4:5], exec
	s_cmp_lt_i32 s43, 0
	s_cbranch_scc1 .LBB1_4
; %bb.6:                                ;   in Loop: Header=BB1_5 Depth=1
	s_lshr_b32 s4, s43, 1
	v_add_u32_e32 v2, s4, v0
	v_lshl_add_u64 v[4:5], v[2:3], 2, s[10:11]
	global_load_dword v4, v[4:5], off
	v_mov_b32_e32 v5, 0
	s_waitcnt vmcnt(0)
	v_cmp_class_f16_e64 s[4:5], v4, s42
	v_cmp_class_f16_sdwa s[14:15], v4, s42 src0_sel:WORD_1 src1_sel:DWORD
	s_and_b64 s[14:15], s[4:5], s[14:15]
	s_and_saveexec_b64 s[4:5], s[14:15]
	s_cbranch_execz .LBB1_34
; %bb.7:                                ;   in Loop: Header=BB1_5 Depth=1
	v_add_u32_e32 v4, s9, v2
	v_ashrrev_i32_e32 v5, 31, v4
	v_lshl_add_u64 v[8:9], v[4:5], 2, s[10:11]
	global_load_dword v2, v[8:9], off
	v_mov_b32_e32 v5, 0
	s_waitcnt vmcnt(0)
	v_cmp_class_f16_e64 s[16:17], v2, s42
	s_and_saveexec_b64 s[14:15], s[16:17]
	s_cbranch_execz .LBB1_33
; %bb.8:                                ;   in Loop: Header=BB1_5 Depth=1
	v_cmp_class_f16_sdwa s[18:19], v2, s42 src0_sel:WORD_1 src1_sel:DWORD
	v_mov_b32_e32 v5, 0
	s_and_saveexec_b64 s[16:17], s[18:19]
	s_cbranch_execz .LBB1_32
; %bb.9:                                ;   in Loop: Header=BB1_5 Depth=1
	v_add_u32_e32 v4, s9, v4
	v_ashrrev_i32_e32 v5, 31, v4
	v_lshl_add_u64 v[8:9], v[4:5], 2, s[10:11]
	global_load_dword v2, v[8:9], off
	v_mov_b32_e32 v5, 0
	s_waitcnt vmcnt(0)
	v_cmp_class_f16_e64 s[20:21], v2, s42
	s_and_saveexec_b64 s[18:19], s[20:21]
	s_cbranch_execz .LBB1_31
; %bb.10:                               ;   in Loop: Header=BB1_5 Depth=1
	v_cmp_class_f16_sdwa s[22:23], v2, s42 src0_sel:WORD_1 src1_sel:DWORD
	v_mov_b32_e32 v5, 0
	s_and_saveexec_b64 s[20:21], s[22:23]
	s_cbranch_execz .LBB1_30
; %bb.11:                               ;   in Loop: Header=BB1_5 Depth=1
	v_add_u32_e32 v4, s9, v4
	v_ashrrev_i32_e32 v5, 31, v4
	v_lshl_add_u64 v[8:9], v[4:5], 2, s[10:11]
	global_load_dword v2, v[8:9], off
	v_mov_b32_e32 v5, 0
	s_waitcnt vmcnt(0)
	v_cmp_class_f16_e64 s[24:25], v2, s42
	s_and_saveexec_b64 s[22:23], s[24:25]
	s_cbranch_execz .LBB1_29
; %bb.12:                               ;   in Loop: Header=BB1_5 Depth=1
	v_cmp_class_f16_sdwa s[26:27], v2, s42 src0_sel:WORD_1 src1_sel:DWORD
	v_mov_b32_e32 v5, 0
	s_and_saveexec_b64 s[24:25], s[26:27]
	s_cbranch_execz .LBB1_28
; %bb.13:                               ;   in Loop: Header=BB1_5 Depth=1
	;; [unrolled: 15-line block ×5, first 2 shown]
	v_add_u32_e32 v4, s9, v4
	v_ashrrev_i32_e32 v5, 31, v4
	v_lshl_add_u64 v[4:5], v[4:5], 2, s[10:11]
	global_load_dword v2, v[4:5], off
	v_mov_b32_e32 v5, 0
	s_waitcnt vmcnt(0)
	v_cmp_class_f16_e64 s[44:45], v2, s42
	s_and_saveexec_b64 s[40:41], s[44:45]
; %bb.20:                               ;   in Loop: Header=BB1_5 Depth=1
	v_cmp_class_f16_sdwa s[44:45], v2, s42 src0_sel:WORD_1 src1_sel:DWORD
	s_nop 1
	v_cndmask_b32_e64 v5, 0, 1, s[44:45]
; %bb.21:                               ;   in Loop: Header=BB1_5 Depth=1
	s_or_b64 exec, exec, s[40:41]
.LBB1_22:                               ;   in Loop: Header=BB1_5 Depth=1
	s_or_b64 exec, exec, s[38:39]
.LBB1_23:                               ;   in Loop: Header=BB1_5 Depth=1
	s_or_b64 exec, exec, s[36:37]
.LBB1_24:                               ;   in Loop: Header=BB1_5 Depth=1
	s_or_b64 exec, exec, s[34:35]
.LBB1_25:                               ;   in Loop: Header=BB1_5 Depth=1
	s_or_b64 exec, exec, s[30:31]
.LBB1_26:                               ;   in Loop: Header=BB1_5 Depth=1
	s_or_b64 exec, exec, s[28:29]
.LBB1_27:                               ;   in Loop: Header=BB1_5 Depth=1
	s_or_b64 exec, exec, s[26:27]
.LBB1_28:                               ;   in Loop: Header=BB1_5 Depth=1
	s_or_b64 exec, exec, s[24:25]
.LBB1_29:                               ;   in Loop: Header=BB1_5 Depth=1
	s_or_b64 exec, exec, s[22:23]
.LBB1_30:                               ;   in Loop: Header=BB1_5 Depth=1
	s_or_b64 exec, exec, s[20:21]
.LBB1_31:                               ;   in Loop: Header=BB1_5 Depth=1
	s_or_b64 exec, exec, s[18:19]
.LBB1_32:                               ;   in Loop: Header=BB1_5 Depth=1
	s_or_b64 exec, exec, s[16:17]
.LBB1_33:                               ;   in Loop: Header=BB1_5 Depth=1
	s_or_b64 exec, exec, s[14:15]
.LBB1_34:                               ;   in Loop: Header=BB1_5 Depth=1
	s_or_b64 exec, exec, s[4:5]
	v_and_b32_e32 v2, 0x60, v7
	v_add_u32_e32 v9, 32, v2
	v_xor_b32_e32 v2, 16, v7
	v_cmp_lt_i32_e32 vcc, v2, v9
	v_xor_b32_e32 v11, 1, v7
	s_nop 0
	v_cndmask_b32_e32 v2, v7, v2, vcc
	v_lshlrev_b32_e32 v2, 2, v2
	ds_bpermute_b32 v4, v2, v5
	v_cmp_ne_u32_e32 vcc, 0, v5
	s_waitcnt lgkmcnt(0)
	v_cmp_ne_u32_e64 s[4:5], 0, v4
	v_xor_b32_e32 v4, 8, v7
	s_and_b64 s[4:5], vcc, s[4:5]
	v_cmp_lt_i32_e32 vcc, v4, v9
	v_cndmask_b32_e64 v5, 0, 1, s[4:5]
	s_nop 0
	v_cndmask_b32_e32 v4, v7, v4, vcc
	v_lshlrev_b32_e32 v4, 2, v4
	ds_bpermute_b32 v5, v4, v5
	s_waitcnt lgkmcnt(0)
	v_cmp_ne_u32_e32 vcc, 0, v5
	v_xor_b32_e32 v5, 4, v7
	s_and_b64 s[4:5], vcc, s[4:5]
	v_cmp_lt_i32_e32 vcc, v5, v9
	v_cndmask_b32_e64 v8, 0, 1, s[4:5]
	s_nop 0
	v_cndmask_b32_e32 v5, v7, v5, vcc
	v_lshlrev_b32_e32 v5, 2, v5
	ds_bpermute_b32 v8, v5, v8
	s_waitcnt lgkmcnt(0)
	v_cmp_ne_u32_e32 vcc, 0, v8
	;; [unrolled: 10-line block ×3, first 2 shown]
	s_and_b64 s[4:5], vcc, s[4:5]
	v_cmp_lt_i32_e32 vcc, v11, v9
	v_cndmask_b32_e64 v10, 0, 1, s[4:5]
	s_nop 0
	v_cndmask_b32_e32 v9, v7, v11, vcc
	v_lshlrev_b32_e32 v9, 2, v9
	ds_bpermute_b32 v10, v9, v10
	s_and_saveexec_b64 s[14:15], s[0:1]
	s_cbranch_execz .LBB1_3
; %bb.35:                               ;   in Loop: Header=BB1_5 Depth=1
	s_waitcnt lgkmcnt(0)
	v_cmp_ne_u32_e32 vcc, 0, v10
	s_and_b64 s[4:5], vcc, s[4:5]
	v_cndmask_b32_e64 v10, 0, 1, s[4:5]
	ds_write_b32 v1, v10
	s_branch .LBB1_3
.LBB1_36:
	s_or_b64 exec, exec, s[12:13]
	v_cmp_eq_u32_e32 vcc, 0, v0
	s_and_saveexec_b64 s[0:1], vcc
	s_cbranch_execz .LBB1_38
; %bb.37:
	s_mul_i32 s0, s33, s3
	s_add_i32 s0, s0, s2
	s_ashr_i32 s1, s0, 31
	s_lshl_b64 s[0:1], s[0:1], 2
	s_add_u32 s0, s6, s0
	s_addc_u32 s1, s7, s1
	v_mov_b32_e32 v0, 0
	global_store_dword v0, v2, s[0:1]
.LBB1_38:
	s_endpgm
	.section	.rodata,"a",@progbits
	.p2align	6, 0x0
	.amdhsa_kernel _ZL25flash_attn_mask_to_KV_maxILi8EEvPK7__half2Piiii
		.amdhsa_group_segment_fixed_size 128
		.amdhsa_private_segment_fixed_size 0
		.amdhsa_kernarg_size 288
		.amdhsa_user_sgpr_count 2
		.amdhsa_user_sgpr_dispatch_ptr 0
		.amdhsa_user_sgpr_queue_ptr 0
		.amdhsa_user_sgpr_kernarg_segment_ptr 1
		.amdhsa_user_sgpr_dispatch_id 0
		.amdhsa_user_sgpr_kernarg_preload_length 0
		.amdhsa_user_sgpr_kernarg_preload_offset 0
		.amdhsa_user_sgpr_private_segment_size 0
		.amdhsa_uses_dynamic_stack 0
		.amdhsa_enable_private_segment 0
		.amdhsa_system_sgpr_workgroup_id_x 1
		.amdhsa_system_sgpr_workgroup_id_y 1
		.amdhsa_system_sgpr_workgroup_id_z 0
		.amdhsa_system_sgpr_workgroup_info 0
		.amdhsa_system_vgpr_workitem_id 0
		.amdhsa_next_free_vgpr 12
		.amdhsa_next_free_sgpr 46
		.amdhsa_accum_offset 12
		.amdhsa_reserve_vcc 1
		.amdhsa_float_round_mode_32 0
		.amdhsa_float_round_mode_16_64 0
		.amdhsa_float_denorm_mode_32 3
		.amdhsa_float_denorm_mode_16_64 3
		.amdhsa_dx10_clamp 1
		.amdhsa_ieee_mode 1
		.amdhsa_fp16_overflow 0
		.amdhsa_tg_split 0
		.amdhsa_exception_fp_ieee_invalid_op 0
		.amdhsa_exception_fp_denorm_src 0
		.amdhsa_exception_fp_ieee_div_zero 0
		.amdhsa_exception_fp_ieee_overflow 0
		.amdhsa_exception_fp_ieee_underflow 0
		.amdhsa_exception_fp_ieee_inexact 0
		.amdhsa_exception_int_div_zero 0
	.end_amdhsa_kernel
	.section	.text._ZL25flash_attn_mask_to_KV_maxILi8EEvPK7__half2Piiii,"axG",@progbits,_ZL25flash_attn_mask_to_KV_maxILi8EEvPK7__half2Piiii,comdat
.Lfunc_end1:
	.size	_ZL25flash_attn_mask_to_KV_maxILi8EEvPK7__half2Piiii, .Lfunc_end1-_ZL25flash_attn_mask_to_KV_maxILi8EEvPK7__half2Piiii
                                        ; -- End function
	.set _ZL25flash_attn_mask_to_KV_maxILi8EEvPK7__half2Piiii.num_vgpr, 12
	.set _ZL25flash_attn_mask_to_KV_maxILi8EEvPK7__half2Piiii.num_agpr, 0
	.set _ZL25flash_attn_mask_to_KV_maxILi8EEvPK7__half2Piiii.numbered_sgpr, 46
	.set _ZL25flash_attn_mask_to_KV_maxILi8EEvPK7__half2Piiii.num_named_barrier, 0
	.set _ZL25flash_attn_mask_to_KV_maxILi8EEvPK7__half2Piiii.private_seg_size, 0
	.set _ZL25flash_attn_mask_to_KV_maxILi8EEvPK7__half2Piiii.uses_vcc, 1
	.set _ZL25flash_attn_mask_to_KV_maxILi8EEvPK7__half2Piiii.uses_flat_scratch, 0
	.set _ZL25flash_attn_mask_to_KV_maxILi8EEvPK7__half2Piiii.has_dyn_sized_stack, 0
	.set _ZL25flash_attn_mask_to_KV_maxILi8EEvPK7__half2Piiii.has_recursion, 0
	.set _ZL25flash_attn_mask_to_KV_maxILi8EEvPK7__half2Piiii.has_indirect_call, 0
	.section	.AMDGPU.csdata,"",@progbits
; Kernel info:
; codeLenInByte = 1292
; TotalNumSgprs: 52
; NumVgprs: 12
; NumAgprs: 0
; TotalNumVgprs: 12
; ScratchSize: 0
; MemoryBound: 0
; FloatMode: 240
; IeeeMode: 1
; LDSByteSize: 128 bytes/workgroup (compile time only)
; SGPRBlocks: 6
; VGPRBlocks: 1
; NumSGPRsForWavesPerEU: 52
; NumVGPRsForWavesPerEU: 12
; AccumOffset: 12
; Occupancy: 8
; WaveLimiterHint : 0
; COMPUTE_PGM_RSRC2:SCRATCH_EN: 0
; COMPUTE_PGM_RSRC2:USER_SGPR: 2
; COMPUTE_PGM_RSRC2:TRAP_HANDLER: 0
; COMPUTE_PGM_RSRC2:TGID_X_EN: 1
; COMPUTE_PGM_RSRC2:TGID_Y_EN: 1
; COMPUTE_PGM_RSRC2:TGID_Z_EN: 0
; COMPUTE_PGM_RSRC2:TIDIG_COMP_CNT: 0
; COMPUTE_PGM_RSRC3_GFX90A:ACCUM_OFFSET: 2
; COMPUTE_PGM_RSRC3_GFX90A:TG_SPLIT: 0
	.section	.text._ZL33flash_attn_stream_k_fixup_uniformILi112ELi8ELi8EEvPfPK15HIP_vector_typeIfLj2EEiiiiiiS1_IjLj3EES5_S5_,"axG",@progbits,_ZL33flash_attn_stream_k_fixup_uniformILi112ELi8ELi8EEvPfPK15HIP_vector_typeIfLj2EEiiiiiiS1_IjLj3EES5_S5_,comdat
	.globl	_ZL33flash_attn_stream_k_fixup_uniformILi112ELi8ELi8EEvPfPK15HIP_vector_typeIfLj2EEiiiiiiS1_IjLj3EES5_S5_ ; -- Begin function _ZL33flash_attn_stream_k_fixup_uniformILi112ELi8ELi8EEvPfPK15HIP_vector_typeIfLj2EEiiiiiiS1_IjLj3EES5_S5_
	.p2align	8
	.type	_ZL33flash_attn_stream_k_fixup_uniformILi112ELi8ELi8EEvPfPK15HIP_vector_typeIfLj2EEiiiiiiS1_IjLj3EES5_S5_,@function
_ZL33flash_attn_stream_k_fixup_uniformILi112ELi8ELi8EEvPfPK15HIP_vector_typeIfLj2EEiiiiiiS1_IjLj3EES5_S5_: ; @_ZL33flash_attn_stream_k_fixup_uniformILi112ELi8ELi8EEvPfPK15HIP_vector_typeIfLj2EEiiiiiiS1_IjLj3EES5_S5_
; %bb.0:
	s_load_dwordx8 s[8:15], s[0:1], 0x1c
	s_load_dwordx2 s[6:7], s[0:1], 0x10
	s_load_dwordx4 s[16:19], s[0:1], 0x3c
	s_waitcnt lgkmcnt(0)
	s_mul_hi_u32 s5, s11, s2
	s_add_i32 s5, s2, s5
	s_lshr_b32 s5, s5, s12
	s_mul_i32 s11, s5, s13
	s_sub_i32 s12, s2, s11
	s_mul_hi_u32 s11, s12, s14
	s_add_i32 s11, s12, s11
	s_lshr_b32 s11, s11, s15
	s_mul_i32 s13, s11, s16
	s_sub_i32 s12, s12, s13
	;; [unrolled: 5-line block ×3, first 2 shown]
	s_lshl_b32 s12, s16, 3
	s_lshl_b32 s17, s13, 3
	s_add_i32 s12, s12, s3
	s_cmp_lt_i32 s12, s6
	s_cselect_b64 s[12:13], -1, 0
	s_add_i32 s17, s17, s4
	s_cmp_lt_i32 s17, s9
	s_cselect_b64 s[14:15], -1, 0
	s_and_b64 s[12:13], s[12:13], s[14:15]
	s_andn2_b64 vcc, exec, s[12:13]
	s_cbranch_vccnz .LBB2_6
; %bb.1:
	s_load_dwordx4 s[12:15], s[0:1], 0x0
	s_mul_i32 s0, s5, s6
	s_mul_i32 s11, s11, s9
	s_add_i32 s0, s0, s3
	s_mul_i32 s0, s0, s7
	s_add_i32 s5, s17, s11
	;; [unrolled: 2-line block ×3, first 2 shown]
	s_mulk_i32 s1, 0x380
	s_mulk_i32 s0, 0x70
	s_add_i32 s0, s0, s1
	v_add_u32_e32 v4, s0, v0
	s_waitcnt lgkmcnt(0)
	v_mov_b32_e32 v2, s12
	v_mov_b32_e32 v3, s13
	v_ashrrev_i32_e32 v5, 31, v4
	v_lshl_add_u64 v[2:3], v[4:5], 2, v[2:3]
	global_load_dword v5, v[2:3], off
	s_mul_i32 s5, s10, s2
	s_lshl_b32 s11, s3, 3
	s_add_i32 s9, s5, s10
	s_add_i32 s0, s11, s4
	s_lshl_b32 s1, s9, 6
	s_add_i32 s0, s0, s1
	s_sub_i32 s0, s0, 64
	s_ashr_i32 s1, s0, 31
	s_lshl_b64 s[0:1], s[0:1], 3
	s_add_u32 s0, s14, s0
	s_addc_u32 s1, s15, s1
	s_load_dword s12, s[0:1], 0x4
	s_add_i32 s6, s9, -2
	s_cmp_lt_i32 s6, s5
	s_cbranch_scc1 .LBB2_4
; %bb.2:
	s_lshl_b32 s6, s8, 8
	s_ashr_i32 s7, s6, 31
	s_lshl_b64 s[6:7], s[6:7], 2
	s_add_u32 s6, s14, s6
	s_addc_u32 s7, s15, s7
	s_add_i32 s2, s2, 1
	s_load_dword s0, s[0:1], 0x0
	s_mul_i32 s1, s10, s2
	s_lshl_b32 s2, s1, 6
	s_add_i32 s2, s4, s2
	s_mulk_i32 s3, 0x380
	s_mulk_i32 s4, 0x70
	s_lshl_b32 s8, s8, 6
	s_mulk_i32 s1, 0x1c00
	s_add_i32 s3, s4, s3
	s_add_i32 s2, s2, s8
	;; [unrolled: 1-line block ×4, first 2 shown]
	v_add_u32_e32 v0, s3, v0
	s_add_i32 s9, s9, -1
	s_addk_i32 s2, 0xff80
	v_add_u32_e32 v0, 0xffffc800, v0
	s_waitcnt lgkmcnt(0)
	v_mov_b32_e32 v7, s0
	v_mov_b32_e32 v4, s12
	s_mov_b32 s4, 0x3fb8aa3b
	s_mov_b32 s8, 0xc2ce8ed0
	;; [unrolled: 1-line block ×3, first 2 shown]
	v_mov_b32_e32 v6, 0x7f800000
	s_mov_b32 s11, 0xc1a00000
.LBB2_3:                                ; =>This Inner Loop Header: Depth=1
	v_ashrrev_i32_e32 v1, 31, v0
	v_lshl_add_u64 v[8:9], v[0:1], 2, s[6:7]
	global_load_dword v9, v[8:9], off
	s_ashr_i32 s3, s2, 31
	s_lshl_b64 s[0:1], s[2:3], 3
	s_add_u32 s0, s14, s0
	s_addc_u32 s1, s15, s1
	s_load_dwordx2 s[0:1], s[0:1], 0x0
	v_max_f32_e32 v1, v7, v7
	s_add_i32 s9, s9, -1
	s_sub_i32 s2, s2, 64
	v_add_u32_e32 v0, 0xffffe400, v0
	s_waitcnt lgkmcnt(0)
	v_max_f32_e64 v10, s0, s0
	v_max_f32_e32 v1, v1, v10
	v_sub_f32_e32 v11, s0, v1
	v_sub_f32_e32 v10, v7, v1
	v_mul_f32_e32 v12, 0x3fb8aa3b, v11
	v_mov_b32_e32 v7, v1
	v_mul_f32_e32 v1, 0x3fb8aa3b, v10
	v_fma_f32 v15, v11, s4, -v12
	v_rndne_f32_e32 v16, v12
	v_fma_f32 v13, v10, s4, -v1
	v_rndne_f32_e32 v14, v1
	v_fmac_f32_e32 v15, 0x32a5705f, v11
	v_sub_f32_e32 v12, v12, v16
	v_fmac_f32_e32 v13, 0x32a5705f, v10
	v_sub_f32_e32 v1, v1, v14
	v_add_f32_e32 v12, v12, v15
	v_cvt_i32_f32_e32 v16, v16
	v_add_f32_e32 v1, v1, v13
	v_exp_f32_e32 v12, v12
	v_cvt_i32_f32_e32 v14, v14
	v_exp_f32_e32 v1, v1
	v_cmp_ngt_f32_e32 vcc, s8, v11
	v_ldexp_f32 v12, v12, v16
	v_mov_b32_e32 v8, s1
	v_ldexp_f32 v1, v1, v14
	v_cmp_ngt_f32_e64 s[0:1], s8, v10
	v_cndmask_b32_e32 v12, 0, v12, vcc
	v_cmp_nlt_f32_e32 vcc, s10, v11
	v_cndmask_b32_e64 v1, 0, v1, s[0:1]
	v_cmp_nlt_f32_e64 s[0:1], s10, v10
	v_cndmask_b32_e32 v12, v6, v12, vcc
	v_cmp_le_f32_e32 vcc, s11, v11
	v_cndmask_b32_e64 v1, v6, v1, s[0:1]
	v_cmp_le_f32_e64 s[0:1], s11, v10
	v_cndmask_b32_e32 v12, 0, v12, vcc
	s_cmp_le_i32 s9, s5
	v_cndmask_b32_e64 v10, 0, v1, s[0:1]
	s_waitcnt vmcnt(0)
	v_pk_mul_f32 v[8:9], v[8:9], v[12:13] op_sel_hi:[1,0]
	s_nop 0
	v_pk_fma_f32 v[4:5], v[4:5], v[10:11], v[8:9] op_sel_hi:[1,0,1]
	s_cbranch_scc0 .LBB2_3
	s_branch .LBB2_5
.LBB2_4:
	s_waitcnt lgkmcnt(0)
	v_mov_b32_e32 v4, s12
.LBB2_5:
	s_waitcnt vmcnt(0)
	v_div_scale_f32 v0, s[0:1], v4, v4, v5
	v_rcp_f32_e32 v1, v0
	v_div_scale_f32 v6, vcc, v5, v4, v5
	v_fma_f32 v7, -v0, v1, 1.0
	v_fmac_f32_e32 v1, v7, v1
	v_mul_f32_e32 v7, v6, v1
	v_fma_f32 v8, -v0, v7, v6
	v_fmac_f32_e32 v7, v8, v1
	v_fma_f32 v0, -v0, v7, v6
	v_div_fmas_f32 v0, v0, v1, v7
	v_div_fixup_f32 v0, v0, v4, v5
	global_store_dword v[2:3], v0, off
.LBB2_6:
	s_endpgm
	.section	.rodata,"a",@progbits
	.p2align	6, 0x0
	.amdhsa_kernel _ZL33flash_attn_stream_k_fixup_uniformILi112ELi8ELi8EEvPfPK15HIP_vector_typeIfLj2EEiiiiiiS1_IjLj3EES5_S5_
		.amdhsa_group_segment_fixed_size 0
		.amdhsa_private_segment_fixed_size 0
		.amdhsa_kernarg_size 76
		.amdhsa_user_sgpr_count 2
		.amdhsa_user_sgpr_dispatch_ptr 0
		.amdhsa_user_sgpr_queue_ptr 0
		.amdhsa_user_sgpr_kernarg_segment_ptr 1
		.amdhsa_user_sgpr_dispatch_id 0
		.amdhsa_user_sgpr_kernarg_preload_length 0
		.amdhsa_user_sgpr_kernarg_preload_offset 0
		.amdhsa_user_sgpr_private_segment_size 0
		.amdhsa_uses_dynamic_stack 0
		.amdhsa_enable_private_segment 0
		.amdhsa_system_sgpr_workgroup_id_x 1
		.amdhsa_system_sgpr_workgroup_id_y 1
		.amdhsa_system_sgpr_workgroup_id_z 1
		.amdhsa_system_sgpr_workgroup_info 0
		.amdhsa_system_vgpr_workitem_id 0
		.amdhsa_next_free_vgpr 17
		.amdhsa_next_free_sgpr 20
		.amdhsa_accum_offset 20
		.amdhsa_reserve_vcc 1
		.amdhsa_float_round_mode_32 0
		.amdhsa_float_round_mode_16_64 0
		.amdhsa_float_denorm_mode_32 3
		.amdhsa_float_denorm_mode_16_64 3
		.amdhsa_dx10_clamp 1
		.amdhsa_ieee_mode 1
		.amdhsa_fp16_overflow 0
		.amdhsa_tg_split 0
		.amdhsa_exception_fp_ieee_invalid_op 0
		.amdhsa_exception_fp_denorm_src 0
		.amdhsa_exception_fp_ieee_div_zero 0
		.amdhsa_exception_fp_ieee_overflow 0
		.amdhsa_exception_fp_ieee_underflow 0
		.amdhsa_exception_fp_ieee_inexact 0
		.amdhsa_exception_int_div_zero 0
	.end_amdhsa_kernel
	.section	.text._ZL33flash_attn_stream_k_fixup_uniformILi112ELi8ELi8EEvPfPK15HIP_vector_typeIfLj2EEiiiiiiS1_IjLj3EES5_S5_,"axG",@progbits,_ZL33flash_attn_stream_k_fixup_uniformILi112ELi8ELi8EEvPfPK15HIP_vector_typeIfLj2EEiiiiiiS1_IjLj3EES5_S5_,comdat
.Lfunc_end2:
	.size	_ZL33flash_attn_stream_k_fixup_uniformILi112ELi8ELi8EEvPfPK15HIP_vector_typeIfLj2EEiiiiiiS1_IjLj3EES5_S5_, .Lfunc_end2-_ZL33flash_attn_stream_k_fixup_uniformILi112ELi8ELi8EEvPfPK15HIP_vector_typeIfLj2EEiiiiiiS1_IjLj3EES5_S5_
                                        ; -- End function
	.set _ZL33flash_attn_stream_k_fixup_uniformILi112ELi8ELi8EEvPfPK15HIP_vector_typeIfLj2EEiiiiiiS1_IjLj3EES5_S5_.num_vgpr, 17
	.set _ZL33flash_attn_stream_k_fixup_uniformILi112ELi8ELi8EEvPfPK15HIP_vector_typeIfLj2EEiiiiiiS1_IjLj3EES5_S5_.num_agpr, 0
	.set _ZL33flash_attn_stream_k_fixup_uniformILi112ELi8ELi8EEvPfPK15HIP_vector_typeIfLj2EEiiiiiiS1_IjLj3EES5_S5_.numbered_sgpr, 20
	.set _ZL33flash_attn_stream_k_fixup_uniformILi112ELi8ELi8EEvPfPK15HIP_vector_typeIfLj2EEiiiiiiS1_IjLj3EES5_S5_.num_named_barrier, 0
	.set _ZL33flash_attn_stream_k_fixup_uniformILi112ELi8ELi8EEvPfPK15HIP_vector_typeIfLj2EEiiiiiiS1_IjLj3EES5_S5_.private_seg_size, 0
	.set _ZL33flash_attn_stream_k_fixup_uniformILi112ELi8ELi8EEvPfPK15HIP_vector_typeIfLj2EEiiiiiiS1_IjLj3EES5_S5_.uses_vcc, 1
	.set _ZL33flash_attn_stream_k_fixup_uniformILi112ELi8ELi8EEvPfPK15HIP_vector_typeIfLj2EEiiiiiiS1_IjLj3EES5_S5_.uses_flat_scratch, 0
	.set _ZL33flash_attn_stream_k_fixup_uniformILi112ELi8ELi8EEvPfPK15HIP_vector_typeIfLj2EEiiiiiiS1_IjLj3EES5_S5_.has_dyn_sized_stack, 0
	.set _ZL33flash_attn_stream_k_fixup_uniformILi112ELi8ELi8EEvPfPK15HIP_vector_typeIfLj2EEiiiiiiS1_IjLj3EES5_S5_.has_recursion, 0
	.set _ZL33flash_attn_stream_k_fixup_uniformILi112ELi8ELi8EEvPfPK15HIP_vector_typeIfLj2EEiiiiiiS1_IjLj3EES5_S5_.has_indirect_call, 0
	.section	.AMDGPU.csdata,"",@progbits
; Kernel info:
; codeLenInByte = 832
; TotalNumSgprs: 26
; NumVgprs: 17
; NumAgprs: 0
; TotalNumVgprs: 17
; ScratchSize: 0
; MemoryBound: 0
; FloatMode: 240
; IeeeMode: 1
; LDSByteSize: 0 bytes/workgroup (compile time only)
; SGPRBlocks: 3
; VGPRBlocks: 2
; NumSGPRsForWavesPerEU: 26
; NumVGPRsForWavesPerEU: 17
; AccumOffset: 20
; Occupancy: 8
; WaveLimiterHint : 0
; COMPUTE_PGM_RSRC2:SCRATCH_EN: 0
; COMPUTE_PGM_RSRC2:USER_SGPR: 2
; COMPUTE_PGM_RSRC2:TRAP_HANDLER: 0
; COMPUTE_PGM_RSRC2:TGID_X_EN: 1
; COMPUTE_PGM_RSRC2:TGID_Y_EN: 1
; COMPUTE_PGM_RSRC2:TGID_Z_EN: 1
; COMPUTE_PGM_RSRC2:TIDIG_COMP_CNT: 0
; COMPUTE_PGM_RSRC3_GFX90A:ACCUM_OFFSET: 4
; COMPUTE_PGM_RSRC3_GFX90A:TG_SPLIT: 0
	.section	.text._ZL33flash_attn_stream_k_fixup_generalILi112ELi8ELi8EEvPfPK15HIP_vector_typeIfLj2EEiiiiS1_IjLj3EES5_S5_S5_,"axG",@progbits,_ZL33flash_attn_stream_k_fixup_generalILi112ELi8ELi8EEvPfPK15HIP_vector_typeIfLj2EEiiiiS1_IjLj3EES5_S5_S5_,comdat
	.globl	_ZL33flash_attn_stream_k_fixup_generalILi112ELi8ELi8EEvPfPK15HIP_vector_typeIfLj2EEiiiiS1_IjLj3EES5_S5_S5_ ; -- Begin function _ZL33flash_attn_stream_k_fixup_generalILi112ELi8ELi8EEvPfPK15HIP_vector_typeIfLj2EEiiiiS1_IjLj3EES5_S5_S5_
	.p2align	8
	.type	_ZL33flash_attn_stream_k_fixup_generalILi112ELi8ELi8EEvPfPK15HIP_vector_typeIfLj2EEiiiiS1_IjLj3EES5_S5_S5_,@function
_ZL33flash_attn_stream_k_fixup_generalILi112ELi8ELi8EEvPfPK15HIP_vector_typeIfLj2EEiiiiS1_IjLj3EES5_S5_S5_: ; @_ZL33flash_attn_stream_k_fixup_generalILi112ELi8ELi8EEvPfPK15HIP_vector_typeIfLj2EEiiiiS1_IjLj3EES5_S5_S5_
; %bb.0:
	s_load_dwordx4 s[8:11], s[0:1], 0x10
	s_load_dword s22, s[0:1], 0x50
	s_mov_b32 s12, 0
	s_waitcnt lgkmcnt(0)
	s_mul_hi_i32 s13, s11, s2
	s_cmp_lg_u64 s[12:13], 0
	s_mul_i32 s5, s11, s2
	s_cbranch_scc0 .LBB3_20
; %bb.1:
	s_add_u32 s6, s22, 0
	s_addc_u32 s7, 0, 0
	s_xor_b64 s[6:7], s[6:7], 0
	v_cvt_f32_u32_e32 v1, s6
	v_cvt_f32_u32_e32 v2, s7
	s_sub_u32 s12, 0, s6
	s_subb_u32 s18, 0, s7
	v_fmamk_f32 v1, v2, 0x4f800000, v1
	v_rcp_f32_e32 v1, v1
	s_nop 0
	v_mul_f32_e32 v1, 0x5f7ffffc, v1
	v_mul_f32_e32 v2, 0x2f800000, v1
	v_trunc_f32_e32 v2, v2
	v_fmamk_f32 v1, v2, 0xcf800000, v1
	v_cvt_u32_f32_e32 v2, v2
	v_cvt_u32_f32_e32 v1, v1
	v_readfirstlane_b32 s19, v2
	v_readfirstlane_b32 s14, v1
	s_mul_i32 s15, s12, s19
	s_mul_hi_u32 s21, s12, s14
	s_mul_i32 s20, s18, s14
	s_add_i32 s15, s21, s15
	s_add_i32 s15, s15, s20
	s_mul_i32 s23, s12, s14
	s_mul_i32 s21, s14, s15
	s_mul_hi_u32 s24, s14, s23
	s_mul_hi_u32 s20, s14, s15
	s_add_u32 s21, s24, s21
	s_addc_u32 s20, 0, s20
	s_mul_hi_u32 s25, s19, s23
	s_mul_i32 s23, s19, s23
	s_add_u32 s21, s21, s23
	s_mul_hi_u32 s24, s19, s15
	s_addc_u32 s20, s20, s25
	s_addc_u32 s21, s24, 0
	s_mul_i32 s15, s19, s15
	s_add_u32 s15, s20, s15
	s_addc_u32 s20, 0, s21
	s_add_u32 s21, s14, s15
	s_cselect_b64 s[14:15], -1, 0
	s_cmp_lg_u64 s[14:15], 0
	s_addc_u32 s19, s19, s20
	s_mul_i32 s14, s12, s19
	s_mul_hi_u32 s15, s12, s21
	s_add_i32 s14, s15, s14
	s_mul_i32 s18, s18, s21
	s_add_i32 s14, s14, s18
	s_mul_i32 s12, s12, s21
	s_mul_hi_u32 s18, s19, s12
	s_mul_i32 s20, s19, s12
	s_mul_i32 s24, s21, s14
	s_mul_hi_u32 s12, s21, s12
	s_mul_hi_u32 s23, s21, s14
	s_add_u32 s12, s12, s24
	s_addc_u32 s23, 0, s23
	s_add_u32 s12, s12, s20
	s_mul_hi_u32 s15, s19, s14
	s_addc_u32 s12, s23, s18
	s_addc_u32 s15, s15, 0
	s_mul_i32 s14, s19, s14
	s_add_u32 s12, s12, s14
	s_addc_u32 s18, 0, s15
	s_add_u32 s20, s21, s12
	s_cselect_b64 s[14:15], -1, 0
	s_cmp_lg_u64 s[14:15], 0
	s_addc_u32 s18, s19, s18
	s_ashr_i32 s14, s13, 31
	s_add_u32 s12, s5, s14
	s_mov_b32 s15, s14
	s_addc_u32 s13, s13, s14
	s_xor_b64 s[12:13], s[12:13], s[14:15]
	s_mul_i32 s21, s12, s18
	s_mul_hi_u32 s23, s12, s20
	s_mul_hi_u32 s19, s12, s18
	s_add_u32 s21, s23, s21
	s_addc_u32 s19, 0, s19
	s_mul_hi_u32 s24, s13, s20
	s_mul_i32 s20, s13, s20
	s_add_u32 s20, s21, s20
	s_mul_hi_u32 s23, s13, s18
	s_addc_u32 s19, s19, s24
	s_addc_u32 s20, s23, 0
	s_mul_i32 s18, s13, s18
	s_add_u32 s23, s19, s18
	s_addc_u32 s24, 0, s20
	s_mul_i32 s18, s6, s24
	s_mul_hi_u32 s19, s6, s23
	s_add_i32 s18, s19, s18
	s_mul_i32 s19, s7, s23
	s_add_i32 s25, s18, s19
	s_sub_i32 s20, s13, s25
	s_mul_i32 s18, s6, s23
	s_sub_u32 s12, s12, s18
	s_cselect_b64 s[18:19], -1, 0
	s_cmp_lg_u64 s[18:19], 0
	s_subb_u32 s26, s20, s7
	s_sub_u32 s27, s12, s6
	s_cselect_b64 s[20:21], -1, 0
	s_cmp_lg_u64 s[20:21], 0
	s_subb_u32 s20, s26, 0
	s_cmp_ge_u32 s20, s7
	s_cselect_b32 s21, -1, 0
	s_cmp_ge_u32 s27, s6
	s_cselect_b32 s26, -1, 0
	s_cmp_eq_u32 s20, s7
	s_cselect_b32 s20, s26, s21
	s_add_u32 s21, s23, 1
	s_addc_u32 s26, s24, 0
	s_add_u32 s27, s23, 2
	s_addc_u32 s28, s24, 0
	s_cmp_lg_u32 s20, 0
	s_cselect_b32 s20, s27, s21
	s_cselect_b32 s21, s28, s26
	s_cmp_lg_u64 s[18:19], 0
	s_subb_u32 s13, s13, s25
	s_cmp_ge_u32 s13, s7
	s_cselect_b32 s18, -1, 0
	s_cmp_ge_u32 s12, s6
	s_cselect_b32 s6, -1, 0
	s_cmp_eq_u32 s13, s7
	s_cselect_b32 s6, s6, s18
	s_cmp_lg_u32 s6, 0
	s_cselect_b32 s7, s21, s24
	s_cselect_b32 s6, s20, s23
	s_xor_b64 s[12:13], s[14:15], 0
	s_xor_b64 s[6:7], s[6:7], s[12:13]
	s_sub_u32 s6, s6, s12
	s_load_dwordx4 s[12:15], s[0:1], 0x44
	s_cbranch_execnz .LBB3_3
.LBB3_2:
	v_cvt_f32_u32_e32 v1, s22
	s_sub_i32 s6, 0, s22
	v_rcp_iflag_f32_e32 v1, v1
	s_nop 0
	v_mul_f32_e32 v1, 0x4f7ffffe, v1
	v_cvt_u32_f32_e32 v1, v1
	s_nop 0
	v_readfirstlane_b32 s7, v1
	s_mul_i32 s6, s6, s7
	s_mul_hi_u32 s6, s7, s6
	s_add_i32 s7, s7, s6
	s_mul_hi_u32 s6, s5, s7
	s_waitcnt lgkmcnt(0)
	s_mul_i32 s15, s6, s22
	s_sub_i32 s5, s5, s15
	s_add_i32 s7, s6, 1
	s_sub_i32 s15, s5, s22
	s_cmp_ge_u32 s5, s22
	s_cselect_b32 s6, s7, s6
	s_cselect_b32 s5, s15, s5
	s_add_i32 s7, s6, 1
	s_cmp_ge_u32 s5, s22
	s_cselect_b32 s6, s7, s6
.LBB3_3:
	s_add_i32 s5, s2, 1
	s_mul_hi_i32 s21, s11, s5
	s_mov_b32 s20, 0
	s_cmp_lg_u64 s[20:21], 0
	s_mul_i32 s5, s11, s5
	s_cbranch_scc0 .LBB3_21
; %bb.4:
	s_add_u32 s16, s22, 0
	s_addc_u32 s17, 0, 0
	s_xor_b64 s[18:19], s[16:17], 0
	v_cvt_f32_u32_e32 v1, s18
	v_cvt_f32_u32_e32 v2, s19
	s_sub_u32 s7, 0, s18
	s_waitcnt lgkmcnt(0)
	s_subb_u32 s15, 0, s19
	v_fmamk_f32 v1, v2, 0x4f800000, v1
	v_rcp_f32_e32 v1, v1
	s_nop 0
	v_mul_f32_e32 v1, 0x5f7ffffc, v1
	v_mul_f32_e32 v2, 0x2f800000, v1
	v_trunc_f32_e32 v2, v2
	v_fmamk_f32 v1, v2, 0xcf800000, v1
	v_cvt_u32_f32_e32 v2, v2
	v_cvt_u32_f32_e32 v1, v1
	v_readfirstlane_b32 s20, v2
	v_readfirstlane_b32 s23, v1
	s_mul_i32 s24, s7, s20
	s_mul_hi_u32 s26, s7, s23
	s_mul_i32 s25, s15, s23
	s_add_i32 s24, s26, s24
	s_add_i32 s24, s24, s25
	s_mul_i32 s27, s7, s23
	s_mul_i32 s26, s23, s24
	s_mul_hi_u32 s28, s23, s27
	s_mul_hi_u32 s25, s23, s24
	s_add_u32 s26, s28, s26
	s_addc_u32 s25, 0, s25
	s_mul_hi_u32 s29, s20, s27
	s_mul_i32 s27, s20, s27
	s_add_u32 s26, s26, s27
	s_mul_hi_u32 s28, s20, s24
	s_addc_u32 s25, s25, s29
	s_addc_u32 s26, s28, 0
	s_mul_i32 s24, s20, s24
	s_add_u32 s24, s25, s24
	s_addc_u32 s26, 0, s26
	s_add_u32 s23, s23, s24
	s_cselect_b64 s[24:25], -1, 0
	s_cmp_lg_u64 s[24:25], 0
	s_addc_u32 s20, s20, s26
	s_mul_i32 s24, s7, s20
	s_mul_hi_u32 s25, s7, s23
	s_add_i32 s24, s25, s24
	s_mul_i32 s15, s15, s23
	s_add_i32 s24, s24, s15
	s_mul_i32 s7, s7, s23
	s_mul_hi_u32 s25, s20, s7
	s_mul_i32 s26, s20, s7
	s_mul_i32 s28, s23, s24
	s_mul_hi_u32 s7, s23, s7
	s_mul_hi_u32 s27, s23, s24
	s_add_u32 s7, s7, s28
	s_addc_u32 s27, 0, s27
	s_add_u32 s7, s7, s26
	s_mul_hi_u32 s15, s20, s24
	s_addc_u32 s7, s27, s25
	s_addc_u32 s15, s15, 0
	s_mul_i32 s24, s20, s24
	s_add_u32 s7, s7, s24
	s_addc_u32 s15, 0, s15
	s_add_u32 s7, s23, s7
	s_cselect_b64 s[24:25], -1, 0
	s_cmp_lg_u64 s[24:25], 0
	s_addc_u32 s15, s20, s15
	s_ashr_i32 s24, s21, 31
	s_add_u32 s20, s5, s24
	s_mov_b32 s25, s24
	s_addc_u32 s21, s21, s24
	s_xor_b64 s[20:21], s[20:21], s[24:25]
	s_mul_i32 s26, s20, s15
	s_mul_hi_u32 s27, s20, s7
	s_mul_hi_u32 s23, s20, s15
	s_add_u32 s26, s27, s26
	s_addc_u32 s23, 0, s23
	s_mul_hi_u32 s28, s21, s7
	s_mul_i32 s7, s21, s7
	s_add_u32 s7, s26, s7
	s_mul_hi_u32 s27, s21, s15
	s_addc_u32 s7, s23, s28
	s_addc_u32 s23, s27, 0
	s_mul_i32 s15, s21, s15
	s_add_u32 s7, s7, s15
	s_addc_u32 s15, 0, s23
	s_mul_i32 s23, s18, s15
	s_mul_hi_u32 s26, s18, s7
	s_add_i32 s23, s26, s23
	s_mul_i32 s26, s19, s7
	s_add_i32 s23, s23, s26
	s_sub_i32 s28, s21, s23
	s_mul_i32 s26, s18, s7
	s_sub_u32 s20, s20, s26
	s_cselect_b64 s[26:27], -1, 0
	s_cmp_lg_u64 s[26:27], 0
	s_subb_u32 s30, s28, s19
	s_sub_u32 s31, s20, s18
	s_cselect_b64 s[28:29], -1, 0
	s_cmp_lg_u64 s[28:29], 0
	s_subb_u32 s28, s30, 0
	s_cmp_ge_u32 s28, s19
	s_cselect_b32 s29, -1, 0
	s_cmp_ge_u32 s31, s18
	s_cselect_b32 s30, -1, 0
	s_cmp_eq_u32 s28, s19
	s_cselect_b32 s28, s30, s29
	s_add_u32 s29, s7, 1
	s_addc_u32 s30, s15, 0
	s_add_u32 s31, s7, 2
	s_addc_u32 s33, s15, 0
	s_cmp_lg_u32 s28, 0
	s_cselect_b32 s28, s31, s29
	s_cselect_b32 s29, s33, s30
	s_cmp_lg_u64 s[26:27], 0
	s_subb_u32 s21, s21, s23
	s_cmp_ge_u32 s21, s19
	s_cselect_b32 s23, -1, 0
	s_cmp_ge_u32 s20, s18
	s_cselect_b32 s18, -1, 0
	s_cmp_eq_u32 s21, s19
	s_cselect_b32 s18, s18, s23
	s_cmp_lg_u32 s18, 0
	s_cselect_b32 s19, s29, s15
	s_cselect_b32 s18, s28, s7
	s_xor_b64 s[20:21], s[24:25], 0
	s_xor_b64 s[18:19], s[18:19], s[20:21]
	s_sub_u32 s18, s18, s20
	s_cbranch_execnz .LBB3_6
.LBB3_5:
	v_cvt_f32_u32_e32 v1, s22
	s_sub_i32 s7, 0, s22
	v_rcp_iflag_f32_e32 v1, v1
	s_nop 0
	v_mul_f32_e32 v1, 0x4f7ffffe, v1
	v_cvt_u32_f32_e32 v1, v1
	s_waitcnt lgkmcnt(0)
	v_readfirstlane_b32 s15, v1
	s_mul_i32 s7, s7, s15
	s_mul_hi_u32 s7, s15, s7
	s_add_i32 s15, s15, s7
	s_mul_hi_u32 s7, s5, s15
	s_mul_i32 s16, s7, s22
	s_sub_i32 s5, s5, s16
	s_add_i32 s15, s7, 1
	s_sub_i32 s16, s5, s22
	s_cmp_ge_u32 s5, s22
	s_cselect_b32 s7, s15, s7
	s_cselect_b32 s5, s16, s5
	s_add_i32 s15, s7, 1
	s_cmp_ge_u32 s5, s22
	s_cselect_b32 s18, s15, s7
.LBB3_6:
	s_cmp_eq_u32 s6, s18
	s_waitcnt lgkmcnt(0)
	s_mul_hi_u32 s5, s6, s12
	s_cselect_b64 s[16:17], -1, 0
	s_add_i32 s5, s5, s6
	s_lshr_b32 s7, s5, s13
	s_mul_i32 s5, s7, s14
	s_cmp_eq_u32 s5, s6
	s_mul_hi_u32 s5, s18, s12
	s_cselect_b64 s[20:21], -1, 0
	s_add_i32 s5, s5, s18
	s_lshr_b32 s5, s5, s13
	s_cmp_eq_u32 s7, s5
	s_mul_i32 s5, s5, s14
	s_cselect_b64 s[24:25], -1, 0
	s_cmp_lg_u32 s5, s18
	s_cselect_b64 s[18:19], -1, 0
	s_and_b64 s[18:19], s[24:25], s[18:19]
	s_or_b64 s[16:17], s[16:17], s[20:21]
	s_or_b64 s[16:17], s[16:17], s[18:19]
	s_and_b64 vcc, exec, s[16:17]
	s_cbranch_vccnz .LBB3_23
; %bb.7:
	s_load_dwordx8 s[24:31], s[0:1], 0x20
	s_load_dword s5, s[0:1], 0x40
	s_waitcnt lgkmcnt(0)
	s_mul_hi_u32 s15, s6, s24
	s_add_i32 s15, s15, s6
	s_lshr_b32 s20, s15, s25
	s_mul_i32 s15, s20, s26
	s_sub_i32 s15, s6, s15
	s_mul_hi_u32 s16, s15, s27
	s_add_i32 s16, s15, s16
	s_lshr_b32 s21, s16, s28
	s_mul_i32 s16, s21, s29
	s_sub_i32 s15, s15, s16
	;; [unrolled: 5-line block ×3, first 2 shown]
	s_mul_hi_u32 s15, s5, s12
	s_add_i32 s5, s5, s15
	s_lshr_b32 s23, s5, s13
	s_lshl_b32 s5, s23, 3
	s_lshl_b32 s24, s16, 3
	s_add_i32 s5, s5, s3
	s_cmp_lt_i32 s5, s8
	s_cselect_b64 s[16:17], -1, 0
	s_add_i32 s24, s24, s4
	s_cmp_lt_i32 s24, s10
	s_cselect_b64 s[18:19], -1, 0
	s_and_b64 s[16:17], s[16:17], s[18:19]
	s_andn2_b64 vcc, exec, s[16:17]
	s_cbranch_vccnz .LBB3_23
; %bb.8:
	s_load_dwordx4 s[16:19], s[0:1], 0x0
	s_mov_b32 s0, 0
	s_lshl_b32 s15, s3, 3
	s_lshl_b32 s26, s22, 8
	s_mov_b32 s27, s0
	s_add_i32 s15, s15, s4
	s_lshl_b64 s[4:5], s[26:27], 2
	s_waitcnt lgkmcnt(0)
	s_add_u32 s4, s18, s4
	s_mul_i32 s1, s20, s8
	s_addc_u32 s5, s19, s5
	s_mul_i32 s21, s21, s10
	s_add_i32 s1, s1, s3
	s_mul_i32 s1, s1, s9
	s_add_i32 s3, s24, s21
	;; [unrolled: 2-line block ×3, first 2 shown]
	s_mulk_i32 s8, 0x380
	s_mulk_i32 s1, 0x70
	s_add_i32 s8, s8, s1
	v_add_u32_e32 v4, s8, v0
	v_mov_b32_e32 v2, s16
	v_mov_b32_e32 v3, s17
	v_ashrrev_i32_e32 v5, 31, v4
	v_lshl_add_u64 v[2:3], v[4:5], 2, v[2:3]
	global_load_dword v1, v[2:3], off
	v_cvt_f32_u32_e32 v4, s22
	s_lshl_b32 s1, s2, 6
	s_add_i32 s8, s15, s1
	s_ashr_i32 s9, s8, 31
	s_lshl_b64 s[8:9], s[8:9], 3
	v_rcp_iflag_f32_e32 v4, v4
	s_add_u32 s8, s18, s8
	s_addc_u32 s9, s19, s9
	s_load_dwordx2 s[8:9], s[8:9], 0x0
	v_mul_f32_e32 v4, 0x4f7ffffe, v4
	v_cvt_u32_f32_e32 v7, v4
	s_mul_i32 s1, s15, 0x70
	s_add_i32 s21, s2, -1
	v_add_u32_e32 v6, s1, v0
	s_waitcnt lgkmcnt(0)
	v_mov_b32_e32 v0, s9
	v_mov_b32_e32 v9, s8
	s_mov_b32 s10, 0x3fb8aa3b
	s_mov_b32 s20, 0xc2ce8ed0
	;; [unrolled: 1-line block ×4, first 2 shown]
	v_mov_b32_e32 v8, 0x7f800000
	s_mul_hi_i32 s1, s21, s11
	s_cmp_lg_u64 s[0:1], 0
	s_mul_i32 s16, s21, s11
	s_cbranch_scc0 .LBB3_19
.LBB3_9:
	s_add_u32 s2, s22, 0
	s_addc_u32 s3, 0, 0
	s_xor_b64 s[2:3], s[2:3], 0
	v_cvt_f32_u32_e32 v4, s2
	v_cvt_f32_u32_e32 v5, s3
	s_sub_u32 s17, 0, s2
	s_subb_u32 s25, 0, s3
	v_fmac_f32_e32 v4, 0x4f800000, v5
	v_rcp_f32_e32 v4, v4
	s_nop 0
	v_mul_f32_e32 v4, 0x5f7ffffc, v4
	v_mul_f32_e32 v5, 0x2f800000, v4
	v_trunc_f32_e32 v5, v5
	v_fmac_f32_e32 v4, 0xcf800000, v5
	v_cvt_u32_f32_e32 v5, v5
	v_cvt_u32_f32_e32 v4, v4
	v_readfirstlane_b32 s26, v5
	v_readfirstlane_b32 s8, v4
	s_mul_i32 s9, s17, s26
	s_mul_hi_u32 s28, s17, s8
	s_mul_i32 s27, s25, s8
	s_add_i32 s9, s28, s9
	s_mul_i32 s29, s17, s8
	s_add_i32 s9, s9, s27
	s_mul_i32 s28, s8, s9
	s_mul_hi_u32 s30, s8, s29
	s_mul_hi_u32 s27, s8, s9
	s_add_u32 s28, s30, s28
	s_addc_u32 s27, 0, s27
	s_mul_hi_u32 s31, s26, s29
	s_mul_i32 s29, s26, s29
	s_add_u32 s28, s28, s29
	s_mul_hi_u32 s30, s26, s9
	s_addc_u32 s27, s27, s31
	s_addc_u32 s28, s30, 0
	s_mul_i32 s9, s26, s9
	s_add_u32 s9, s27, s9
	s_addc_u32 s27, 0, s28
	s_add_u32 s28, s8, s9
	s_cselect_b64 s[8:9], -1, 0
	s_cmp_lg_u64 s[8:9], 0
	s_addc_u32 s26, s26, s27
	s_mul_i32 s8, s17, s26
	s_mul_hi_u32 s9, s17, s28
	s_add_i32 s8, s9, s8
	s_mul_i32 s25, s25, s28
	s_add_i32 s8, s8, s25
	s_mul_i32 s17, s17, s28
	s_mul_hi_u32 s25, s26, s17
	s_mul_i32 s27, s26, s17
	s_mul_i32 s30, s28, s8
	s_mul_hi_u32 s17, s28, s17
	s_mul_hi_u32 s29, s28, s8
	s_add_u32 s17, s17, s30
	s_addc_u32 s29, 0, s29
	s_add_u32 s17, s17, s27
	s_mul_hi_u32 s9, s26, s8
	s_addc_u32 s17, s29, s25
	s_addc_u32 s9, s9, 0
	s_mul_i32 s8, s26, s8
	s_add_u32 s8, s17, s8
	s_addc_u32 s17, 0, s9
	s_add_u32 s25, s28, s8
	s_cselect_b64 s[8:9], -1, 0
	s_cmp_lg_u64 s[8:9], 0
	s_addc_u32 s17, s26, s17
	s_ashr_i32 s8, s1, 31
	s_add_u32 s26, s16, s8
	s_mov_b32 s9, s8
	s_addc_u32 s27, s1, s8
	s_xor_b64 s[26:27], s[26:27], s[8:9]
	s_mul_i32 s28, s26, s17
	s_mul_hi_u32 s29, s26, s25
	s_mul_hi_u32 s1, s26, s17
	s_add_u32 s28, s29, s28
	s_addc_u32 s1, 0, s1
	s_mul_hi_u32 s30, s27, s25
	s_mul_i32 s25, s27, s25
	s_add_u32 s25, s28, s25
	s_mul_hi_u32 s29, s27, s17
	s_addc_u32 s1, s1, s30
	s_addc_u32 s25, s29, 0
	s_mul_i32 s17, s27, s17
	s_add_u32 s1, s1, s17
	s_addc_u32 s17, 0, s25
	s_mul_i32 s25, s2, s17
	s_mul_hi_u32 s28, s2, s1
	s_add_i32 s25, s28, s25
	s_mul_i32 s28, s3, s1
	s_add_i32 s25, s25, s28
	s_sub_i32 s30, s27, s25
	s_mul_i32 s28, s2, s1
	s_sub_u32 s26, s26, s28
	s_cselect_b64 s[28:29], -1, 0
	s_cmp_lg_u64 s[28:29], 0
	s_subb_u32 s33, s30, s3
	s_sub_u32 s34, s26, s2
	s_cselect_b64 s[30:31], -1, 0
	s_cmp_lg_u64 s[30:31], 0
	s_subb_u32 s30, s33, 0
	s_cmp_ge_u32 s30, s3
	s_cselect_b32 s31, -1, 0
	s_cmp_ge_u32 s34, s2
	s_cselect_b32 s33, -1, 0
	s_cmp_eq_u32 s30, s3
	s_cselect_b32 s30, s33, s31
	s_add_u32 s31, s1, 1
	s_addc_u32 s33, s17, 0
	s_add_u32 s34, s1, 2
	s_addc_u32 s35, s17, 0
	s_cmp_lg_u32 s30, 0
	s_cselect_b32 s30, s34, s31
	s_cselect_b32 s31, s35, s33
	s_cmp_lg_u64 s[28:29], 0
	s_subb_u32 s25, s27, s25
	s_cmp_ge_u32 s25, s3
	s_cselect_b32 s27, -1, 0
	s_cmp_ge_u32 s26, s2
	s_cselect_b32 s2, -1, 0
	s_cmp_eq_u32 s25, s3
	s_cselect_b32 s2, s2, s27
	s_cmp_lg_u32 s2, 0
	s_cselect_b32 s3, s31, s17
	s_cselect_b32 s2, s30, s1
	s_xor_b64 s[8:9], s[8:9], 0
	s_xor_b64 s[2:3], s[2:3], s[8:9]
	s_sub_u32 s8, s2, s8
	s_cbranch_execnz .LBB3_11
.LBB3_10:
	s_sub_i32 s1, 0, s22
	v_readfirstlane_b32 s2, v7
	s_mul_i32 s1, s1, s2
	s_mul_hi_u32 s1, s2, s1
	s_add_i32 s2, s2, s1
	s_mul_hi_u32 s1, s16, s2
	s_mul_i32 s3, s1, s22
	s_sub_i32 s3, s16, s3
	s_add_i32 s2, s1, 1
	s_sub_i32 s8, s3, s22
	s_cmp_ge_u32 s3, s22
	s_cselect_b32 s1, s2, s1
	s_cselect_b32 s3, s8, s3
	s_add_i32 s2, s1, 1
	s_cmp_ge_u32 s3, s22
	s_cselect_b32 s8, s2, s1
.LBB3_11:
	s_cmp_lg_u32 s6, s8
	s_cbranch_scc0 .LBB3_15
; %bb.12:
	s_add_i32 s1, s21, s22
	s_lshl_b32 s1, s1, 6
	s_add_i32 s2, s1, s15
	s_mov_b32 s3, s0
	s_lshl_b64 s[2:3], s[2:3], 3
	s_add_u32 s16, s18, s2
	s_mul_hi_u32 s1, s8, s12
	s_addc_u32 s17, s19, s3
	s_add_i32 s1, s1, s8
	s_lshr_b32 s1, s1, s13
	s_mul_i32 s2, s1, s14
	s_cmp_eq_u32 s2, s8
	s_cselect_b64 s[2:3], -1, 0
	s_cmp_lt_u32 s1, s7
	s_cselect_b64 s[26:27], -1, 0
	s_or_b64 s[26:27], s[26:27], s[2:3]
	s_mov_b64 s[2:3], -1
	s_and_b64 vcc, exec, s[26:27]
	s_mov_b32 s1, s21
	s_mov_b32 s25, s6
	s_cbranch_vccnz .LBB3_14
; %bb.13:
	s_add_i32 s1, s21, -1
	s_mov_b64 s[2:3], 0
	s_mov_b32 s25, s8
.LBB3_14:
	s_mul_i32 s8, s21, 0x1c00
	v_add_u32_e32 v4, s8, v6
	v_ashrrev_i32_e32 v5, 31, v4
	v_lshl_add_u64 v[4:5], v[4:5], 2, s[4:5]
	global_load_dword v5, v[4:5], off
	s_load_dwordx2 s[8:9], s[16:17], 0x0
	v_max_f32_e32 v4, v9, v9
	s_waitcnt lgkmcnt(0)
	v_max_f32_e64 v10, s8, s8
	v_max_f32_e32 v10, v4, v10
	v_sub_f32_e32 v11, v9, v10
	v_sub_f32_e32 v13, s8, v10
	v_mul_f32_e32 v4, 0x3fb8aa3b, v11
	v_mul_f32_e32 v12, 0x3fb8aa3b, v13
	v_fma_f32 v14, v11, s10, -v4
	v_rndne_f32_e32 v15, v4
	v_fma_f32 v16, v13, s10, -v12
	v_rndne_f32_e32 v17, v12
	v_fmac_f32_e32 v14, 0x32a5705f, v11
	v_sub_f32_e32 v4, v4, v15
	v_fmac_f32_e32 v16, 0x32a5705f, v13
	v_sub_f32_e32 v12, v12, v17
	v_add_f32_e32 v4, v4, v14
	v_cvt_i32_f32_e32 v15, v15
	v_add_f32_e32 v12, v12, v16
	v_exp_f32_e32 v14, v4
	v_cvt_i32_f32_e32 v17, v17
	v_exp_f32_e32 v12, v12
	v_cmp_ngt_f32_e32 vcc, s20, v11
	v_ldexp_f32 v14, v14, v15
	v_mov_b32_e32 v4, s9
	v_ldexp_f32 v12, v12, v17
	v_cndmask_b32_e32 v14, 0, v14, vcc
	v_cmp_ngt_f32_e32 vcc, s20, v13
	s_nop 1
	v_cndmask_b32_e32 v12, 0, v12, vcc
	v_cmp_nlt_f32_e32 vcc, s23, v11
	s_nop 1
	v_cndmask_b32_e32 v14, v8, v14, vcc
	v_cmp_nlt_f32_e32 vcc, s23, v13
	s_nop 1
	v_cndmask_b32_e32 v15, v8, v12, vcc
	v_cmp_le_f32_e32 vcc, s24, v11
	s_nop 1
	v_cndmask_b32_e32 v12, 0, v14, vcc
	v_cmp_le_f32_e32 vcc, s24, v13
	s_nop 1
	v_cndmask_b32_e32 v14, 0, v15, vcc
	s_waitcnt vmcnt(0)
	v_pk_mul_f32 v[4:5], v[4:5], v[14:15] op_sel_hi:[1,0]
	s_nop 0
	v_pk_fma_f32 v[4:5], v[0:1], v[12:13], v[4:5] op_sel_hi:[1,0,1]
	s_cbranch_execz .LBB3_16
	s_branch .LBB3_17
.LBB3_15:
                                        ; implicit-def: $vgpr4_vgpr5
                                        ; implicit-def: $sgpr2_sgpr3
                                        ; implicit-def: $vgpr10
                                        ; implicit-def: $sgpr1
                                        ; implicit-def: $sgpr25
.LBB3_16:
	s_add_i32 s1, s21, -1
	s_mov_b64 s[2:3], 0
	s_mov_b32 s25, s6
	v_mov_b32_e32 v10, v9
	s_waitcnt vmcnt(0)
	v_mov_b64_e32 v[4:5], v[0:1]
.LBB3_17:
	s_andn2_b64 vcc, exec, s[2:3]
	s_cbranch_vccz .LBB3_22
; %bb.18:
	s_mov_b32 s6, s25
	s_mov_b32 s21, s1
	v_mov_b32_e32 v9, v10
	s_waitcnt vmcnt(0)
	v_mov_b64_e32 v[0:1], v[4:5]
	s_mul_hi_i32 s1, s21, s11
	s_cmp_lg_u64 s[0:1], 0
	s_mul_i32 s16, s21, s11
	s_cbranch_scc1 .LBB3_9
.LBB3_19:
                                        ; implicit-def: $sgpr8_sgpr9
	s_branch .LBB3_10
.LBB3_20:
                                        ; implicit-def: $sgpr6_sgpr7
	s_load_dwordx4 s[12:15], s[0:1], 0x44
	s_branch .LBB3_2
.LBB3_21:
                                        ; implicit-def: $sgpr18_sgpr19
	s_branch .LBB3_5
.LBB3_22:
	v_div_scale_f32 v0, s[0:1], v4, v4, v5
	s_waitcnt vmcnt(0)
	v_rcp_f32_e32 v1, v0
	v_div_scale_f32 v6, vcc, v5, v4, v5
	v_fma_f32 v7, -v0, v1, 1.0
	v_fmac_f32_e32 v1, v7, v1
	v_mul_f32_e32 v7, v6, v1
	v_fma_f32 v8, -v0, v7, v6
	v_fmac_f32_e32 v7, v8, v1
	v_fma_f32 v0, -v0, v7, v6
	v_div_fmas_f32 v0, v0, v1, v7
	v_div_fixup_f32 v0, v0, v4, v5
	global_store_dword v[2:3], v0, off
.LBB3_23:
	s_endpgm
	.section	.rodata,"a",@progbits
	.p2align	6, 0x0
	.amdhsa_kernel _ZL33flash_attn_stream_k_fixup_generalILi112ELi8ELi8EEvPfPK15HIP_vector_typeIfLj2EEiiiiS1_IjLj3EES5_S5_S5_
		.amdhsa_group_segment_fixed_size 0
		.amdhsa_private_segment_fixed_size 0
		.amdhsa_kernarg_size 336
		.amdhsa_user_sgpr_count 2
		.amdhsa_user_sgpr_dispatch_ptr 0
		.amdhsa_user_sgpr_queue_ptr 0
		.amdhsa_user_sgpr_kernarg_segment_ptr 1
		.amdhsa_user_sgpr_dispatch_id 0
		.amdhsa_user_sgpr_kernarg_preload_length 0
		.amdhsa_user_sgpr_kernarg_preload_offset 0
		.amdhsa_user_sgpr_private_segment_size 0
		.amdhsa_uses_dynamic_stack 0
		.amdhsa_enable_private_segment 0
		.amdhsa_system_sgpr_workgroup_id_x 1
		.amdhsa_system_sgpr_workgroup_id_y 1
		.amdhsa_system_sgpr_workgroup_id_z 1
		.amdhsa_system_sgpr_workgroup_info 0
		.amdhsa_system_vgpr_workitem_id 0
		.amdhsa_next_free_vgpr 18
		.amdhsa_next_free_sgpr 36
		.amdhsa_accum_offset 20
		.amdhsa_reserve_vcc 1
		.amdhsa_float_round_mode_32 0
		.amdhsa_float_round_mode_16_64 0
		.amdhsa_float_denorm_mode_32 3
		.amdhsa_float_denorm_mode_16_64 3
		.amdhsa_dx10_clamp 1
		.amdhsa_ieee_mode 1
		.amdhsa_fp16_overflow 0
		.amdhsa_tg_split 0
		.amdhsa_exception_fp_ieee_invalid_op 0
		.amdhsa_exception_fp_denorm_src 0
		.amdhsa_exception_fp_ieee_div_zero 0
		.amdhsa_exception_fp_ieee_overflow 0
		.amdhsa_exception_fp_ieee_underflow 0
		.amdhsa_exception_fp_ieee_inexact 0
		.amdhsa_exception_int_div_zero 0
	.end_amdhsa_kernel
	.section	.text._ZL33flash_attn_stream_k_fixup_generalILi112ELi8ELi8EEvPfPK15HIP_vector_typeIfLj2EEiiiiS1_IjLj3EES5_S5_S5_,"axG",@progbits,_ZL33flash_attn_stream_k_fixup_generalILi112ELi8ELi8EEvPfPK15HIP_vector_typeIfLj2EEiiiiS1_IjLj3EES5_S5_S5_,comdat
.Lfunc_end3:
	.size	_ZL33flash_attn_stream_k_fixup_generalILi112ELi8ELi8EEvPfPK15HIP_vector_typeIfLj2EEiiiiS1_IjLj3EES5_S5_S5_, .Lfunc_end3-_ZL33flash_attn_stream_k_fixup_generalILi112ELi8ELi8EEvPfPK15HIP_vector_typeIfLj2EEiiiiS1_IjLj3EES5_S5_S5_
                                        ; -- End function
	.set _ZL33flash_attn_stream_k_fixup_generalILi112ELi8ELi8EEvPfPK15HIP_vector_typeIfLj2EEiiiiS1_IjLj3EES5_S5_S5_.num_vgpr, 18
	.set _ZL33flash_attn_stream_k_fixup_generalILi112ELi8ELi8EEvPfPK15HIP_vector_typeIfLj2EEiiiiS1_IjLj3EES5_S5_S5_.num_agpr, 0
	.set _ZL33flash_attn_stream_k_fixup_generalILi112ELi8ELi8EEvPfPK15HIP_vector_typeIfLj2EEiiiiS1_IjLj3EES5_S5_S5_.numbered_sgpr, 36
	.set _ZL33flash_attn_stream_k_fixup_generalILi112ELi8ELi8EEvPfPK15HIP_vector_typeIfLj2EEiiiiS1_IjLj3EES5_S5_S5_.num_named_barrier, 0
	.set _ZL33flash_attn_stream_k_fixup_generalILi112ELi8ELi8EEvPfPK15HIP_vector_typeIfLj2EEiiiiS1_IjLj3EES5_S5_S5_.private_seg_size, 0
	.set _ZL33flash_attn_stream_k_fixup_generalILi112ELi8ELi8EEvPfPK15HIP_vector_typeIfLj2EEiiiiS1_IjLj3EES5_S5_S5_.uses_vcc, 1
	.set _ZL33flash_attn_stream_k_fixup_generalILi112ELi8ELi8EEvPfPK15HIP_vector_typeIfLj2EEiiiiS1_IjLj3EES5_S5_S5_.uses_flat_scratch, 0
	.set _ZL33flash_attn_stream_k_fixup_generalILi112ELi8ELi8EEvPfPK15HIP_vector_typeIfLj2EEiiiiS1_IjLj3EES5_S5_S5_.has_dyn_sized_stack, 0
	.set _ZL33flash_attn_stream_k_fixup_generalILi112ELi8ELi8EEvPfPK15HIP_vector_typeIfLj2EEiiiiS1_IjLj3EES5_S5_S5_.has_recursion, 0
	.set _ZL33flash_attn_stream_k_fixup_generalILi112ELi8ELi8EEvPfPK15HIP_vector_typeIfLj2EEiiiiS1_IjLj3EES5_S5_S5_.has_indirect_call, 0
	.section	.AMDGPU.csdata,"",@progbits
; Kernel info:
; codeLenInByte = 2944
; TotalNumSgprs: 42
; NumVgprs: 18
; NumAgprs: 0
; TotalNumVgprs: 18
; ScratchSize: 0
; MemoryBound: 0
; FloatMode: 240
; IeeeMode: 1
; LDSByteSize: 0 bytes/workgroup (compile time only)
; SGPRBlocks: 5
; VGPRBlocks: 2
; NumSGPRsForWavesPerEU: 42
; NumVGPRsForWavesPerEU: 18
; AccumOffset: 20
; Occupancy: 8
; WaveLimiterHint : 0
; COMPUTE_PGM_RSRC2:SCRATCH_EN: 0
; COMPUTE_PGM_RSRC2:USER_SGPR: 2
; COMPUTE_PGM_RSRC2:TRAP_HANDLER: 0
; COMPUTE_PGM_RSRC2:TGID_X_EN: 1
; COMPUTE_PGM_RSRC2:TGID_Y_EN: 1
; COMPUTE_PGM_RSRC2:TGID_Z_EN: 1
; COMPUTE_PGM_RSRC2:TIDIG_COMP_CNT: 0
; COMPUTE_PGM_RSRC3_GFX90A:ACCUM_OFFSET: 4
; COMPUTE_PGM_RSRC3_GFX90A:TG_SPLIT: 0
	.section	.text._ZL26flash_attn_combine_resultsILi112EEvPKfPK15HIP_vector_typeIfLj2EEPfi,"axG",@progbits,_ZL26flash_attn_combine_resultsILi112EEvPKfPK15HIP_vector_typeIfLj2EEPfi,comdat
	.globl	_ZL26flash_attn_combine_resultsILi112EEvPKfPK15HIP_vector_typeIfLj2EEPfi ; -- Begin function _ZL26flash_attn_combine_resultsILi112EEvPKfPK15HIP_vector_typeIfLj2EEPfi
	.p2align	8
	.type	_ZL26flash_attn_combine_resultsILi112EEvPKfPK15HIP_vector_typeIfLj2EEPfi,@function
_ZL26flash_attn_combine_resultsILi112EEvPKfPK15HIP_vector_typeIfLj2EEPfi: ; @_ZL26flash_attn_combine_resultsILi112EEvPKfPK15HIP_vector_typeIfLj2EEPfi
; %bb.0:
	s_load_dwordx2 s[6:7], s[0:1], 0x20
	s_load_dword s23, s[0:1], 0x18
	s_load_dwordx4 s[16:19], s[0:1], 0x0
	s_load_dwordx2 s[14:15], s[0:1], 0x10
	s_waitcnt lgkmcnt(0)
	s_mul_i32 s0, s6, s4
	s_add_i32 s0, s0, s2
	s_mul_i32 s22, s0, s7
	s_add_i32 s22, s22, s3
	s_lshl_b32 s12, s23, 1
	s_mul_i32 s2, s22, s23
	v_cmp_gt_i32_e32 vcc, s12, v0
	s_and_saveexec_b64 s[0:1], vcc
	s_cbranch_execz .LBB4_13
; %bb.1:
	v_xad_u32 v1, v0, -1, s12
	s_movk_i32 s4, 0x6f
	s_ashr_i32 s3, s2, 31
	v_cmp_lt_u32_e32 vcc, s4, v1
	s_mov_b64 s[6:7], -1
	v_mov_b32_e32 v2, v0
	s_and_saveexec_b64 s[4:5], vcc
	s_cbranch_execz .LBB4_10
; %bb.2:
	v_lshrrev_b32_e32 v1, 4, v1
	s_mov_b32 s6, 0x24924925
	v_mul_hi_u32 v6, v1, s6
	s_lshl_b64 s[6:7], s[2:3], 3
	v_add_u32_e32 v2, -1, v6
	s_add_u32 s6, s18, s6
	v_add_u32_e32 v1, 0x70, v0
	v_lshrrev_b32_e32 v3, 1, v2
	s_addc_u32 s7, s19, s7
	v_add_u32_e32 v7, 1, v3
	v_cmp_lt_u32_e32 vcc, 13, v2
	v_mov_b32_e32 v4, 0
	v_mov_b64_e32 v[2:3], v[0:1]
	s_and_saveexec_b64 s[8:9], vcc
	s_cbranch_execz .LBB4_6
; %bb.3:
	v_and_b32_e32 v8, -8, v7
	s_mov_b32 s13, 0
	v_lshl_add_u32 v9, v0, 2, 0
	s_mov_b64 s[10:11], 0
	v_mov_b32_e32 v5, 0
	v_mov_b64_e32 v[2:3], v[0:1]
.LBB4_4:                                ; =>This Inner Loop Header: Depth=1
	v_mov_b32_e32 v4, v2
	v_lshl_add_u64 v[24:25], v[4:5], 2, s[6:7]
	v_mov_b32_e32 v4, v3
	v_add_u32_e32 v10, 0xe0, v3
	v_mov_b32_e32 v11, v5
	v_lshl_add_u64 v[26:27], v[4:5], 2, s[6:7]
	v_add_u32_e32 v4, 0xe0, v2
	v_lshl_add_u64 v[10:11], v[10:11], 2, s[6:7]
	global_load_dword v1, v[24:25], off
	v_lshl_add_u64 v[24:25], v[4:5], 2, s[6:7]
	v_add_u32_e32 v4, 0x1c0, v2
	global_load_dword v28, v[26:27], off
	global_load_dword v29, v[24:25], off
	global_load_dword v30, v[10:11], off
	v_lshl_add_u64 v[10:11], v[4:5], 2, s[6:7]
	v_add_u32_e32 v4, 0x2a0, v2
	v_add_u32_e32 v12, 0x1c0, v3
	v_mov_b32_e32 v13, v5
	v_add_u32_e32 v14, 0x2a0, v3
	v_mov_b32_e32 v15, v5
	v_lshl_add_u64 v[24:25], v[4:5], 2, s[6:7]
	v_add_u32_e32 v4, 0x380, v2
	v_lshl_add_u64 v[12:13], v[12:13], 2, s[6:7]
	v_lshl_add_u64 v[14:15], v[14:15], 2, s[6:7]
	global_load_dword v26, v[10:11], off
	global_load_dword v27, v[12:13], off
	;; [unrolled: 1-line block ×4, first 2 shown]
	v_lshl_add_u64 v[10:11], v[4:5], 2, s[6:7]
	v_add_u32_e32 v4, 0x460, v2
	v_add_u32_e32 v16, 0x380, v3
	v_mov_b32_e32 v17, v5
	v_add_u32_e32 v18, 0x460, v3
	v_mov_b32_e32 v19, v5
	v_lshl_add_u64 v[12:13], v[4:5], 2, s[6:7]
	v_add_u32_e32 v4, 0x540, v2
	v_add_u32_e32 v20, 0x540, v3
	v_mov_b32_e32 v21, v5
	v_add_u32_e32 v22, 0x620, v3
	v_mov_b32_e32 v23, v5
	v_lshl_add_u64 v[16:17], v[16:17], 2, s[6:7]
	v_lshl_add_u64 v[18:19], v[18:19], 2, s[6:7]
	global_load_dword v14, v[10:11], off
	global_load_dword v15, v[16:17], off
	;; [unrolled: 1-line block ×4, first 2 shown]
	v_lshl_add_u64 v[10:11], v[4:5], 2, s[6:7]
	v_add_u32_e32 v4, 0x620, v2
	v_lshl_add_u64 v[20:21], v[20:21], 2, s[6:7]
	v_lshl_add_u64 v[22:23], v[22:23], 2, s[6:7]
	;; [unrolled: 1-line block ×3, first 2 shown]
	global_load_dword v16, v[10:11], off
	global_load_dword v17, v[20:21], off
	;; [unrolled: 1-line block ×4, first 2 shown]
	v_add_u32_e32 v8, -8, v8
	s_add_i32 s13, s13, 16
	v_cmp_eq_u32_e32 vcc, 0, v8
	v_add_u32_e32 v10, 0x200, v9
	v_add_u32_e32 v11, 0x600, v9
	;; [unrolled: 1-line block ×8, first 2 shown]
	v_mov_b32_e32 v4, s13
	s_or_b64 s[10:11], vcc, s[10:11]
	v_add_u32_e32 v2, 0x700, v2
	s_waitcnt vmcnt(14)
	ds_write2_b32 v9, v1, v28 offset1:112
	v_add_u32_e32 v9, 0x1c00, v9
	s_waitcnt vmcnt(12)
	ds_write2_b32 v10, v29, v30 offset0:96 offset1:208
	s_waitcnt vmcnt(10)
	ds_write2_b32 v11, v26, v27 offset0:64 offset1:176
	;; [unrolled: 2-line block ×7, first 2 shown]
	s_andn2_b64 exec, exec, s[10:11]
	s_cbranch_execnz .LBB4_4
; %bb.5:
	s_or_b64 exec, exec, s[10:11]
.LBB4_6:
	s_or_b64 exec, exec, s[8:9]
	v_and_b32_e32 v1, 7, v7
	v_cmp_ne_u32_e32 vcc, 0, v1
	s_and_saveexec_b64 s[8:9], vcc
	s_cbranch_execz .LBB4_9
; %bb.7:
	s_movk_i32 s10, 0x1c0
	v_mul_lo_u32 v4, v4, s10
	v_lshlrev_b32_e32 v5, 2, v0
	v_add3_u32 v7, v4, v5, 0
	s_mov_b64 s[10:11], 0
	v_mov_b32_e32 v5, 0
.LBB4_8:                                ; =>This Inner Loop Header: Depth=1
	v_mov_b32_e32 v4, v2
	v_lshl_add_u64 v[8:9], v[4:5], 2, s[6:7]
	v_mov_b32_e32 v4, v3
	v_lshl_add_u64 v[10:11], v[4:5], 2, s[6:7]
	global_load_dword v4, v[8:9], off
	global_load_dword v12, v[10:11], off
	v_add_u32_e32 v1, -1, v1
	v_cmp_eq_u32_e32 vcc, 0, v1
	v_add_u32_e32 v2, 0xe0, v2
	v_add_u32_e32 v3, 0xe0, v3
	s_or_b64 s[10:11], vcc, s[10:11]
	s_waitcnt vmcnt(0)
	ds_write2_b32 v7, v4, v12 offset1:112
	v_add_u32_e32 v7, 0x380, v7
	s_andn2_b64 exec, exec, s[10:11]
	s_cbranch_execnz .LBB4_8
.LBB4_9:
	s_or_b64 exec, exec, s[8:9]
	v_add_u32_e32 v1, 1, v6
	v_and_b32_e32 v4, 0x7fffffe, v1
	s_movk_i32 s6, 0x70
	v_mad_u64_u32 v[2:3], s[6:7], v4, s6, v[0:1]
	v_cmp_ne_u32_e32 vcc, v1, v4
	s_orn2_b64 s[6:7], vcc, exec
.LBB4_10:
	s_or_b64 exec, exec, s[4:5]
	s_and_b64 exec, exec, s[6:7]
	s_cbranch_execz .LBB4_13
; %bb.11:
	s_lshl_b64 s[4:5], s[2:3], 3
	s_add_u32 s4, s18, s4
	v_mov_b32_e32 v3, 0
	s_addc_u32 s5, s19, s5
	v_lshl_add_u64 v[4:5], v[2:3], 2, s[4:5]
	v_lshl_add_u32 v1, v2, 2, 0
	s_mov_b64 s[4:5], 0
	s_mov_b64 s[6:7], 0x1c0
.LBB4_12:                               ; =>This Inner Loop Header: Depth=1
	global_load_dword v3, v[4:5], off
	v_add_u32_e32 v2, 0x70, v2
	v_cmp_le_i32_e32 vcc, s12, v2
	v_lshl_add_u64 v[4:5], v[4:5], 0, s[6:7]
	s_or_b64 s[4:5], vcc, s[4:5]
	s_waitcnt vmcnt(0)
	ds_write_b32 v1, v3
	v_add_u32_e32 v1, 0x1c0, v1
	s_andn2_b64 exec, exec, s[4:5]
	s_cbranch_execnz .LBB4_12
.LBB4_13:
	s_or_b64 exec, exec, s[0:1]
	v_mov_b32_e32 v1, 0
	s_waitcnt lgkmcnt(0)
	s_barrier
	ds_read_b32 v1, v1
	s_cmp_lt_i32 s23, 2
	s_cbranch_scc1 .LBB4_21
; %bb.14:
	s_cmp_eq_u32 s23, 2
	s_cbranch_scc1 .LBB4_18
; %bb.15:
	s_add_i32 s3, s23, -1
	s_and_b32 s4, s3, -2
	s_add_i32 s6, 0, 8
	s_mov_b32 s5, 2
	s_waitcnt lgkmcnt(0)
	v_mov_b32_e32 v4, v1
.LBB4_16:                               ; =>This Inner Loop Header: Depth=1
	v_mov_b32_e32 v2, v1
	v_mov_b32_e32 v1, s6
	;; [unrolled: 1-line block ×3, first 2 shown]
	ds_read2_b32 v[4:5], v1 offset1:2
	s_cmp_lg_u32 s4, s5
	s_cselect_b64 s[8:9], -1, 0
	v_max_f32_e32 v1, v3, v3
	v_max_f32_e32 v6, v2, v2
	s_waitcnt lgkmcnt(0)
	v_cmp_u_f32_e32 vcc, v5, v5
	v_max_f32_e32 v7, v5, v5
	v_max_f32_e32 v8, v4, v4
	v_cndmask_b32_e64 v5, 0, 1, vcc
	v_cmp_u_f32_e32 vcc, v4, v4
	v_readfirstlane_b32 s0, v5
	s_lshl_b32 s0, s0, 1
	v_cndmask_b32_e64 v9, 0, 1, vcc
	v_max_f32_e32 v4, v1, v7
	v_readfirstlane_b32 s1, v9
	s_or_b32 s0, s1, s0
	s_and_b32 s7, s0, 3
	s_cmp_lg_u32 s7, 0
	s_cselect_b64 s[0:1], -1, 0
	s_cmp_eq_u32 s7, 0
	s_cselect_b64 s[10:11], -1, 0
	s_and_b64 s[8:9], s[10:11], s[8:9]
	v_max_f32_e32 v1, v6, v8
	s_add_i32 s5, s5, 2
	s_add_i32 s6, s6, 16
	s_and_b64 vcc, exec, s[8:9]
	s_cbranch_vccnz .LBB4_16
; %bb.17:
	s_add_i32 s5, s5, -4
	s_and_b64 s[6:7], s[0:1], exec
	s_cselect_b32 s5, s5, s3
	s_or_b32 s5, s5, 1
	v_cndmask_b32_e64 v1, v1, v2, s[0:1]
	v_cndmask_b32_e64 v2, v4, v3, s[0:1]
	s_cmp_lg_u32 s3, s4
	v_max_f32_e32 v2, v2, v2
	v_max_f32_e32 v1, v1, v1
	s_cselect_b64 s[6:7], -1, 0
	v_max_f32_e32 v1, v1, v2
	s_or_b64 s[0:1], s[6:7], s[0:1]
	s_and_b64 vcc, exec, s[0:1]
	s_cbranch_vccnz .LBB4_19
	s_branch .LBB4_21
.LBB4_18:
	s_mov_b32 s5, 1
	s_cbranch_execz .LBB4_21
.LBB4_19:
	s_lshl_b32 s1, s5, 3
	s_sub_i32 s0, s23, s5
	s_add_i32 s1, s1, 0
.LBB4_20:                               ; =>This Inner Loop Header: Depth=1
	v_mov_b32_e32 v2, s1
	ds_read_b32 v2, v2
	s_waitcnt lgkmcnt(1)
	v_max_f32_e32 v1, v1, v1
	s_add_i32 s0, s0, -1
	s_add_i32 s1, s1, 8
	s_cmp_eq_u32 s0, 0
	s_waitcnt lgkmcnt(0)
	v_max_f32_e32 v2, v2, v2
	v_max_f32_e32 v1, v1, v2
	s_cbranch_scc0 .LBB4_20
.LBB4_21:
	s_cmp_lt_i32 s23, 1
	s_cbranch_scc1 .LBB4_26
; %bb.22:
	s_mul_i32 s18, s2, 0x70
	s_ashr_i32 s19, s18, 31
	s_cmp_lt_u32 s23, 8
	s_cbranch_scc1 .LBB4_27
; %bb.23:
	s_lshl_b64 s[0:1], s[18:19], 2
	s_add_u32 s20, s16, s0
	v_mov_b32_e32 v7, 0
	s_addc_u32 s21, s17, s1
	s_and_b32 s24, s23, 0x7ffffff8
	v_add_u32_e32 v4, 0x1c0, v0
	s_mov_b32 s25, 0
	s_mov_b32 s26, 0x3fb8aa3b
	;; [unrolled: 1-line block ×4, first 2 shown]
	v_mov_b32_e32 v8, 0x7f800000
	s_mov_b32 s29, 0
	v_mov_b32_e32 v2, v7
	v_mov_b32_e32 v3, v7
.LBB4_24:                               ; =>This Inner Loop Header: Depth=1
	v_add_u32_e32 v6, 0xfffffe40, v4
	v_mov_b32_e32 v9, s25
	v_lshl_add_u64 v[26:27], v[6:7], 2, s[20:21]
	v_add_u32_e32 v6, 0xfffffeb0, v4
	ds_read2_b64 v[10:13], v9 offset1:1
	ds_read2_b64 v[14:17], v9 offset0:2 offset1:3
	ds_read2_b64 v[18:21], v9 offset0:4 offset1:5
	;; [unrolled: 1-line block ×3, first 2 shown]
	v_lshl_add_u64 v[30:31], v[6:7], 2, s[20:21]
	v_add_u32_e32 v6, 0xffffff20, v4
	global_load_dword v33, v[26:27], off
	global_load_dword v35, v[30:31], off
	v_lshl_add_u64 v[26:27], v[6:7], 2, s[20:21]
	v_add_u32_e32 v6, 0xffffff90, v4
	v_mov_b32_e32 v5, v7
	v_lshl_add_u64 v[30:31], v[6:7], 2, s[20:21]
	v_add_u32_e32 v6, 0x70, v4
	v_lshl_add_u64 v[28:29], v[4:5], 2, s[20:21]
	global_load_dword v37, v[26:27], off
	global_load_dword v39, v[30:31], off
	;; [unrolled: 1-line block ×3, first 2 shown]
	v_lshl_add_u64 v[26:27], v[6:7], 2, s[20:21]
	v_add_u32_e32 v6, 0xe0, v4
	s_waitcnt lgkmcnt(3)
	v_mov_b32_e32 v32, v11
	v_sub_f32_e32 v9, v12, v1
	v_mov_b32_e32 v34, v13
	global_load_dword v11, v[26:27], off
	v_lshl_add_u64 v[12:13], v[6:7], 2, s[20:21]
	v_add_u32_e32 v6, 0x150, v4
	s_waitcnt lgkmcnt(2)
	v_mov_b32_e32 v36, v15
	global_load_dword v15, v[12:13], off
	v_lshl_add_u64 v[12:13], v[6:7], 2, s[20:21]
	v_mov_b32_e32 v38, v17
	global_load_dword v17, v[12:13], off
	v_sub_f32_e32 v5, v10, v1
	s_waitcnt lgkmcnt(1)
	v_mov_b32_e32 v40, v19
	v_sub_f32_e32 v19, v20, v1
	s_waitcnt lgkmcnt(0)
	v_sub_f32_e32 v20, v22, v1
	v_mul_f32_e32 v22, 0x3fb8aa3b, v5
	v_sub_f32_e32 v28, v14, v1
	v_sub_f32_e32 v29, v16, v1
	v_mov_b32_e32 v14, v23
	v_mul_f32_e32 v23, 0x3fb8aa3b, v9
	v_fma_f32 v6, v5, s26, -v22
	v_rndne_f32_e32 v42, v22
	v_sub_f32_e32 v18, v18, v1
	v_mov_b32_e32 v10, v21
	v_sub_f32_e32 v21, v24, v1
	v_mov_b32_e32 v16, v25
	v_mul_f32_e32 v24, 0x3fb8aa3b, v28
	v_mul_f32_e32 v25, 0x3fb8aa3b, v29
	v_fma_f32 v43, v9, s26, -v23
	v_rndne_f32_e32 v44, v23
	v_fmac_f32_e32 v6, 0x32a5705f, v5
	v_sub_f32_e32 v12, v22, v42
	v_mul_f32_e32 v26, 0x3fb8aa3b, v18
	v_mul_f32_e32 v27, 0x3fb8aa3b, v19
	;; [unrolled: 1-line block ×3, first 2 shown]
	v_fma_f32 v45, v28, s26, -v24
	v_rndne_f32_e32 v46, v24
	v_fma_f32 v47, v29, s26, -v25
	v_rndne_f32_e32 v48, v25
	v_fmac_f32_e32 v43, 0x32a5705f, v9
	v_sub_f32_e32 v22, v23, v44
	v_add_f32_e32 v6, v12, v6
	v_fma_f32 v49, v18, s26, -v26
	v_rndne_f32_e32 v50, v26
	v_fma_f32 v51, v19, s26, -v27
	v_rndne_f32_e32 v52, v27
	;; [unrolled: 2-line block ×3, first 2 shown]
	v_cvt_i32_f32_e32 v13, v42
	v_fmac_f32_e32 v45, 0x32a5705f, v28
	v_sub_f32_e32 v24, v24, v46
	v_fmac_f32_e32 v47, 0x32a5705f, v29
	v_sub_f32_e32 v25, v25, v48
	v_add_f32_e32 v12, v22, v43
	v_exp_f32_e32 v6, v6
	v_cvt_i32_f32_e32 v23, v44
	v_fmac_f32_e32 v49, 0x32a5705f, v18
	v_sub_f32_e32 v26, v26, v50
	v_fmac_f32_e32 v51, 0x32a5705f, v19
	v_sub_f32_e32 v27, v27, v52
	;; [unrolled: 2-line block ×3, first 2 shown]
	v_add_f32_e32 v22, v24, v45
	v_add_f32_e32 v24, v25, v47
	v_exp_f32_e32 v12, v12
	v_mul_f32_e32 v31, 0x3fb8aa3b, v21
	v_cvt_i32_f32_e32 v42, v46
	v_cvt_i32_f32_e32 v44, v48
	v_add_f32_e32 v25, v26, v49
	v_add_f32_e32 v26, v27, v51
	;; [unrolled: 1-line block ×3, first 2 shown]
	v_exp_f32_e32 v22, v22
	v_exp_f32_e32 v24, v24
	v_fma_f32 v55, v21, s26, -v31
	v_rndne_f32_e32 v56, v31
	v_cvt_i32_f32_e32 v46, v50
	v_cvt_i32_f32_e32 v48, v52
	;; [unrolled: 1-line block ×3, first 2 shown]
	v_exp_f32_e32 v25, v25
	v_exp_f32_e32 v26, v26
	;; [unrolled: 1-line block ×3, first 2 shown]
	v_fmac_f32_e32 v55, 0x32a5705f, v21
	v_sub_f32_e32 v31, v31, v56
	v_ldexp_f32 v6, v6, v13
	v_cmp_ngt_f32_e64 s[12:13], s27, v5
	v_add_f32_e32 v30, v31, v55
	v_ldexp_f32 v12, v12, v23
	v_cmp_ngt_f32_e32 vcc, s27, v9
	v_cndmask_b32_e64 v6, 0, v6, s[12:13]
	v_cmp_nlt_f32_e64 s[12:13], s28, v5
	v_cvt_i32_f32_e32 v52, v56
	v_exp_f32_e32 v30, v30
	v_ldexp_f32 v13, v22, v42
	v_cmp_ngt_f32_e64 s[0:1], s27, v28
	v_ldexp_f32 v22, v24, v44
	v_cmp_ngt_f32_e64 s[2:3], s27, v29
	v_cndmask_b32_e32 v12, 0, v12, vcc
	v_cmp_nlt_f32_e32 vcc, s28, v9
	v_cndmask_b32_e64 v6, v8, v6, s[12:13]
	v_ldexp_f32 v23, v25, v46
	v_cmp_ngt_f32_e64 s[4:5], s27, v18
	v_ldexp_f32 v24, v26, v48
	v_cmp_ngt_f32_e64 s[6:7], s27, v19
	;; [unrolled: 2-line block ×3, first 2 shown]
	v_cndmask_b32_e64 v9, 0, v13, s[0:1]
	v_cmp_nlt_f32_e64 s[0:1], s28, v28
	v_cndmask_b32_e64 v13, 0, v22, s[2:3]
	v_cndmask_b32_e32 v12, v8, v12, vcc
	s_waitcnt vmcnt(7)
	v_pk_fma_f32 v[2:3], v[6:7], v[32:33], v[2:3] op_sel_hi:[0,1,1]
	v_cmp_nlt_f32_e64 s[2:3], s28, v29
	v_cndmask_b32_e64 v22, 0, v23, s[4:5]
	v_cmp_nlt_f32_e64 s[4:5], s28, v18
	v_cndmask_b32_e64 v23, 0, v24, s[6:7]
	;; [unrolled: 2-line block ×3, first 2 shown]
	v_cndmask_b32_e64 v18, v8, v9, s[0:1]
	s_waitcnt vmcnt(6)
	v_pk_fma_f32 v[2:3], v[12:13], v[34:35], v[2:3] op_sel_hi:[0,1,1]
	v_cmp_nlt_f32_e64 s[8:9], s28, v20
	v_cndmask_b32_e64 v20, v8, v13, s[2:3]
	s_waitcnt vmcnt(5)
	v_pk_fma_f32 v[2:3], v[18:19], v[36:37], v[2:3] op_sel_hi:[0,1,1]
	v_ldexp_f32 v26, v30, v52
	v_cmp_ngt_f32_e64 s[10:11], s27, v21
	v_cndmask_b32_e64 v22, v8, v22, s[4:5]
	s_waitcnt vmcnt(4)
	v_pk_fma_f32 v[2:3], v[20:21], v[38:39], v[2:3] op_sel_hi:[0,1,1]
	v_cndmask_b32_e64 v25, 0, v26, s[10:11]
	v_cndmask_b32_e64 v24, v8, v23, s[6:7]
	s_waitcnt vmcnt(3)
	v_pk_fma_f32 v[2:3], v[22:23], v[40:41], v[2:3] op_sel_hi:[0,1,1]
	v_cmp_nlt_f32_e64 s[10:11], s28, v21
	v_cndmask_b32_e64 v26, v8, v19, s[8:9]
	s_waitcnt vmcnt(2)
	v_pk_fma_f32 v[2:3], v[24:25], v[10:11], v[2:3] op_sel_hi:[0,1,1]
	s_add_i32 s29, s29, 8
	s_add_i32 s25, s25, 64
	v_cndmask_b32_e64 v28, v8, v25, s[10:11]
	s_waitcnt vmcnt(1)
	v_pk_fma_f32 v[2:3], v[26:27], v[14:15], v[2:3] op_sel_hi:[0,1,1]
	s_cmp_eq_u32 s24, s29
	v_add_u32_e32 v4, 0x380, v4
	s_waitcnt vmcnt(0)
	v_pk_fma_f32 v[2:3], v[28:29], v[16:17], v[2:3] op_sel_hi:[0,1,1]
	s_cbranch_scc0 .LBB4_24
; %bb.25:
	s_and_b32 s2, s23, 7
	s_cmp_eq_u32 s2, 0
	s_cbranch_scc0 .LBB4_28
	s_branch .LBB4_30
.LBB4_26:
	s_waitcnt lgkmcnt(0)
	v_mov_b32_e32 v1, 0x7fc00000
	s_branch .LBB4_31
.LBB4_27:
	v_mov_b32_e32 v2, 0
	s_mov_b32 s24, 0
	v_mov_b32_e32 v3, v2
	s_and_b32 s2, s23, 7
	s_cmp_eq_u32 s2, 0
	s_cbranch_scc1 .LBB4_30
.LBB4_28:
	s_lshl_b64 s[0:1], s[18:19], 2
	s_mul_i32 s3, s24, 0x70
	s_add_u32 s0, s16, s0
	v_add_u32_e32 v4, s3, v0
	v_mov_b32_e32 v5, 0
	s_addc_u32 s1, s17, s1
	v_lshl_add_u64 v[4:5], v[4:5], 2, s[0:1]
	s_lshl_b32 s0, s24, 3
	s_add_i32 s3, s0, 0
	s_mov_b32 s4, 0x3fb8aa3b
	s_mov_b32 s5, 0xc2ce8ed0
	;; [unrolled: 1-line block ×3, first 2 shown]
	v_mov_b32_e32 v6, 0x7f800000
	s_mov_b64 s[0:1], 0x1c0
.LBB4_29:                               ; =>This Inner Loop Header: Depth=1
	global_load_dword v9, v[4:5], off
	v_mov_b32_e32 v7, s3
	ds_read_b64 v[10:11], v7
	s_add_i32 s3, s3, 8
	s_add_i32 s2, s2, -1
	v_lshl_add_u64 v[4:5], v[4:5], 0, s[0:1]
	s_cmp_lg_u32 s2, 0
	s_waitcnt lgkmcnt(0)
	v_sub_f32_e32 v7, v10, v1
	v_mul_f32_e32 v8, 0x3fb8aa3b, v7
	v_fma_f32 v10, v7, s4, -v8
	v_rndne_f32_e32 v12, v8
	v_fmac_f32_e32 v10, 0x32a5705f, v7
	v_sub_f32_e32 v8, v8, v12
	v_add_f32_e32 v8, v8, v10
	v_cvt_i32_f32_e32 v12, v12
	v_exp_f32_e32 v10, v8
	v_cmp_ngt_f32_e32 vcc, s5, v7
	v_mov_b32_e32 v8, v11
	v_ldexp_f32 v10, v10, v12
	v_cndmask_b32_e32 v10, 0, v10, vcc
	v_cmp_nlt_f32_e32 vcc, s6, v7
	s_nop 1
	v_cndmask_b32_e32 v10, v6, v10, vcc
	s_waitcnt vmcnt(0)
	v_pk_fma_f32 v[2:3], v[10:11], v[8:9], v[2:3] op_sel_hi:[0,1,1]
	s_cbranch_scc1 .LBB4_29
.LBB4_30:
	s_waitcnt lgkmcnt(0)
	v_div_scale_f32 v1, s[0:1], v2, v2, v3
	v_rcp_f32_e32 v4, v1
	v_div_scale_f32 v5, vcc, v3, v2, v3
	v_fma_f32 v6, -v1, v4, 1.0
	v_fmac_f32_e32 v4, v6, v4
	v_mul_f32_e32 v6, v5, v4
	v_fma_f32 v7, -v1, v6, v5
	v_fmac_f32_e32 v6, v7, v4
	v_fma_f32 v1, -v1, v6, v5
	v_div_fmas_f32 v1, v1, v4, v6
	v_div_fixup_f32 v1, v1, v2, v3
.LBB4_31:
	s_mul_i32 s0, s22, 0x70
	s_ashr_i32 s1, s0, 31
	s_lshl_b64 s[0:1], s[0:1], 2
	s_add_u32 s0, s14, s0
	s_addc_u32 s1, s15, s1
	v_lshlrev_b32_e32 v0, 2, v0
	global_store_dword v0, v1, s[0:1]
	s_endpgm
	.section	.rodata,"a",@progbits
	.p2align	6, 0x0
	.amdhsa_kernel _ZL26flash_attn_combine_resultsILi112EEvPKfPK15HIP_vector_typeIfLj2EEPfi
		.amdhsa_group_segment_fixed_size 0
		.amdhsa_private_segment_fixed_size 0
		.amdhsa_kernarg_size 288
		.amdhsa_user_sgpr_count 2
		.amdhsa_user_sgpr_dispatch_ptr 0
		.amdhsa_user_sgpr_queue_ptr 0
		.amdhsa_user_sgpr_kernarg_segment_ptr 1
		.amdhsa_user_sgpr_dispatch_id 0
		.amdhsa_user_sgpr_kernarg_preload_length 0
		.amdhsa_user_sgpr_kernarg_preload_offset 0
		.amdhsa_user_sgpr_private_segment_size 0
		.amdhsa_uses_dynamic_stack 0
		.amdhsa_enable_private_segment 0
		.amdhsa_system_sgpr_workgroup_id_x 1
		.amdhsa_system_sgpr_workgroup_id_y 1
		.amdhsa_system_sgpr_workgroup_id_z 1
		.amdhsa_system_sgpr_workgroup_info 0
		.amdhsa_system_vgpr_workitem_id 0
		.amdhsa_next_free_vgpr 57
		.amdhsa_next_free_sgpr 30
		.amdhsa_accum_offset 60
		.amdhsa_reserve_vcc 1
		.amdhsa_float_round_mode_32 0
		.amdhsa_float_round_mode_16_64 0
		.amdhsa_float_denorm_mode_32 3
		.amdhsa_float_denorm_mode_16_64 3
		.amdhsa_dx10_clamp 1
		.amdhsa_ieee_mode 1
		.amdhsa_fp16_overflow 0
		.amdhsa_tg_split 0
		.amdhsa_exception_fp_ieee_invalid_op 0
		.amdhsa_exception_fp_denorm_src 0
		.amdhsa_exception_fp_ieee_div_zero 0
		.amdhsa_exception_fp_ieee_overflow 0
		.amdhsa_exception_fp_ieee_underflow 0
		.amdhsa_exception_fp_ieee_inexact 0
		.amdhsa_exception_int_div_zero 0
	.end_amdhsa_kernel
	.section	.text._ZL26flash_attn_combine_resultsILi112EEvPKfPK15HIP_vector_typeIfLj2EEPfi,"axG",@progbits,_ZL26flash_attn_combine_resultsILi112EEvPKfPK15HIP_vector_typeIfLj2EEPfi,comdat
.Lfunc_end4:
	.size	_ZL26flash_attn_combine_resultsILi112EEvPKfPK15HIP_vector_typeIfLj2EEPfi, .Lfunc_end4-_ZL26flash_attn_combine_resultsILi112EEvPKfPK15HIP_vector_typeIfLj2EEPfi
                                        ; -- End function
	.set _ZL26flash_attn_combine_resultsILi112EEvPKfPK15HIP_vector_typeIfLj2EEPfi.num_vgpr, 57
	.set _ZL26flash_attn_combine_resultsILi112EEvPKfPK15HIP_vector_typeIfLj2EEPfi.num_agpr, 0
	.set _ZL26flash_attn_combine_resultsILi112EEvPKfPK15HIP_vector_typeIfLj2EEPfi.numbered_sgpr, 30
	.set _ZL26flash_attn_combine_resultsILi112EEvPKfPK15HIP_vector_typeIfLj2EEPfi.num_named_barrier, 0
	.set _ZL26flash_attn_combine_resultsILi112EEvPKfPK15HIP_vector_typeIfLj2EEPfi.private_seg_size, 0
	.set _ZL26flash_attn_combine_resultsILi112EEvPKfPK15HIP_vector_typeIfLj2EEPfi.uses_vcc, 1
	.set _ZL26flash_attn_combine_resultsILi112EEvPKfPK15HIP_vector_typeIfLj2EEPfi.uses_flat_scratch, 0
	.set _ZL26flash_attn_combine_resultsILi112EEvPKfPK15HIP_vector_typeIfLj2EEPfi.has_dyn_sized_stack, 0
	.set _ZL26flash_attn_combine_resultsILi112EEvPKfPK15HIP_vector_typeIfLj2EEPfi.has_recursion, 0
	.set _ZL26flash_attn_combine_resultsILi112EEvPKfPK15HIP_vector_typeIfLj2EEPfi.has_indirect_call, 0
	.section	.AMDGPU.csdata,"",@progbits
; Kernel info:
; codeLenInByte = 3040
; TotalNumSgprs: 36
; NumVgprs: 57
; NumAgprs: 0
; TotalNumVgprs: 57
; ScratchSize: 0
; MemoryBound: 0
; FloatMode: 240
; IeeeMode: 1
; LDSByteSize: 0 bytes/workgroup (compile time only)
; SGPRBlocks: 4
; VGPRBlocks: 7
; NumSGPRsForWavesPerEU: 36
; NumVGPRsForWavesPerEU: 57
; AccumOffset: 60
; Occupancy: 8
; WaveLimiterHint : 0
; COMPUTE_PGM_RSRC2:SCRATCH_EN: 0
; COMPUTE_PGM_RSRC2:USER_SGPR: 2
; COMPUTE_PGM_RSRC2:TRAP_HANDLER: 0
; COMPUTE_PGM_RSRC2:TGID_X_EN: 1
; COMPUTE_PGM_RSRC2:TGID_Y_EN: 1
; COMPUTE_PGM_RSRC2:TGID_Z_EN: 1
; COMPUTE_PGM_RSRC2:TIDIG_COMP_CNT: 0
; COMPUTE_PGM_RSRC3_GFX90A:ACCUM_OFFSET: 14
; COMPUTE_PGM_RSRC3_GFX90A:TG_SPLIT: 0
	.section	.text._ZL15flash_attn_tileILi112ELi112ELi4ELi8ELb0EEvPKcS1_S1_S1_S1_PKiPfP15HIP_vector_typeIfLj2EEffffjfiS5_IjLj3EEiiiiiiiiiiiliiliiiiil,"axG",@progbits,_ZL15flash_attn_tileILi112ELi112ELi4ELi8ELb0EEvPKcS1_S1_S1_S1_PKiPfP15HIP_vector_typeIfLj2EEffffjfiS5_IjLj3EEiiiiiiiiiiiliiliiiiil,comdat
	.globl	_ZL15flash_attn_tileILi112ELi112ELi4ELi8ELb0EEvPKcS1_S1_S1_S1_PKiPfP15HIP_vector_typeIfLj2EEffffjfiS5_IjLj3EEiiiiiiiiiiiliiliiiiil ; -- Begin function _ZL15flash_attn_tileILi112ELi112ELi4ELi8ELb0EEvPKcS1_S1_S1_S1_PKiPfP15HIP_vector_typeIfLj2EEffffjfiS5_IjLj3EEiiiiiiiiiiiliiliiiiil
	.p2align	8
	.type	_ZL15flash_attn_tileILi112ELi112ELi4ELi8ELb0EEvPKcS1_S1_S1_S1_PKiPfP15HIP_vector_typeIfLj2EEffffjfiS5_IjLj3EEiiiiiiiiiiiliiliiiiil,@function
_ZL15flash_attn_tileILi112ELi112ELi4ELi8ELb0EEvPKcS1_S1_S1_S1_PKiPfP15HIP_vector_typeIfLj2EEffffjfiS5_IjLj3EEiiiiiiiiiiiliiliiiiil: ; @_ZL15flash_attn_tileILi112ELi112ELi4ELi8ELb0EEvPKcS1_S1_S1_S1_PKiPfP15HIP_vector_typeIfLj2EEffffjfiS5_IjLj3EEiiiiiiiiiiiliiliiiiil
; %bb.0:
	s_load_dwordx4 s[52:55], s[0:1], 0x5c
	s_load_dwordx2 s[34:35], s[0:1], 0x80
	s_load_dwordx16 s[36:51], s[0:1], 0x0
	s_mov_b64 s[56:57], 0
	s_waitcnt lgkmcnt(0)
	s_ashr_i32 s5, s55, 31
	s_lshr_b32 s5, s5, 29
	s_add_i32 s5, s55, s5
	s_ashr_i32 s5, s5, 3
	v_cvt_f32_u32_e32 v1, s5
	s_sub_i32 s6, 0, s5
	v_rcp_iflag_f32_e32 v1, v1
	s_nop 0
	v_mul_f32_e32 v1, 0x4f7ffffe, v1
	v_cvt_u32_f32_e32 v1, v1
	s_nop 0
	v_readfirstlane_b32 s7, v1
	s_mul_i32 s6, s6, s7
	s_mul_hi_u32 s6, s7, s6
	s_add_i32 s7, s7, s6
	s_mul_hi_u32 s6, s4, s7
	s_mul_i32 s7, s6, s5
	s_sub_i32 s7, s4, s7
	s_add_i32 s8, s6, 1
	s_sub_i32 s9, s7, s5
	s_cmp_ge_u32 s7, s5
	s_cselect_b32 s6, s8, s6
	s_cselect_b32 s7, s9, s7
	s_add_i32 s8, s6, 1
	s_cmp_ge_u32 s7, s5
	s_cselect_b32 s33, s8, s6
	s_abs_i32 s5, s35
	v_cvt_f32_u32_e32 v1, s5
	s_sub_i32 s8, 0, s5
	s_abs_i32 s7, s55
	s_lshl_b32 s6, s4, 3
	v_rcp_iflag_f32_e32 v1, v1
	s_xor_b32 s4, s55, s35
	s_ashr_i32 s4, s4, 31
	v_mul_f32_e32 v1, 0x4f7ffffe, v1
	v_cvt_u32_f32_e32 v1, v1
	s_nop 0
	v_readfirstlane_b32 s9, v1
	s_mul_i32 s8, s8, s9
	s_mul_hi_u32 s8, s9, s8
	s_add_i32 s9, s9, s8
	s_mul_hi_u32 s8, s7, s9
	s_mul_i32 s9, s8, s5
	s_sub_i32 s7, s7, s9
	s_add_i32 s10, s8, 1
	s_sub_i32 s9, s7, s5
	s_cmp_ge_u32 s7, s5
	s_cselect_b32 s8, s10, s8
	s_cselect_b32 s7, s9, s7
	s_add_i32 s9, s8, 1
	s_cmp_ge_u32 s7, s5
	s_cselect_b32 s5, s9, s8
	s_xor_b32 s5, s5, s4
	s_sub_i32 s9, s5, s4
	s_abs_i32 s8, s9
	v_cvt_f32_u32_e32 v1, s8
	s_load_dwordx2 s[4:5], s[0:1], 0xb8
	s_mul_i32 s7, s33, s55
	s_cmp_eq_u64 s[42:43], 0
	v_rcp_iflag_f32_e32 v1, v1
	s_nop 0
	v_mul_f32_e32 v1, 0x4f7ffffe, v1
	v_cvt_u32_f32_e32 v1, v1
	s_nop 0
	v_readfirstlane_b32 s10, v1
	s_cbranch_scc1 .LBB5_2
; %bb.1:
	s_waitcnt lgkmcnt(0)
	s_abs_i32 s4, s4
	v_cvt_f32_u32_e32 v1, s4
	s_sub_i32 s15, 0, s4
	s_abs_i32 s14, s33
	s_ashr_i32 s11, s33, 31
	v_rcp_iflag_f32_e32 v1, v1
	s_load_dwordx2 s[12:13], s[0:1], 0xc8
	v_mul_f32_e32 v1, 0x4f7ffffe, v1
	v_cvt_u32_f32_e32 v1, v1
	s_nop 0
	v_readfirstlane_b32 s16, v1
	s_mul_i32 s15, s15, s16
	s_mul_hi_u32 s15, s16, s15
	s_add_i32 s16, s16, s15
	s_mul_hi_u32 s15, s14, s16
	s_mul_i32 s15, s15, s4
	s_sub_i32 s14, s14, s15
	s_sub_i32 s15, s14, s4
	s_cmp_ge_u32 s14, s4
	s_cselect_b32 s14, s15, s14
	s_sub_i32 s15, s14, s4
	s_cmp_ge_u32 s14, s4
	s_cselect_b32 s4, s15, s14
	s_xor_b32 s4, s4, s11
	s_sub_i32 s4, s4, s11
	s_ashr_i32 s11, s4, 31
	s_waitcnt lgkmcnt(0)
	s_mul_hi_u32 s14, s12, s4
	s_mul_i32 s11, s12, s11
	s_mul_i32 s13, s13, s4
	s_add_i32 s11, s14, s11
	s_add_i32 s11, s11, s13
	s_mul_i32 s4, s12, s4
	s_add_u32 s56, s42, s4
	s_addc_u32 s57, s43, s11
.LBB5_2:
	v_lshrrev_b32_e32 v3, 10, v0
	v_bfe_u32 v3, v3, 1, 9
	v_lshl_add_u32 v69, s2, 2, v3
	v_bfe_u32 v2, v0, 10, 10
	v_and_b32_e32 v70, 0x3ff, v0
	v_mul_hi_u32 v0, s52, v69
	v_add_u32_e32 v0, v69, v0
	v_lshrrev_b32_e32 v0, s53, v0
	v_lshlrev_b32_e32 v1, 2, v2
	v_mul_lo_u32 v0, v0, s54
	s_sub_i32 s35, s6, s7
	v_cmp_gt_u32_e64 s[30:31], 28, v70
	v_sub_u32_e32 v0, v69, v0
	v_lshlrev_b32_e32 v68, 2, v70
	v_lshlrev_b32_e32 v91, 3, v70
	v_and_b32_e32 v71, 4, v1
	s_and_saveexec_b64 s[6:7], s[30:31]
	s_cbranch_execz .LBB5_4
; %bb.3:
	s_load_dwordx4 s[12:15], s[0:1], 0x70
	s_waitcnt lgkmcnt(0)
	s_mul_i32 s4, s33, s14
	s_ashr_i32 s15, s4, 31
	s_mul_i32 s11, s35, s13
	s_add_u32 s4, s36, s4
	s_addc_u32 s15, s37, s15
	s_ashr_i32 s17, s11, 31
	s_add_u32 s16, s4, s11
	s_mov_b32 s14, s12
	s_addc_u32 s17, s15, s17
	s_ashr_i32 s15, s12, 31
	s_lshr_b64 s[18:19], s[14:15], 2
	s_lshr_b32 s4, s15, 2
	v_mad_u64_u32 v[4:5], s[14:15], s18, v0, 0
	v_mov_b32_e32 v6, v5
	v_mad_u64_u32 v[6:7], s[14:15], s4, v0, v[6:7]
	v_mov_b32_e32 v5, v6
	s_ashr_i32 s15, s13, 31
	s_mov_b32 s14, s13
	v_lshl_add_u64 v[4:5], v[4:5], 2, s[16:17]
	v_lshlrev_b32_e32 v6, 2, v68
	v_mov_b32_e32 v7, 0
	s_lshr_b64 s[12:13], s[14:15], 2
	s_lshr_b32 s4, s15, 2
	v_lshl_add_u64 v[16:17], v[4:5], 0, v[6:7]
	v_mul_lo_u32 v3, s4, v71
	v_mad_u64_u32 v[4:5], s[14:15], s12, v71, 0
	v_or_b32_e32 v5, v5, v3
	v_bitop3_b32 v3, v1, 5, 1 bitop3:0xc8
	v_lshl_add_u64 v[12:13], v[4:5], 2, v[16:17]
	v_mad_u64_u32 v[4:5], s[14:15], s12, v3, 0
	v_mov_b32_e32 v6, v5
	v_mad_u64_u32 v[6:7], s[14:15], s4, v3, v[6:7]
	v_mov_b32_e32 v5, v6
	v_bitop3_b32 v3, v1, 6, 2 bitop3:0xc8
	v_lshl_add_u64 v[14:15], v[4:5], 2, v[16:17]
	global_load_dwordx4 v[4:7], v[12:13], off
	global_load_dwordx4 v[8:11], v[14:15], off
	v_mad_u64_u32 v[12:13], s[14:15], s12, v3, 0
	v_mov_b32_e32 v14, v13
	v_mad_u64_u32 v[14:15], s[14:15], s4, v3, v[14:15]
	v_bitop3_b32 v3, v1, 7, 3 bitop3:0xc8
	v_mad_u64_u32 v[18:19], s[12:13], s12, v3, 0
	v_mov_b32_e32 v13, v14
	v_mov_b32_e32 v20, v19
	v_lshl_add_u64 v[12:13], v[12:13], 2, v[16:17]
	v_mad_u64_u32 v[20:21], s[12:13], s4, v3, v[20:21]
	global_load_dwordx4 v[12:15], v[12:13], off
	v_mov_b32_e32 v19, v20
	v_lshl_add_u64 v[16:17], v[18:19], 2, v[16:17]
	global_load_dwordx4 v[16:19], v[16:17], off
	s_load_dword s4, s[0:1], 0x40
	s_movk_i32 s11, 0x380
	v_or_b32_e32 v3, 1, v1
	s_movk_i32 s12, 0xe0
	v_mad_u32_u24 v20, v2, s11, v91
	v_mad_u32_u24 v3, v3, s12, v91
	s_waitcnt vmcnt(3) lgkmcnt(0)
	v_fma_mixlo_f16 v4, s4, v4, 0
	v_fma_mixlo_f16 v5, s4, v5, 0
	;; [unrolled: 1-line block ×4, first 2 shown]
	s_waitcnt vmcnt(2)
	v_fma_mixlo_f16 v8, s4, v8, 0
	v_fma_mixlo_f16 v9, s4, v9, 0
	v_lshlrev_b32_e32 v5, 16, v5
	v_and_b32_e32 v4, 0xffff, v4
	v_lshlrev_b32_e32 v7, 16, v7
	v_and_b32_e32 v6, 0xffff, v6
	;; [unrolled: 2-line block ×3, first 2 shown]
	v_fma_mixlo_f16 v10, s4, v10, 0
	v_fma_mixlo_f16 v11, s4, v11, 0
	v_or_b32_e32 v4, v5, v4
	s_waitcnt vmcnt(1)
	v_fma_mixlo_f16 v12, s4, v12, 0
	v_fma_mixlo_f16 v13, s4, v13, 0
	;; [unrolled: 1-line block ×4, first 2 shown]
	v_lshlrev_b32_e32 v13, 16, v13
	v_and_b32_e32 v12, 0xffff, v12
	v_or3_b32 v5, v7, v6, 0
	v_or_b32_e32 v6, v9, v8
	s_waitcnt vmcnt(0)
	v_fma_mixlo_f16 v16, s4, v16, 0
	v_fma_mixlo_f16 v17, s4, v17, 0
	v_lshlrev_b32_e32 v11, 16, v11
	v_and_b32_e32 v10, 0xffff, v10
	v_lshlrev_b32_e32 v15, 16, v15
	v_and_b32_e32 v14, 0xffff, v14
	v_or_b32_e32 v8, v13, v12
	v_or3_b32 v4, 0, 0, v4
	v_or3_b32 v6, 0, 0, v6
	v_lshlrev_b32_e32 v17, 16, v17
	v_or3_b32 v7, v11, v10, 0
	v_or3_b32 v9, v15, v14, 0
	;; [unrolled: 1-line block ×3, first 2 shown]
	ds_write_b64 v20, v[4:5]
	ds_write2_b64 v3, v[6:7], v[8:9] offset1:28
	v_and_b32_e32 v4, 0xffff, v16
	v_fma_mixlo_f16 v5, s4, v18, 0
	v_fma_mixlo_f16 v6, s4, v19, 0
	v_or_b32_e32 v4, v17, v4
	v_lshlrev_b32_e32 v6, 16, v6
	v_and_b32_e32 v5, 0xffff, v5
	v_or3_b32 v5, v6, v5, 0
	v_or3_b32 v4, 0, 0, v4
	ds_write_b64 v3, v[4:5] offset:448
.LBB5_4:
	s_or_b64 exec, exec, s[6:7]
	s_cmp_eq_u64 s[46:47], 0
	s_waitcnt lgkmcnt(0)
	s_barrier
	s_cbranch_scc1 .LBB5_6
; %bb.5:
	s_load_dword s4, s[0:1], 0xd0
	s_mov_b32 s7, 0
	s_waitcnt lgkmcnt(0)
	s_mul_i32 s4, s4, s33
	s_add_i32 s6, s4, s2
	s_lshl_b64 s[6:7], s[6:7], 2
	s_add_u32 s6, s46, s6
	s_addc_u32 s7, s47, s7
	s_load_dword s34, s[6:7], 0x0
.LBB5_6:
	s_lshl_b32 s2, s3, 5
	s_waitcnt lgkmcnt(0)
	s_cmp_lt_i32 s2, s34
	v_mbcnt_lo_u32_b32 v3, -1, 0
	s_cbranch_scc1 .LBB5_29
; %bb.7:
	v_mbcnt_hi_u32_b32 v107, -1, v3
	v_and_b32_e32 v4, 0x60, v107
	v_add_u32_e32 v125, 32, v4
	v_xor_b32_e32 v122, 16, v107
	v_xor_b32_e32 v123, 8, v107
	;; [unrolled: 1-line block ×5, first 2 shown]
	s_cbranch_execz .LBB5_30
; %bb.8:
	v_mov_b32_e32 v73, 0
	v_mov_b32_e32 v108, 0
	;; [unrolled: 1-line block ×16, first 2 shown]
.LBB5_9:
	v_cmp_lt_i32_e32 vcc, v122, v125
	s_cmp_lg_u64 s[44:45], 0
	s_cselect_b64 s[4:5], -1, 0
	v_cndmask_b32_e32 v4, v107, v122, vcc
	v_cmp_lt_i32_e32 vcc, v123, v125
	v_lshlrev_b32_e32 v7, 2, v4
	ds_bpermute_b32 v5, v7, v75
	v_cndmask_b32_e32 v4, v107, v123, vcc
	v_cmp_lt_i32_e32 vcc, v124, v125
	v_lshlrev_b32_e32 v11, 2, v4
	ds_bpermute_b32 v6, v7, v72
	v_cndmask_b32_e32 v4, v107, v124, vcc
	v_lshlrev_b32_e32 v12, 2, v4
	ds_bpermute_b32 v4, v7, v74
	ds_bpermute_b32 v7, v7, v73
	v_cmp_lt_i32_e32 vcc, v121, v125
	s_cmp_eq_u32 s3, 0
	s_cselect_b64 s[6:7], -1, 0
	s_waitcnt lgkmcnt(1)
	v_pk_add_f32 v[4:5], v[74:75], v[4:5]
	s_waitcnt lgkmcnt(0)
	v_pk_add_f32 v[6:7], v[72:73], v[6:7]
	ds_bpermute_b32 v8, v11, v4
	ds_bpermute_b32 v9, v11, v5
	;; [unrolled: 1-line block ×4, first 2 shown]
	v_cndmask_b32_e32 v13, v107, v121, vcc
	v_lshlrev_b32_e32 v13, 2, v13
	s_waitcnt lgkmcnt(2)
	v_pk_add_f32 v[4:5], v[4:5], v[8:9]
	ds_bpermute_b32 v8, v12, v4
	s_waitcnt lgkmcnt(1)
	v_pk_add_f32 v[6:7], v[6:7], v[10:11]
	ds_bpermute_b32 v9, v12, v5
	ds_bpermute_b32 v10, v12, v6
	;; [unrolled: 1-line block ×3, first 2 shown]
	v_cmp_lt_i32_e32 vcc, v120, v125
	s_and_b64 s[4:5], s[6:7], s[4:5]
	s_waitcnt lgkmcnt(2)
	v_pk_add_f32 v[4:5], v[4:5], v[8:9]
	ds_bpermute_b32 v8, v13, v4
	s_waitcnt lgkmcnt(1)
	v_pk_add_f32 v[6:7], v[6:7], v[10:11]
	ds_bpermute_b32 v9, v13, v5
	ds_bpermute_b32 v10, v13, v6
	;; [unrolled: 1-line block ×3, first 2 shown]
	v_cndmask_b32_e32 v12, v107, v120, vcc
	v_lshlrev_b32_e32 v13, 2, v12
	s_waitcnt lgkmcnt(2)
	v_pk_add_f32 v[4:5], v[4:5], v[8:9]
	ds_bpermute_b32 v8, v13, v4
	s_waitcnt lgkmcnt(1)
	v_pk_add_f32 v[10:11], v[6:7], v[10:11]
	ds_bpermute_b32 v9, v13, v5
	ds_bpermute_b32 v12, v13, v10
	;; [unrolled: 1-line block ×3, first 2 shown]
	s_and_b64 vcc, exec, s[4:5]
	s_waitcnt lgkmcnt(2)
	v_pk_add_f32 v[6:7], v[4:5], v[8:9]
	s_waitcnt lgkmcnt(0)
	v_pk_add_f32 v[4:5], v[10:11], v[12:13]
	s_cbranch_vccz .LBB5_11
; %bb.10:
	v_add_u32_e32 v8, s35, v71
	v_ashrrev_i32_e32 v9, 31, v8
	v_lshl_add_u64 v[8:9], v[8:9], 2, s[44:45]
	global_load_dwordx4 v[8:11], v[8:9], off
	v_max_f32_e32 v12, v0, v0
	v_max_f32_e32 v13, v1, v1
	s_mov_b32 s5, 0x3fb8aa3b
	v_max_f32_e32 v14, v2, v2
	s_mov_b32 s2, 0xc2ce8ed0
	s_mov_b32 s4, 0x42b17218
	v_mov_b32_e32 v16, 0x7f800000
	s_waitcnt vmcnt(0)
	v_max_f32_e32 v15, v8, v8
	v_max_f32_e32 v12, v12, v15
	v_max_f32_e32 v17, v9, v9
	v_sub_f32_e32 v0, v0, v12
	v_max_f32_e32 v13, v13, v17
	v_sub_f32_e32 v8, v8, v12
	v_mul_f32_e32 v15, 0x3fb8aa3b, v0
	v_max_f32_e32 v18, v10, v10
	v_sub_f32_e32 v1, v1, v13
	v_mul_f32_e32 v17, 0x3fb8aa3b, v8
	v_fma_f32 v22, v0, s5, -v15
	v_rndne_f32_e32 v23, v15
	v_max_f32_e32 v14, v14, v18
	v_sub_f32_e32 v9, v9, v13
	v_mul_f32_e32 v18, 0x3fb8aa3b, v1
	v_fma_f32 v24, v8, s5, -v17
	v_rndne_f32_e32 v25, v17
	v_fmac_f32_e32 v22, 0x32a5705f, v0
	v_sub_f32_e32 v15, v15, v23
	v_sub_f32_e32 v2, v2, v14
	v_mul_f32_e32 v19, 0x3fb8aa3b, v9
	v_fma_f32 v26, v1, s5, -v18
	v_rndne_f32_e32 v27, v18
	v_fmac_f32_e32 v24, 0x32a5705f, v8
	v_sub_f32_e32 v17, v17, v25
	v_add_f32_e32 v15, v15, v22
	v_mul_f32_e32 v20, 0x3fb8aa3b, v2
	v_fma_f32 v28, v9, s5, -v19
	v_rndne_f32_e32 v29, v19
	v_cvt_i32_f32_e32 v23, v23
	v_fmac_f32_e32 v26, 0x32a5705f, v1
	v_sub_f32_e32 v18, v18, v27
	v_add_f32_e32 v17, v17, v24
	v_exp_f32_e32 v15, v15
	v_fma_f32 v30, v2, s5, -v20
	v_rndne_f32_e32 v31, v20
	v_cvt_i32_f32_e32 v25, v25
	v_fmac_f32_e32 v28, 0x32a5705f, v9
	v_sub_f32_e32 v19, v19, v29
	v_add_f32_e32 v18, v18, v26
	v_exp_f32_e32 v17, v17
	v_cvt_i32_f32_e32 v27, v27
	v_fmac_f32_e32 v30, 0x32a5705f, v2
	v_sub_f32_e32 v20, v20, v31
	v_add_f32_e32 v19, v19, v28
	v_exp_f32_e32 v18, v18
	v_cvt_i32_f32_e32 v29, v29
	v_add_f32_e32 v20, v20, v30
	v_exp_f32_e32 v19, v19
	v_cvt_i32_f32_e32 v31, v31
	v_exp_f32_e32 v20, v20
	v_ldexp_f32 v15, v15, v23
	v_cmp_ngt_f32_e32 vcc, s2, v0
	v_ldexp_f32 v17, v17, v25
	v_ldexp_f32 v18, v18, v27
	v_cndmask_b32_e32 v15, 0, v15, vcc
	v_cmp_ngt_f32_e32 vcc, s2, v8
	v_sub_f32_e32 v10, v10, v14
	v_ldexp_f32 v19, v19, v29
	v_cndmask_b32_e32 v17, 0, v17, vcc
	v_cmp_ngt_f32_e32 vcc, s2, v1
	v_mul_f32_e32 v21, 0x3fb8aa3b, v10
	v_ldexp_f32 v20, v20, v31
	v_cndmask_b32_e32 v18, 0, v18, vcc
	v_cmp_ngt_f32_e32 vcc, s2, v9
	v_fma_f32 v32, v10, s5, -v21
	v_rndne_f32_e32 v33, v21
	v_cndmask_b32_e32 v19, 0, v19, vcc
	v_cmp_ngt_f32_e32 vcc, s2, v2
	v_fmac_f32_e32 v32, 0x32a5705f, v10
	v_sub_f32_e32 v21, v21, v33
	v_cndmask_b32_e32 v20, 0, v20, vcc
	v_cmp_nlt_f32_e32 vcc, s4, v0
	v_add_f32_e32 v21, v21, v32
	v_cvt_i32_f32_e32 v33, v33
	v_cndmask_b32_e32 v0, v16, v15, vcc
	v_cvt_f16_f32_e32 v15, v0
	v_exp_f32_e32 v21, v21
	v_cmp_nlt_f32_e32 vcc, s4, v8
	v_mul_u32_u24_e32 v15, 0x10001, v15
	s_nop 0
	v_cndmask_b32_e32 v8, v16, v17, vcc
	v_cmp_nlt_f32_e32 vcc, s4, v1
	v_pk_mul_f16 v108, v108, v15
	v_pk_mul_f16 v109, v109, v15
	v_cndmask_b32_e32 v1, v16, v18, vcc
	v_cmp_nlt_f32_e32 vcc, s4, v9
	v_ldexp_f32 v15, v21, v33
	v_max_f32_e32 v18, v3, v3
	v_cndmask_b32_e32 v9, v16, v19, vcc
	v_cmp_nlt_f32_e32 vcc, s4, v2
	v_cvt_f16_f32_e32 v17, v1
	v_pk_fma_f32 v[6:7], v[6:7], v[0:1], v[8:9]
	v_cndmask_b32_e32 v2, v16, v20, vcc
	v_cmp_ngt_f32_e32 vcc, s2, v10
	v_mul_u32_u24_e32 v17, 0x10001, v17
	v_pk_mul_f16 v105, v105, v17
	v_cndmask_b32_e32 v15, 0, v15, vcc
	v_cmp_nlt_f32_e32 vcc, s4, v10
	v_pk_mul_f16 v106, v106, v17
	v_cvt_f16_f32_e32 v17, v2
	v_cndmask_b32_e32 v10, v16, v15, vcc
	v_max_f32_e32 v15, v11, v11
	v_max_f32_e32 v15, v18, v15
	v_sub_f32_e32 v3, v3, v15
	v_mul_f32_e32 v18, 0x3fb8aa3b, v3
	v_fma_f32 v19, v3, s5, -v18
	v_rndne_f32_e32 v20, v18
	v_fmac_f32_e32 v19, 0x32a5705f, v3
	v_sub_f32_e32 v18, v18, v20
	v_add_f32_e32 v18, v18, v19
	v_exp_f32_e32 v18, v18
	v_cvt_i32_f32_e32 v19, v20
	v_mul_u32_u24_e32 v17, 0x10001, v17
	v_sub_f32_e32 v11, v11, v15
	v_pk_mul_f16 v103, v103, v17
	v_pk_mul_f16 v104, v104, v17
	v_ldexp_f32 v17, v18, v19
	v_mul_f32_e32 v18, 0x3fb8aa3b, v11
	v_fma_f32 v19, v11, s5, -v18
	v_rndne_f32_e32 v20, v18
	v_fmac_f32_e32 v19, 0x32a5705f, v11
	v_sub_f32_e32 v18, v18, v20
	v_add_f32_e32 v18, v18, v19
	v_exp_f32_e32 v18, v18
	v_cvt_i32_f32_e32 v19, v20
	v_cmp_ngt_f32_e32 vcc, s2, v3
	s_nop 1
	v_cndmask_b32_e32 v17, 0, v17, vcc
	v_cmp_nlt_f32_e32 vcc, s4, v3
	s_nop 1
	v_cndmask_b32_e32 v3, v16, v17, vcc
	v_ldexp_f32 v17, v18, v19
	v_cvt_f16_f32_e32 v18, v3
	v_cmp_ngt_f32_e32 vcc, s2, v11
	s_nop 1
	v_cndmask_b32_e32 v17, 0, v17, vcc
	v_cmp_nlt_f32_e32 vcc, s4, v11
	s_nop 1
	v_cndmask_b32_e32 v11, v16, v17, vcc
	v_mul_u32_u24_e32 v16, 0x10001, v18
	v_pk_fma_f32 v[4:5], v[4:5], v[2:3], v[10:11]
	v_mov_b64_e32 v[0:1], v[12:13]
	v_pk_mul_f16 v85, v85, v16
	v_pk_mul_f16 v102, v102, v16
	v_mov_b64_e32 v[2:3], v[14:15]
.LBB5_11:
	v_cmp_gt_i32_e32 vcc, s54, v69
	s_and_saveexec_b64 s[4:5], vcc
	s_cbranch_execz .LBB5_28
; %bb.12:
	s_load_dword s2, s[0:1], 0xd4
	v_mov_b32_e32 v8, 1.0
	s_waitcnt lgkmcnt(0)
	s_cmp_lg_u32 s2, 1
	s_cselect_b64 s[0:1], -1, 0
	s_cmp_eq_u32 s2, 1
	s_cselect_b64 s[6:7], -1, 0
	s_and_b64 vcc, exec, s[0:1]
	s_cbranch_vccnz .LBB5_14
; %bb.13:
	v_div_scale_f32 v8, s[4:5], v6, v6, 1.0
	v_rcp_f32_e32 v9, v8
	v_div_scale_f32 v10, vcc, 1.0, v6, 1.0
	v_fma_f32 v11, -v8, v9, 1.0
	v_fmac_f32_e32 v9, v11, v9
	v_mul_f32_e32 v11, v10, v9
	v_fma_f32 v12, -v8, v11, v10
	v_fmac_f32_e32 v11, v12, v9
	v_fma_f32 v8, -v8, v11, v10
	v_div_fmas_f32 v8, v8, v9, v11
	v_div_fixup_f32 v8, v8, v6, 1.0
.LBB5_14:
	s_mul_i32 s33, s33, s54
	v_add_u32_e32 v9, s33, v69
	v_mul_lo_u32 v9, v9, s55
	v_add3_u32 v9, s35, v71, v9
	v_mul_lo_u32 v9, s2, v9
	v_add_u32_e32 v10, s3, v9
	s_and_saveexec_b64 s[4:5], s[30:31]
	s_cbranch_execz .LBB5_16
; %bb.15:
	v_cvt_f32_f16_sdwa v15, v108 dst_sel:DWORD dst_unused:UNUSED_PAD src0_sel:WORD_1
	v_cvt_f32_f16_e32 v14, v108
	v_cvt_f32_f16_sdwa v17, v109 dst_sel:DWORD dst_unused:UNUSED_PAD src0_sel:WORD_1
	v_cvt_f32_f16_e32 v16, v109
	s_movk_i32 s8, 0x70
	v_mad_u64_u32 v[12:13], s[8:9], v10, s8, v[68:69]
	v_mov_b32_e32 v13, 0
	v_lshl_add_u64 v[18:19], v[12:13], 2, s[48:49]
	v_pk_mul_f32 v[12:13], v[8:9], v[14:15] op_sel_hi:[0,1]
	v_pk_mul_f32 v[14:15], v[8:9], v[16:17] op_sel_hi:[0,1]
	global_store_dwordx4 v[18:19], v[12:15], off
.LBB5_16:
	s_or_b64 exec, exec, s[4:5]
	v_cmp_eq_u32_e32 vcc, 0, v70
	s_and_b64 s[4:5], vcc, s[0:1]
	s_and_saveexec_b64 s[0:1], s[4:5]
	s_cbranch_execz .LBB5_18
; %bb.17:
	v_ashrrev_i32_e32 v11, 31, v10
	v_lshl_add_u64 v[10:11], v[10:11], 3, s[50:51]
	v_mov_b32_e32 v12, v0
	v_mov_b32_e32 v13, v6
	global_store_dwordx2 v[10:11], v[12:13], off
.LBB5_18:
	s_or_b64 exec, exec, s[0:1]
	v_cndmask_b32_e64 v0, 0, 1, s[6:7]
	v_cmp_ne_u32_e64 s[0:1], 1, v0
	s_andn2_b64 vcc, exec, s[6:7]
	v_mov_b32_e32 v0, 1.0
	s_cbranch_vccz .LBB5_57
; %bb.19:
	v_add_u32_e32 v10, s2, v9
	v_add_u32_e32 v8, s3, v10
	s_and_saveexec_b64 s[6:7], s[30:31]
	s_cbranch_execnz .LBB5_58
.LBB5_20:
	s_or_b64 exec, exec, s[6:7]
	s_and_saveexec_b64 s[6:7], s[4:5]
	s_cbranch_execnz .LBB5_59
.LBB5_21:
	s_or_b64 exec, exec, s[6:7]
	s_and_b64 vcc, exec, s[0:1]
	v_mov_b32_e32 v6, 1.0
	s_cbranch_vccz .LBB5_60
.LBB5_22:
	v_add_u32_e32 v7, s2, v10
	v_add_u32_e32 v0, s3, v7
	s_and_saveexec_b64 s[6:7], s[30:31]
	s_cbranch_execnz .LBB5_61
.LBB5_23:
	s_or_b64 exec, exec, s[6:7]
	s_and_saveexec_b64 s[6:7], s[4:5]
	s_cbranch_execnz .LBB5_62
.LBB5_24:
	s_or_b64 exec, exec, s[6:7]
	s_and_b64 vcc, exec, s[0:1]
	v_mov_b32_e32 v2, 1.0
	s_cbranch_vccz .LBB5_63
.LBB5_25:
	s_add_i32 s3, s3, s2
	v_add_u32_e32 v0, s3, v7
	s_and_saveexec_b64 s[0:1], s[30:31]
	s_cbranch_execnz .LBB5_64
.LBB5_26:
	s_or_b64 exec, exec, s[0:1]
	s_and_b64 exec, exec, s[4:5]
	s_cbranch_execz .LBB5_28
.LBB5_27:
	v_ashrrev_i32_e32 v1, 31, v0
	v_lshl_add_u64 v[0:1], v[0:1], 3, s[50:51]
	v_mov_b32_e32 v4, v3
	global_store_dwordx2 v[0:1], v[4:5], off
.LBB5_28:
	s_endpgm
.LBB5_29:
                                        ; implicit-def: $vgpr107
                                        ; implicit-def: $vgpr125
                                        ; implicit-def: $vgpr122
                                        ; implicit-def: $vgpr123
                                        ; implicit-def: $vgpr124
                                        ; implicit-def: $vgpr121
                                        ; implicit-def: $vgpr120
.LBB5_30:
	s_load_dwordx2 s[6:7], s[0:1], 0x8c
	s_load_dwordx4 s[12:15], s[0:1], 0x98
	s_sub_i32 s4, 0, s8
	s_mul_i32 s4, s4, s10
	s_mul_hi_u32 s4, s10, s4
	s_waitcnt lgkmcnt(0)
	s_ashr_i32 s43, s6, 2
	s_ashr_i32 s42, s14, 2
	;; [unrolled: 1-line block ×4, first 2 shown]
	s_mul_hi_u32 s6, s12, s33
	s_mul_i32 s18, s12, s5
	s_abs_i32 s16, s35
	s_add_i32 s10, s10, s4
	s_add_i32 s6, s6, s18
	s_mul_i32 s13, s13, s33
	s_mul_hi_u32 s4, s16, s10
	s_ashr_i32 s17, s35, 31
	s_ashr_i32 s9, s9, 31
	s_add_i32 s6, s6, s13
	s_mul_i32 s12, s12, s33
	s_add_u32 s12, s38, s12
	s_mul_i32 s13, s4, s8
	s_addc_u32 s6, s39, s6
	s_sub_i32 s13, s16, s13
	s_xor_b32 s9, s17, s9
	s_add_i32 s16, s4, 1
	s_sub_i32 s17, s13, s8
	s_cmp_ge_u32 s13, s8
	s_cselect_b32 s4, s16, s4
	s_cselect_b32 s13, s17, s13
	s_add_i32 s16, s4, 1
	s_cmp_ge_u32 s13, s8
	s_cselect_b32 s4, s16, s4
	s_load_dwordx2 s[10:11], s[0:1], 0xa8
	s_xor_b32 s4, s4, s9
	s_sub_i32 s4, s4, s9
	s_mul_i32 s7, s4, s7
	s_ashr_i32 s8, s7, 31
	s_add_u32 s46, s12, s7
	s_addc_u32 s47, s6, s8
	s_waitcnt lgkmcnt(0)
	s_mul_hi_u32 s6, s10, s33
	s_mul_i32 s5, s10, s5
	s_add_i32 s5, s6, s5
	s_mul_i32 s6, s11, s33
	v_lshl_add_u32 v4, v2, 5, v70
	s_add_i32 s5, s5, s6
	s_mul_i32 s6, s10, s33
	v_cmp_gt_u32_e32 vcc, 32, v4
	v_lshrrev_b32_e32 v5, 1, v70
	v_lshlrev_b32_e32 v7, 7, v70
	v_mul_lo_u32 v76, s43, v4
	v_and_b32_e32 v4, 4, v68
	v_mad_u64_u32 v[84:85], s[8:9], v0, s14, v[70:71]
	v_mov_b32_e32 v0, 0x2c40
	s_add_u32 s6, s40, s6
	s_mul_i32 s4, s4, s15
	v_lshl_add_u32 v5, v2, 4, v5
	v_add_u32_e32 v110, 0x1c00, v7
	v_add_u32_e32 v112, 0x1c60, v7
	v_lshlrev_b32_e32 v7, 2, v4
	v_lshl_add_u32 v115, v2, 8, v0
	v_lshrrev_b32_e32 v0, 3, v70
	s_addc_u32 s5, s41, s5
	s_ashr_i32 s7, s4, 31
	v_lshrrev_b32_e32 v6, 2, v70
	v_lshl_or_b32 v8, v5, 7, v7
	v_add_u32_e32 v0, v0, v1
	v_mul_u32_u24_e32 v1, 0xe0, v5
	s_add_u32 s52, s6, s4
	v_lshl_add_u32 v6, v2, 3, v6
	v_add_u32_e32 v113, 0x1c40, v8
	v_and_b32_e32 v8, 12, v68
	v_or_b32_e32 v1, v1, v7
	s_addc_u32 s53, s5, s7
	v_lshlrev_b32_e32 v9, 2, v8
	v_add_u32_e32 v116, 0x1cc0, v1
	v_mul_u32_u24_e32 v1, 0xe0, v6
	s_movk_i32 s14, 0x1c80
	v_and_b32_e32 v90, 28, v68
	s_movk_i32 s15, 0x1c00
	v_mul_u32_u24_e32 v111, 0x380, v2
	v_mul_lo_u32 v78, s43, v5
	v_mov_b32_e32 v81, 0
	v_lshl_or_b32 v10, v6, 7, v9
	v_mul_lo_u32 v82, s43, v6
	v_mul_lo_u32 v86, s42, v5
	v_add3_u32 v117, v1, v9, s14
	v_mul_lo_u32 v88, s42, v6
	v_mul_u32_u24_e32 v1, 0xe0, v0
	v_lshlrev_b32_e32 v2, 2, v90
	v_mul_lo_u32 v92, s42, v0
	s_add_u32 s36, s0, 0xd0
	v_cmp_gt_u32_e64 s[4:5], 32, v5
	v_cmp_gt_u32_e64 s[6:7], 32, v6
	v_ashrrev_i32_e32 v77, 31, v76
	v_ashrrev_i32_e32 v79, 31, v78
	v_add_u32_e32 v114, 0x1c00, v10
	v_ashrrev_i32_e32 v83, 31, v82
	v_cmp_gt_u32_e64 s[8:9], 16, v5
	v_cmp_gt_u32_e64 s[10:11], 16, v6
	;; [unrolled: 1-line block ×3, first 2 shown]
	v_ashrrev_i32_e32 v87, 31, v86
	v_ashrrev_i32_e32 v89, 31, v88
	v_add3_u32 v118, v1, v2, s15
	v_ashrrev_i32_e32 v93, 31, v92
	s_addc_u32 s37, s1, 0
	v_mov_b32_e32 v6, 0xfeffffff
	s_mov_b32 s58, 0x3fb8aa3b
	s_mov_b32 s59, 0xc2ce8ed0
	;; [unrolled: 1-line block ×4, first 2 shown]
	v_lshlrev_b32_e32 v80, 2, v4
	v_lshlrev_b32_e32 v94, 2, v8
	v_mbcnt_hi_u32_b32 v107, -1, v3
	v_mov_b32_e32 v119, 0x7f800000
	v_mov_b32_e32 v102, v81
	;; [unrolled: 1-line block ×16, first 2 shown]
.LBB5_31:                               ; =>This Inner Loop Header: Depth=1
	s_mul_hi_i32 s15, s2, s43
	s_mul_i32 s14, s2, s43
	s_lshl_b64 s[14:15], s[14:15], 2
	s_add_u32 s14, s46, s14
	s_addc_u32 s15, s47, s15
	v_lshl_add_u64 v[4:5], v[76:77], 2, s[14:15]
	s_and_saveexec_b64 s[16:17], vcc
	s_cbranch_execnz .LBB5_49
; %bb.32:                               ;   in Loop: Header=BB5_31 Depth=1
	s_or_b64 exec, exec, s[16:17]
	v_lshl_add_u64 v[0:1], v[78:79], 2, s[14:15]
	s_and_saveexec_b64 s[16:17], s[4:5]
	s_cbranch_execnz .LBB5_50
.LBB5_33:                               ;   in Loop: Header=BB5_31 Depth=1
	s_or_b64 exec, exec, s[16:17]
	v_lshl_add_u64 v[2:3], v[82:83], 2, s[14:15]
	s_and_saveexec_b64 s[14:15], s[6:7]
	s_cbranch_execz .LBB5_35
.LBB5_34:                               ;   in Loop: Header=BB5_31 Depth=1
	v_mov_b32_e32 v95, v81
	v_lshl_add_u64 v[10:11], v[2:3], 0, v[94:95]
	global_load_dwordx4 v[10:13], v[10:11], off
	s_waitcnt vmcnt(0)
	ds_write_b128 v114, v[10:13]
.LBB5_35:                               ;   in Loop: Header=BB5_31 Depth=1
	s_or_b64 exec, exec, s[14:15]
	s_waitcnt lgkmcnt(0)
	s_barrier
	ds_read_b128 v[14:17], v110
	ds_read_b128 v[18:21], v111
	ds_read_b128 v[22:25], v111 offset:224
	ds_read_b128 v[26:29], v111 offset:448
	;; [unrolled: 1-line block ×3, first 2 shown]
	v_mov_b32_e32 v10, 0
	s_waitcnt lgkmcnt(3)
	;;#ASMSTART
	v_dot2_f32_f16 v10, v14, v18, v10
	;;#ASMEND
	v_mov_b32_e32 v11, 0
	;;#ASMSTART
	v_dot2_f32_f16 v10, v15, v19, v10
	;;#ASMEND
	v_mov_b32_e32 v12, 0
	;; [unrolled: 4-line block ×3, first 2 shown]
	;;#ASMSTART
	v_dot2_f32_f16 v10, v17, v21, v10
	;;#ASMEND
	s_waitcnt lgkmcnt(2)
	;;#ASMSTART
	v_dot2_f32_f16 v11, v14, v22, v11
	;;#ASMEND
	s_nop 0
	;;#ASMSTART
	v_dot2_f32_f16 v11, v15, v23, v11
	;;#ASMEND
	s_nop 0
	;;#ASMSTART
	v_dot2_f32_f16 v11, v16, v24, v11
	;;#ASMEND
	s_nop 0
	;;#ASMSTART
	v_dot2_f32_f16 v11, v17, v25, v11
	;;#ASMEND
	s_waitcnt lgkmcnt(1)
	;;#ASMSTART
	v_dot2_f32_f16 v12, v14, v26, v12
	;;#ASMEND
	s_nop 0
	;;#ASMSTART
	v_dot2_f32_f16 v12, v15, v27, v12
	;;#ASMEND
	s_nop 0
	;;#ASMSTART
	v_dot2_f32_f16 v12, v16, v28, v12
	;;#ASMEND
	s_nop 0
	;; [unrolled: 16-line block ×3, first 2 shown]
	;;#ASMSTART
	v_dot2_f32_f16 v13, v17, v33, v13
	;;#ASMEND
	ds_read_b128 v[14:17], v110 offset:16
	ds_read_b128 v[18:21], v111 offset:16
	;; [unrolled: 1-line block ×5, first 2 shown]
	s_waitcnt lgkmcnt(3)
	;;#ASMSTART
	v_dot2_f32_f16 v10, v14, v18, v10
	;;#ASMEND
	s_nop 0
	;;#ASMSTART
	v_dot2_f32_f16 v10, v15, v19, v10
	;;#ASMEND
	s_nop 0
	;;#ASMSTART
	v_dot2_f32_f16 v10, v16, v20, v10
	;;#ASMEND
	s_nop 0
	;;#ASMSTART
	v_dot2_f32_f16 v10, v17, v21, v10
	;;#ASMEND
	s_waitcnt lgkmcnt(2)
	;;#ASMSTART
	v_dot2_f32_f16 v11, v14, v22, v11
	;;#ASMEND
	s_nop 0
	;;#ASMSTART
	v_dot2_f32_f16 v11, v15, v23, v11
	;;#ASMEND
	s_nop 0
	;;#ASMSTART
	v_dot2_f32_f16 v11, v16, v24, v11
	;;#ASMEND
	s_nop 0
	;;#ASMSTART
	v_dot2_f32_f16 v11, v17, v25, v11
	;;#ASMEND
	;; [unrolled: 16-line block ×4, first 2 shown]
	ds_read_b128 v[14:17], v110 offset:32
	ds_read_b128 v[18:21], v111 offset:32
	;; [unrolled: 1-line block ×5, first 2 shown]
	s_waitcnt lgkmcnt(3)
	;;#ASMSTART
	v_dot2_f32_f16 v10, v14, v18, v10
	;;#ASMEND
	s_nop 0
	;;#ASMSTART
	v_dot2_f32_f16 v10, v15, v19, v10
	;;#ASMEND
	s_nop 0
	;;#ASMSTART
	v_dot2_f32_f16 v10, v16, v20, v10
	;;#ASMEND
	s_nop 0
	;;#ASMSTART
	v_dot2_f32_f16 v10, v17, v21, v10
	;;#ASMEND
	s_waitcnt lgkmcnt(2)
	;;#ASMSTART
	v_dot2_f32_f16 v11, v14, v22, v11
	;;#ASMEND
	s_nop 0
	;;#ASMSTART
	v_dot2_f32_f16 v11, v15, v23, v11
	;;#ASMEND
	s_nop 0
	;;#ASMSTART
	v_dot2_f32_f16 v11, v16, v24, v11
	;;#ASMEND
	s_nop 0
	;;#ASMSTART
	v_dot2_f32_f16 v11, v17, v25, v11
	;;#ASMEND
	;; [unrolled: 16-line block ×4, first 2 shown]
	ds_read_b128 v[14:17], v110 offset:48
	ds_read_b128 v[18:21], v111 offset:48
	;; [unrolled: 1-line block ×5, first 2 shown]
	s_waitcnt lgkmcnt(3)
	;;#ASMSTART
	v_dot2_f32_f16 v10, v14, v18, v10
	;;#ASMEND
	s_nop 0
	;;#ASMSTART
	v_dot2_f32_f16 v10, v15, v19, v10
	;;#ASMEND
	s_nop 0
	;;#ASMSTART
	v_dot2_f32_f16 v10, v16, v20, v10
	;;#ASMEND
	s_nop 0
	;;#ASMSTART
	v_dot2_f32_f16 v10, v17, v21, v10
	;;#ASMEND
	s_waitcnt lgkmcnt(2)
	;;#ASMSTART
	v_dot2_f32_f16 v11, v14, v22, v11
	;;#ASMEND
	s_nop 0
	;;#ASMSTART
	v_dot2_f32_f16 v11, v15, v23, v11
	;;#ASMEND
	s_nop 0
	;;#ASMSTART
	v_dot2_f32_f16 v11, v16, v24, v11
	;;#ASMEND
	s_nop 0
	;;#ASMSTART
	v_dot2_f32_f16 v11, v17, v25, v11
	;;#ASMEND
	;; [unrolled: 16-line block ×4, first 2 shown]
	ds_read_b128 v[14:17], v110 offset:64
	ds_read_b128 v[18:21], v111 offset:64
	;; [unrolled: 1-line block ×5, first 2 shown]
	s_waitcnt lgkmcnt(3)
	;;#ASMSTART
	v_dot2_f32_f16 v10, v14, v18, v10
	;;#ASMEND
	s_nop 0
	;;#ASMSTART
	v_dot2_f32_f16 v10, v15, v19, v10
	;;#ASMEND
	s_nop 0
	;;#ASMSTART
	v_dot2_f32_f16 v10, v16, v20, v10
	;;#ASMEND
	s_nop 0
	;;#ASMSTART
	v_dot2_f32_f16 v10, v17, v21, v10
	;;#ASMEND
	s_waitcnt lgkmcnt(2)
	;;#ASMSTART
	v_dot2_f32_f16 v11, v14, v22, v11
	;;#ASMEND
	s_nop 0
	;;#ASMSTART
	v_dot2_f32_f16 v11, v15, v23, v11
	;;#ASMEND
	s_nop 0
	;;#ASMSTART
	v_dot2_f32_f16 v11, v16, v24, v11
	;;#ASMEND
	s_nop 0
	;;#ASMSTART
	v_dot2_f32_f16 v11, v17, v25, v11
	;;#ASMEND
	;; [unrolled: 16-line block ×4, first 2 shown]
	ds_read_b128 v[14:17], v110 offset:80
	ds_read_b128 v[18:21], v111 offset:80
	;; [unrolled: 1-line block ×5, first 2 shown]
	s_waitcnt lgkmcnt(3)
	;;#ASMSTART
	v_dot2_f32_f16 v10, v14, v18, v10
	;;#ASMEND
	s_nop 0
	;;#ASMSTART
	v_dot2_f32_f16 v10, v15, v19, v10
	;;#ASMEND
	s_nop 0
	;;#ASMSTART
	v_dot2_f32_f16 v10, v16, v20, v10
	;;#ASMEND
	s_nop 0
	;;#ASMSTART
	v_dot2_f32_f16 v10, v17, v21, v10
	;;#ASMEND
	s_waitcnt lgkmcnt(2)
	;;#ASMSTART
	v_dot2_f32_f16 v11, v14, v22, v11
	;;#ASMEND
	s_nop 0
	;;#ASMSTART
	v_dot2_f32_f16 v11, v15, v23, v11
	;;#ASMEND
	s_nop 0
	;;#ASMSTART
	v_dot2_f32_f16 v11, v16, v24, v11
	;;#ASMEND
	s_nop 0
	;;#ASMSTART
	v_dot2_f32_f16 v11, v17, v25, v11
	;;#ASMEND
	;; [unrolled: 16-line block ×4, first 2 shown]
	ds_read_b128 v[14:17], v110 offset:96
	ds_read_b128 v[18:21], v111 offset:96
	;; [unrolled: 1-line block ×5, first 2 shown]
	s_waitcnt lgkmcnt(3)
	;;#ASMSTART
	v_dot2_f32_f16 v10, v14, v18, v10
	;;#ASMEND
	s_nop 0
	;;#ASMSTART
	v_dot2_f32_f16 v10, v15, v19, v10
	;;#ASMEND
	s_nop 0
	;;#ASMSTART
	v_dot2_f32_f16 v10, v16, v20, v10
	;;#ASMEND
	s_nop 0
	;;#ASMSTART
	v_dot2_f32_f16 v10, v17, v21, v10
	;;#ASMEND
	s_waitcnt lgkmcnt(2)
	;;#ASMSTART
	v_dot2_f32_f16 v11, v14, v22, v11
	;;#ASMEND
	s_nop 0
	;;#ASMSTART
	v_dot2_f32_f16 v11, v15, v23, v11
	;;#ASMEND
	s_nop 0
	;;#ASMSTART
	v_dot2_f32_f16 v11, v16, v24, v11
	;;#ASMEND
	s_nop 0
	;;#ASMSTART
	v_dot2_f32_f16 v11, v17, v25, v11
	;;#ASMEND
	;; [unrolled: 16-line block ×4, first 2 shown]
	s_barrier
	s_and_saveexec_b64 s[14:15], vcc
	s_cbranch_execnz .LBB5_51
; %bb.36:                               ;   in Loop: Header=BB5_31 Depth=1
	s_or_b64 exec, exec, s[14:15]
	s_and_saveexec_b64 s[14:15], s[4:5]
	s_cbranch_execnz .LBB5_52
.LBB5_37:                               ;   in Loop: Header=BB5_31 Depth=1
	s_or_b64 exec, exec, s[14:15]
	s_and_saveexec_b64 s[14:15], s[6:7]
	s_cbranch_execz .LBB5_39
.LBB5_38:                               ;   in Loop: Header=BB5_31 Depth=1
	v_mov_b32_e32 v95, v81
	v_lshl_add_u64 v[0:1], v[2:3], 0, v[94:95]
	global_load_dwordx4 v[0:3], v[0:1], off offset:112
	s_waitcnt vmcnt(0)
	ds_write_b128 v114, v[0:3]
.LBB5_39:                               ;   in Loop: Header=BB5_31 Depth=1
	s_or_b64 exec, exec, s[14:15]
	s_waitcnt lgkmcnt(0)
	s_barrier
	ds_read_b128 v[0:3], v110
	ds_read_b128 v[14:17], v111 offset:112
	ds_read_b128 v[18:21], v111 offset:336
	;; [unrolled: 1-line block ×4, first 2 shown]
	s_waitcnt lgkmcnt(3)
	;;#ASMSTART
	v_dot2_f32_f16 v10, v0, v14, v10
	;;#ASMEND
	s_nop 0
	;;#ASMSTART
	v_dot2_f32_f16 v10, v1, v15, v10
	;;#ASMEND
	v_xor_b32_e32 v122, 16, v107
	;;#ASMSTART
	v_dot2_f32_f16 v10, v2, v16, v10
	;;#ASMEND
	v_max_f32_e32 v4, v8, v8
	;;#ASMSTART
	v_dot2_f32_f16 v10, v3, v17, v10
	;;#ASMEND
	s_waitcnt lgkmcnt(2)
	;;#ASMSTART
	v_dot2_f32_f16 v11, v0, v18, v11
	;;#ASMEND
	v_max_f32_e32 v5, v7, v7
	;;#ASMSTART
	v_dot2_f32_f16 v11, v1, v19, v11
	;;#ASMEND
	v_xor_b32_e32 v123, 8, v107
	;;#ASMSTART
	v_dot2_f32_f16 v11, v2, v20, v11
	;;#ASMEND
	v_xor_b32_e32 v124, 4, v107
	;;#ASMSTART
	v_dot2_f32_f16 v11, v3, v21, v11
	;;#ASMEND
	s_waitcnt lgkmcnt(1)
	;;#ASMSTART
	v_dot2_f32_f16 v12, v0, v22, v12
	;;#ASMEND
	v_xor_b32_e32 v121, 2, v107
	;;#ASMSTART
	v_dot2_f32_f16 v12, v1, v23, v12
	;;#ASMEND
	v_xor_b32_e32 v120, 1, v107
	;;#ASMSTART
	v_dot2_f32_f16 v12, v2, v24, v12
	;;#ASMEND
	s_nop 0
	;;#ASMSTART
	v_dot2_f32_f16 v12, v3, v25, v12
	;;#ASMEND
	s_waitcnt lgkmcnt(0)
	;;#ASMSTART
	v_dot2_f32_f16 v13, v0, v26, v13
	;;#ASMEND
	s_nop 0
	;;#ASMSTART
	v_dot2_f32_f16 v13, v1, v27, v13
	;;#ASMEND
	s_nop 0
	;; [unrolled: 4-line block ×3, first 2 shown]
	;;#ASMSTART
	v_dot2_f32_f16 v13, v3, v29, v13
	;;#ASMEND
	ds_read_b128 v[0:3], v110 offset:16
	ds_read_b128 v[14:17], v111 offset:128
	;; [unrolled: 1-line block ×5, first 2 shown]
	s_waitcnt lgkmcnt(3)
	;;#ASMSTART
	v_dot2_f32_f16 v10, v0, v14, v10
	;;#ASMEND
	s_nop 0
	;;#ASMSTART
	v_dot2_f32_f16 v10, v1, v15, v10
	;;#ASMEND
	s_nop 0
	;;#ASMSTART
	v_dot2_f32_f16 v10, v2, v16, v10
	;;#ASMEND
	s_nop 0
	;;#ASMSTART
	v_dot2_f32_f16 v10, v3, v17, v10
	;;#ASMEND
	s_waitcnt lgkmcnt(2)
	;;#ASMSTART
	v_dot2_f32_f16 v11, v0, v18, v11
	;;#ASMEND
	s_nop 0
	;;#ASMSTART
	v_dot2_f32_f16 v11, v1, v19, v11
	;;#ASMEND
	s_nop 0
	;;#ASMSTART
	v_dot2_f32_f16 v11, v2, v20, v11
	;;#ASMEND
	s_nop 0
	;;#ASMSTART
	v_dot2_f32_f16 v11, v3, v21, v11
	;;#ASMEND
	;; [unrolled: 16-line block ×4, first 2 shown]
	ds_read_b128 v[0:3], v110 offset:32
	ds_read_b128 v[14:17], v111 offset:144
	;; [unrolled: 1-line block ×5, first 2 shown]
	s_waitcnt lgkmcnt(3)
	;;#ASMSTART
	v_dot2_f32_f16 v10, v0, v14, v10
	;;#ASMEND
	s_nop 0
	;;#ASMSTART
	v_dot2_f32_f16 v10, v1, v15, v10
	;;#ASMEND
	s_nop 0
	;;#ASMSTART
	v_dot2_f32_f16 v10, v2, v16, v10
	;;#ASMEND
	s_nop 0
	;;#ASMSTART
	v_dot2_f32_f16 v10, v3, v17, v10
	;;#ASMEND
	s_waitcnt lgkmcnt(2)
	;;#ASMSTART
	v_dot2_f32_f16 v11, v0, v18, v11
	;;#ASMEND
	s_nop 0
	;;#ASMSTART
	v_dot2_f32_f16 v11, v1, v19, v11
	;;#ASMEND
	s_nop 0
	;;#ASMSTART
	v_dot2_f32_f16 v11, v2, v20, v11
	;;#ASMEND
	s_nop 0
	;;#ASMSTART
	v_dot2_f32_f16 v11, v3, v21, v11
	;;#ASMEND
	;; [unrolled: 16-line block ×4, first 2 shown]
	ds_read_b128 v[0:3], v110 offset:48
	ds_read_b128 v[14:17], v111 offset:160
	;; [unrolled: 1-line block ×5, first 2 shown]
	s_waitcnt lgkmcnt(3)
	;;#ASMSTART
	v_dot2_f32_f16 v10, v0, v14, v10
	;;#ASMEND
	s_nop 0
	;;#ASMSTART
	v_dot2_f32_f16 v10, v1, v15, v10
	;;#ASMEND
	s_nop 0
	;;#ASMSTART
	v_dot2_f32_f16 v10, v2, v16, v10
	;;#ASMEND
	s_nop 0
	;;#ASMSTART
	v_dot2_f32_f16 v10, v3, v17, v10
	;;#ASMEND
	s_waitcnt lgkmcnt(2)
	;;#ASMSTART
	v_dot2_f32_f16 v11, v0, v18, v11
	;;#ASMEND
	s_nop 0
	;;#ASMSTART
	v_dot2_f32_f16 v11, v1, v19, v11
	;;#ASMEND
	s_nop 0
	;;#ASMSTART
	v_dot2_f32_f16 v11, v2, v20, v11
	;;#ASMEND
	s_nop 0
	;;#ASMSTART
	v_dot2_f32_f16 v11, v3, v21, v11
	;;#ASMEND
	;; [unrolled: 16-line block ×4, first 2 shown]
	ds_read_b128 v[0:3], v110 offset:64
	ds_read_b128 v[14:17], v111 offset:176
	;; [unrolled: 1-line block ×5, first 2 shown]
	s_waitcnt lgkmcnt(3)
	;;#ASMSTART
	v_dot2_f32_f16 v10, v0, v14, v10
	;;#ASMEND
	s_nop 0
	;;#ASMSTART
	v_dot2_f32_f16 v10, v1, v15, v10
	;;#ASMEND
	s_nop 0
	;;#ASMSTART
	v_dot2_f32_f16 v10, v2, v16, v10
	;;#ASMEND
	s_nop 0
	;;#ASMSTART
	v_dot2_f32_f16 v10, v3, v17, v10
	;;#ASMEND
	s_waitcnt lgkmcnt(2)
	;;#ASMSTART
	v_dot2_f32_f16 v11, v0, v18, v11
	;;#ASMEND
	s_nop 0
	;;#ASMSTART
	v_dot2_f32_f16 v11, v1, v19, v11
	;;#ASMEND
	s_nop 0
	;;#ASMSTART
	v_dot2_f32_f16 v11, v2, v20, v11
	;;#ASMEND
	s_nop 0
	;;#ASMSTART
	v_dot2_f32_f16 v11, v3, v21, v11
	;;#ASMEND
	;; [unrolled: 16-line block ×4, first 2 shown]
	ds_read_b128 v[0:3], v110 offset:80
	ds_read_b128 v[14:17], v111 offset:192
	;; [unrolled: 1-line block ×5, first 2 shown]
	s_waitcnt lgkmcnt(3)
	;;#ASMSTART
	v_dot2_f32_f16 v10, v0, v14, v10
	;;#ASMEND
	s_nop 0
	;;#ASMSTART
	v_dot2_f32_f16 v10, v1, v15, v10
	;;#ASMEND
	s_nop 0
	;;#ASMSTART
	v_dot2_f32_f16 v10, v2, v16, v10
	;;#ASMEND
	s_nop 0
	;;#ASMSTART
	v_dot2_f32_f16 v10, v3, v17, v10
	;;#ASMEND
	s_waitcnt lgkmcnt(2)
	;;#ASMSTART
	v_dot2_f32_f16 v11, v0, v18, v11
	;;#ASMEND
	s_nop 0
	;;#ASMSTART
	v_dot2_f32_f16 v11, v1, v19, v11
	;;#ASMEND
	s_nop 0
	;;#ASMSTART
	v_dot2_f32_f16 v11, v2, v20, v11
	;;#ASMEND
	s_nop 0
	;;#ASMSTART
	v_dot2_f32_f16 v11, v3, v21, v11
	;;#ASMEND
	;; [unrolled: 16-line block ×4, first 2 shown]
	ds_read_b128 v[0:3], v110 offset:96
	ds_read_b128 v[14:17], v111 offset:208
	;; [unrolled: 1-line block ×5, first 2 shown]
	s_waitcnt lgkmcnt(3)
	;;#ASMSTART
	v_dot2_f32_f16 v10, v0, v14, v10
	;;#ASMEND
	s_nop 0
	;;#ASMSTART
	v_dot2_f32_f16 v10, v1, v15, v10
	;;#ASMEND
	s_nop 0
	;;#ASMSTART
	v_dot2_f32_f16 v10, v2, v16, v10
	;;#ASMEND
	s_nop 0
	;;#ASMSTART
	v_dot2_f32_f16 v10, v3, v17, v10
	;;#ASMEND
	s_waitcnt lgkmcnt(2)
	;;#ASMSTART
	v_dot2_f32_f16 v11, v0, v18, v11
	;;#ASMEND
	s_nop 0
	;;#ASMSTART
	v_dot2_f32_f16 v11, v1, v19, v11
	;;#ASMEND
	s_nop 0
	;;#ASMSTART
	v_dot2_f32_f16 v11, v2, v20, v11
	;;#ASMEND
	s_nop 0
	;;#ASMSTART
	v_dot2_f32_f16 v11, v3, v21, v11
	;;#ASMEND
	;; [unrolled: 16-line block ×3, first 2 shown]
	s_waitcnt lgkmcnt(0)
	;;#ASMSTART
	v_dot2_f32_f16 v13, v0, v26, v13
	;;#ASMEND
	v_add_u32_e32 v0, s2, v84
	;;#ASMSTART
	v_dot2_f32_f16 v13, v1, v27, v13
	;;#ASMEND
	v_ashrrev_i32_e32 v1, 31, v0
	;;#ASMSTART
	v_dot2_f32_f16 v13, v2, v28, v13
	;;#ASMEND
	v_lshl_add_u64 v[0:1], v[0:1], 1, s[56:57]
	;;#ASMSTART
	v_dot2_f32_f16 v13, v3, v29, v13
	;;#ASMEND
	global_load_ushort v0, v[0:1], off
	v_and_b32_e32 v1, 0x60, v107
	v_add_u32_e32 v125, 32, v1
	v_cmp_lt_i32_e64 s[14:15], v122, v125
	v_max_f32_e32 v2, v6, v6
	v_max_f32_e32 v3, v9, v9
	v_cndmask_b32_e64 v1, v107, v122, s[14:15]
	v_lshlrev_b32_e32 v1, 2, v1
	v_cmp_lt_i32_e64 s[14:15], v123, v125
	s_barrier
	s_nop 0
	v_cndmask_b32_e64 v14, v107, v123, s[14:15]
	v_lshlrev_b32_e32 v14, 2, v14
	v_cmp_lt_i32_e64 s[14:15], v124, v125
	s_waitcnt vmcnt(0)
	v_cvt_f32_f16_e32 v0, v0
	v_cndmask_b32_e64 v15, v107, v124, s[14:15]
	v_lshlrev_b32_e32 v15, 2, v15
	v_cmp_lt_i32_e64 s[14:15], v121, v125
	v_add_f32_e32 v10, v10, v0
	v_add_f32_e32 v11, v11, v0
	;; [unrolled: 1-line block ×8, first 2 shown]
	v_max_f32_e32 v0, v2, v0
	v_max_f32_e32 v2, v3, v18
	;; [unrolled: 1-line block ×4, first 2 shown]
	ds_bpermute_b32 v5, v1, v0
	ds_bpermute_b32 v18, v1, v2
	ds_bpermute_b32 v19, v1, v3
	ds_bpermute_b32 v1, v1, v4
	v_cndmask_b32_e64 v16, v107, v121, s[14:15]
	s_waitcnt lgkmcnt(3)
	v_max_f32_e32 v5, v5, v5
	v_max_f32_e32 v0, v0, v5
	s_waitcnt lgkmcnt(2)
	v_max_f32_e32 v18, v18, v18
	s_waitcnt lgkmcnt(0)
	v_max_f32_e32 v1, v1, v1
	v_max_f32_e32 v1, v4, v1
	ds_bpermute_b32 v4, v14, v0
	v_max_f32_e32 v19, v19, v19
	v_max_f32_e32 v2, v2, v18
	;; [unrolled: 1-line block ×3, first 2 shown]
	ds_bpermute_b32 v5, v14, v2
	s_waitcnt lgkmcnt(1)
	v_max_f32_e32 v4, v4, v4
	v_max_f32_e32 v0, v0, v4
	ds_bpermute_b32 v4, v15, v0
	ds_bpermute_b32 v18, v14, v3
	;; [unrolled: 1-line block ×3, first 2 shown]
	s_waitcnt lgkmcnt(3)
	v_max_f32_e32 v5, v5, v5
	v_lshlrev_b32_e32 v16, 2, v16
	s_waitcnt lgkmcnt(2)
	v_max_f32_e32 v4, v4, v4
	s_waitcnt lgkmcnt(1)
	v_max_f32_e32 v18, v18, v18
	v_max_f32_e32 v2, v2, v5
	;; [unrolled: 1-line block ×3, first 2 shown]
	s_waitcnt lgkmcnt(0)
	v_max_f32_e32 v14, v14, v14
	v_max_f32_e32 v3, v3, v18
	ds_bpermute_b32 v5, v15, v2
	ds_bpermute_b32 v4, v16, v0
	v_max_f32_e32 v1, v1, v14
	ds_bpermute_b32 v14, v15, v3
	ds_bpermute_b32 v15, v15, v1
	v_cmp_lt_i32_e64 s[14:15], v120, v125
	s_waitcnt lgkmcnt(3)
	v_max_f32_e32 v5, v5, v5
	s_waitcnt lgkmcnt(2)
	v_max_f32_e32 v4, v4, v4
	v_cndmask_b32_e64 v17, v107, v120, s[14:15]
	v_lshlrev_b32_e32 v17, 2, v17
	s_waitcnt lgkmcnt(1)
	v_max_f32_e32 v14, v14, v14
	v_max_f32_e32 v2, v2, v5
	;; [unrolled: 1-line block ×3, first 2 shown]
	s_waitcnt lgkmcnt(0)
	v_max_f32_e32 v15, v15, v15
	v_max_f32_e32 v3, v3, v14
	ds_bpermute_b32 v5, v16, v2
	ds_bpermute_b32 v4, v17, v0
	v_max_f32_e32 v1, v1, v15
	ds_bpermute_b32 v14, v16, v3
	ds_bpermute_b32 v15, v16, v1
	s_waitcnt lgkmcnt(3)
	v_max_f32_e32 v5, v5, v5
	s_waitcnt lgkmcnt(2)
	v_max_f32_e32 v4, v4, v4
	v_max_f32_e32 v2, v2, v5
	;; [unrolled: 1-line block ×3, first 2 shown]
	s_waitcnt lgkmcnt(1)
	v_max_f32_e32 v4, v14, v14
	ds_bpermute_b32 v5, v17, v2
	v_max_f32_e32 v3, v3, v4
	s_waitcnt lgkmcnt(1)
	v_max_f32_e32 v14, v15, v15
	ds_bpermute_b32 v4, v17, v3
	v_max_f32_e32 v14, v1, v14
	ds_bpermute_b32 v15, v17, v14
	s_waitcnt lgkmcnt(2)
	v_max_f32_e32 v1, v5, v5
	v_max_f32_e32 v1, v2, v1
	s_waitcnt lgkmcnt(1)
	v_max_f32_e32 v2, v4, v4
	v_sub_f32_e32 v4, v10, v0
	v_max_f32_e32 v2, v3, v2
	s_waitcnt lgkmcnt(0)
	v_max_f32_e32 v3, v15, v15
	v_mul_f32_e32 v5, 0x3fb8aa3b, v4
	v_max_f32_e32 v3, v14, v3
	v_fma_f32 v10, v4, s58, -v5
	v_rndne_f32_e32 v14, v5
	v_fmac_f32_e32 v10, 0x32a5705f, v4
	v_sub_f32_e32 v5, v5, v14
	v_add_f32_e32 v5, v5, v10
	v_exp_f32_e32 v5, v5
	v_cvt_i32_f32_e32 v10, v14
	v_cmp_ngt_f32_e64 s[14:15], s59, v4
	v_ldexp_f32 v5, v5, v10
	v_sub_f32_e32 v10, v11, v1
	v_mul_f32_e32 v11, 0x3fb8aa3b, v10
	v_fma_f32 v14, v10, s58, -v11
	v_rndne_f32_e32 v15, v11
	v_fmac_f32_e32 v14, 0x32a5705f, v10
	v_sub_f32_e32 v11, v11, v15
	v_add_f32_e32 v11, v11, v14
	v_exp_f32_e32 v11, v11
	v_cvt_i32_f32_e32 v14, v15
	v_cndmask_b32_e64 v5, 0, v5, s[14:15]
	v_cmp_nlt_f32_e64 s[14:15], s60, v4
	v_ldexp_f32 v4, v11, v14
	s_nop 0
	v_cndmask_b32_e64 v96, v119, v5, s[14:15]
	v_sub_f32_e32 v5, v12, v2
	v_mul_f32_e32 v11, 0x3fb8aa3b, v5
	v_fma_f32 v12, v5, s58, -v11
	v_rndne_f32_e32 v14, v11
	v_fmac_f32_e32 v12, 0x32a5705f, v5
	v_sub_f32_e32 v11, v11, v14
	v_add_f32_e32 v11, v11, v12
	v_exp_f32_e32 v11, v11
	v_cvt_i32_f32_e32 v12, v14
	v_cmp_ngt_f32_e64 s[14:15], s59, v10
	s_nop 1
	v_cndmask_b32_e64 v4, 0, v4, s[14:15]
	v_cmp_nlt_f32_e64 s[14:15], s60, v10
	v_sub_f32_e32 v10, v13, v3
	s_nop 0
	v_cndmask_b32_e64 v97, v119, v4, s[14:15]
	v_ldexp_f32 v4, v11, v12
	v_mul_f32_e32 v11, 0x3fb8aa3b, v10
	v_fma_f32 v12, v10, s58, -v11
	v_rndne_f32_e32 v13, v11
	v_fmac_f32_e32 v12, 0x32a5705f, v10
	v_sub_f32_e32 v11, v11, v13
	v_add_f32_e32 v11, v11, v12
	v_exp_f32_e32 v11, v11
	v_cvt_i32_f32_e32 v12, v13
	v_cmp_ngt_f32_e64 s[14:15], s59, v5
	s_nop 1
	v_cndmask_b32_e64 v4, 0, v4, s[14:15]
	v_cmp_nlt_f32_e64 s[14:15], s60, v5
	s_nop 1
	v_cndmask_b32_e64 v98, v119, v4, s[14:15]
	v_ldexp_f32 v4, v11, v12
	v_cmp_ngt_f32_e64 s[14:15], s59, v10
	s_nop 1
	v_cndmask_b32_e64 v4, 0, v4, s[14:15]
	v_cmp_nlt_f32_e64 s[14:15], s60, v10
	v_add_u32_e32 v10, v115, v91
	s_nop 0
	v_cndmask_b32_e64 v99, v119, v4, s[14:15]
	s_mul_hi_i32 s15, s2, s42
	s_mul_i32 s14, s2, s42
	s_lshl_b64 s[14:15], s[14:15], 2
	s_add_u32 s14, s52, s14
	v_cvt_pk_f16_f32 v5, v98, v99
	v_cvt_pk_f16_f32 v4, v96, v97
	s_addc_u32 s15, s53, s15
	ds_write_b64 v10, v[4:5]
	s_and_saveexec_b64 s[16:17], s[8:9]
	s_cbranch_execnz .LBB5_53
; %bb.40:                               ;   in Loop: Header=BB5_31 Depth=1
	s_or_b64 exec, exec, s[16:17]
	s_and_saveexec_b64 s[16:17], s[10:11]
	s_cbranch_execnz .LBB5_54
.LBB5_41:                               ;   in Loop: Header=BB5_31 Depth=1
	s_or_b64 exec, exec, s[16:17]
	v_lshlrev_b32_e32 v100, 2, v90
	s_and_saveexec_b64 s[16:17], s[12:13]
	s_cbranch_execz .LBB5_43
.LBB5_42:                               ;   in Loop: Header=BB5_31 Depth=1
	v_lshl_add_u64 v[4:5], v[92:93], 2, s[14:15]
	v_mov_b32_e32 v101, v81
	v_lshl_add_u64 v[4:5], v[4:5], 0, v[100:101]
	global_load_dwordx4 v[10:13], v[4:5], off
	s_waitcnt vmcnt(0)
	ds_write_b128 v118, v[10:13]
.LBB5_43:                               ;   in Loop: Header=BB5_31 Depth=1
	s_or_b64 exec, exec, s[16:17]
	v_add_u32_e32 v129, 0x1800, v91
	v_add_u32_e32 v128, 0x1c00, v91
	;; [unrolled: 1-line block ×3, first 2 shown]
	v_sub_f32_e32 v132, v9, v1
	v_sub_f32_e32 v131, v8, v2
	s_waitcnt lgkmcnt(0)
	s_barrier
	ds_read2_b64 v[32:35], v129 offset0:128 offset1:156
	ds_read_b128 v[64:67], v115
	ds_read_b128 v[60:63], v115 offset:16
	ds_read_b128 v[52:55], v115 offset:32
	;; [unrolled: 1-line block ×3, first 2 shown]
	ds_read2_b64 v[28:31], v129 offset0:184 offset1:212
	ds_read2_b64 v[24:27], v128 offset0:112 offset1:140
	;; [unrolled: 1-line block ×5, first 2 shown]
	ds_read_b128 v[56:59], v115 offset:64
	ds_read_b128 v[48:51], v115 offset:80
	ds_read2_b64 v[8:11], v127 offset0:208 offset1:236
	v_add_u32_e32 v126, 0x2800, v91
	v_sub_f32_e32 v133, v6, v0
	v_sub_f32_e32 v130, v7, v3
	ds_read2_b64 v[4:7], v126 offset0:8 offset1:36
	ds_read_b128 v[44:47], v115 offset:96
	ds_read_b128 v[36:39], v115 offset:112
	s_or_b32 s38, s2, 16
	s_mul_hi_i32 s39, s38, s42
	s_mul_i32 s38, s38, s42
	s_lshl_b64 s[38:39], s[38:39], 2
	s_add_u32 s38, s52, s38
	v_cmp_ngt_f32_e64 s[26:27], s59, v133
	v_cmp_nlt_f32_e64 s[28:29], s60, v133
	v_cmp_ngt_f32_e64 s[22:23], s59, v132
	v_cmp_nlt_f32_e64 s[24:25], s60, v132
	;; [unrolled: 2-line block ×4, first 2 shown]
	s_addc_u32 s39, s53, s39
	s_waitcnt lgkmcnt(0)
	s_barrier
	s_and_saveexec_b64 s[40:41], s[8:9]
	s_cbranch_execnz .LBB5_55
; %bb.44:                               ;   in Loop: Header=BB5_31 Depth=1
	s_or_b64 exec, exec, s[40:41]
	s_and_saveexec_b64 s[40:41], s[10:11]
	s_cbranch_execnz .LBB5_56
.LBB5_45:                               ;   in Loop: Header=BB5_31 Depth=1
	s_or_b64 exec, exec, s[40:41]
	s_and_saveexec_b64 s[40:41], s[12:13]
	s_cbranch_execz .LBB5_47
.LBB5_46:                               ;   in Loop: Header=BB5_31 Depth=1
	v_lshl_add_u64 v[134:135], v[92:93], 2, s[38:39]
	v_mov_b32_e32 v101, v81
	v_lshl_add_u64 v[100:101], v[134:135], 0, v[100:101]
	global_load_dwordx4 v[134:137], v[100:101], off
	s_waitcnt vmcnt(0)
	ds_write_b128 v118, v[134:137]
.LBB5_47:                               ;   in Loop: Header=BB5_31 Depth=1
	s_or_b64 exec, exec, s[40:41]
	v_mul_f32_e32 v95, 0x3fb8aa3b, v133
	v_fma_f32 v100, v133, s58, -v95
	v_rndne_f32_e32 v101, v95
	v_fmac_f32_e32 v100, 0x32a5705f, v133
	v_sub_f32_e32 v95, v95, v101
	v_add_f32_e32 v95, v95, v100
	v_cvt_i32_f32_e32 v100, v101
	v_exp_f32_e32 v95, v95
	v_mul_u32_u24_sdwa v136, v65, s61 dst_sel:DWORD dst_unused:UNUSED_PAD src0_sel:WORD_0 src1_sel:DWORD
	v_mul_u32_u24_sdwa v65, v65, s61 dst_sel:DWORD dst_unused:UNUSED_PAD src0_sel:WORD_1 src1_sel:DWORD
	v_mul_u32_u24_sdwa v137, v66, s61 dst_sel:DWORD dst_unused:UNUSED_PAD src0_sel:WORD_0 src1_sel:DWORD
	v_ldexp_f32 v95, v95, v100
	v_mul_f32_e32 v100, 0x3fb8aa3b, v132
	v_fma_f32 v101, v132, s58, -v100
	v_fmac_f32_e32 v101, 0x32a5705f, v132
	v_rndne_f32_e32 v132, v100
	v_sub_f32_e32 v100, v100, v132
	v_add_f32_e32 v100, v100, v101
	v_exp_f32_e32 v101, v100
	v_cvt_i32_f32_e32 v132, v132
	v_cndmask_b32_e64 v95, 0, v95, s[26:27]
	v_cndmask_b32_e64 v100, v119, v95, s[28:29]
	v_cvt_f16_f32_e32 v95, v100
	v_ldexp_f32 v101, v101, v132
	v_mul_f32_e32 v132, 0x3fb8aa3b, v131
	v_fma_f32 v133, v131, s58, -v132
	v_fmac_f32_e32 v133, 0x32a5705f, v131
	v_rndne_f32_e32 v131, v132
	v_sub_f32_e32 v132, v132, v131
	v_add_f32_e32 v132, v132, v133
	v_exp_f32_e32 v132, v132
	v_cvt_i32_f32_e32 v131, v131
	v_cndmask_b32_e64 v101, 0, v101, s[22:23]
	v_cndmask_b32_e64 v101, v119, v101, s[24:25]
	v_cvt_f16_f32_e32 v133, v101
	;; [unrolled: 12-line block ×3, first 2 shown]
	v_ldexp_f32 v131, v132, v134
	v_cndmask_b32_e64 v131, 0, v131, s[14:15]
	v_cndmask_b32_e64 v131, v119, v131, s[16:17]
	v_cvt_f16_f32_e32 v132, v131
	v_mul_u32_u24_e32 v134, 0x10001, v135
	v_mul_u32_u24_sdwa v135, v64, s61 dst_sel:DWORD dst_unused:UNUSED_PAD src0_sel:WORD_0 src1_sel:DWORD
	v_mul_u32_u24_e32 v95, 0x10001, v95
	v_mul_u32_u24_e32 v132, 0x10001, v132
	v_mul_u32_u24_sdwa v64, v64, s61 dst_sel:DWORD dst_unused:UNUSED_PAD src0_sel:WORD_1 src1_sel:DWORD
	v_pk_mul_f16 v85, v85, v132
	v_pk_mul_f16 v102, v102, v132
	;; [unrolled: 1-line block ×3, first 2 shown]
	v_mul_u32_u24_e32 v133, 0x10001, v133
	v_pk_mul_f16 v109, v109, v95
	v_pk_fma_f16 v95, v108, v95, v132
	v_pk_mul_f16 v108, v32, v64
	v_pk_mul_f16 v106, v106, v133
	;; [unrolled: 1-line block ×3, first 2 shown]
	v_pk_fma_f16 v105, v105, v133, v108
	v_pk_mul_f16 v108, v32, v136
	v_mul_u32_u24_sdwa v66, v66, s61 dst_sel:DWORD dst_unused:UNUSED_PAD src0_sel:WORD_1 src1_sel:DWORD
	v_mul_u32_u24_sdwa v138, v67, s61 dst_sel:DWORD dst_unused:UNUSED_PAD src0_sel:WORD_0 src1_sel:DWORD
	v_mul_u32_u24_sdwa v67, v67, s61 dst_sel:DWORD dst_unused:UNUSED_PAD src0_sel:WORD_1 src1_sel:DWORD
	v_pk_fma_f16 v103, v103, v134, v108
	v_pk_fma_f16 v32, v32, v65, v85
	v_pk_fma_f16 v85, v33, v135, v109
	v_pk_fma_f16 v64, v33, v64, v106
	v_pk_fma_f16 v104, v33, v136, v104
	v_pk_fma_f16 v33, v33, v65, v102
	v_mul_u32_u24_sdwa v139, v60, s61 dst_sel:DWORD dst_unused:UNUSED_PAD src0_sel:WORD_0 src1_sel:DWORD
	v_mul_u32_u24_sdwa v60, v60, s61 dst_sel:DWORD dst_unused:UNUSED_PAD src0_sel:WORD_1 src1_sel:DWORD
	v_mul_u32_u24_sdwa v140, v61, s61 dst_sel:DWORD dst_unused:UNUSED_PAD src0_sel:WORD_0 src1_sel:DWORD
	v_mul_u32_u24_sdwa v61, v61, s61 dst_sel:DWORD dst_unused:UNUSED_PAD src0_sel:WORD_1 src1_sel:DWORD
	v_pk_fma_f16 v65, v34, v137, v95
	v_pk_fma_f16 v95, v34, v66, v105
	v_pk_fma_f16 v102, v34, v138, v103
	v_pk_fma_f16 v32, v34, v67, v32
	v_pk_fma_f16 v34, v35, v137, v85
	v_pk_fma_f16 v64, v35, v66, v64
	v_pk_fma_f16 v66, v35, v138, v104
	v_pk_fma_f16 v33, v35, v67, v33
	v_mul_u32_u24_sdwa v141, v62, s61 dst_sel:DWORD dst_unused:UNUSED_PAD src0_sel:WORD_0 src1_sel:DWORD
	v_mul_u32_u24_sdwa v62, v62, s61 dst_sel:DWORD dst_unused:UNUSED_PAD src0_sel:WORD_1 src1_sel:DWORD
	v_mul_u32_u24_sdwa v142, v63, s61 dst_sel:DWORD dst_unused:UNUSED_PAD src0_sel:WORD_0 src1_sel:DWORD
	v_mul_u32_u24_sdwa v63, v63, s61 dst_sel:DWORD dst_unused:UNUSED_PAD src0_sel:WORD_1 src1_sel:DWORD
	v_pk_fma_f16 v35, v28, v139, v65
	v_pk_fma_f16 v65, v28, v60, v95
	;; [unrolled: 12-line block ×14, first 2 shown]
	v_pk_fma_f16 v15, v4, v164, v17
	v_pk_fma_f16 v4, v4, v37, v8
	;; [unrolled: 1-line block ×14, first 2 shown]
	s_waitcnt lgkmcnt(0)
	s_barrier
	ds_read_b128 v[4:7], v115 offset:128
	ds_read2_b64 v[8:11], v129 offset0:128 offset1:156
	ds_read_b128 v[12:15], v115 offset:144
	ds_read_b128 v[16:19], v115 offset:160
	;; [unrolled: 1-line block ×3, first 2 shown]
	s_waitcnt lgkmcnt(4)
	v_mul_u32_u24_sdwa v32, v4, s61 dst_sel:DWORD dst_unused:UNUSED_PAD src0_sel:WORD_0 src1_sel:DWORD
	v_mul_u32_u24_sdwa v4, v4, s61 dst_sel:DWORD dst_unused:UNUSED_PAD src0_sel:WORD_1 src1_sel:DWORD
	v_mul_u32_u24_sdwa v33, v5, s61 dst_sel:DWORD dst_unused:UNUSED_PAD src0_sel:WORD_0 src1_sel:DWORD
	v_mul_u32_u24_sdwa v5, v5, s61 dst_sel:DWORD dst_unused:UNUSED_PAD src0_sel:WORD_1 src1_sel:DWORD
	s_waitcnt lgkmcnt(3)
	v_pk_fma_f16 v24, v8, v32, v24
	v_pk_fma_f16 v25, v8, v4, v25
	;; [unrolled: 1-line block ×8, first 2 shown]
	v_mul_u32_u24_sdwa v9, v6, s61 dst_sel:DWORD dst_unused:UNUSED_PAD src0_sel:WORD_0 src1_sel:DWORD
	v_mul_u32_u24_sdwa v6, v6, s61 dst_sel:DWORD dst_unused:UNUSED_PAD src0_sel:WORD_1 src1_sel:DWORD
	v_mul_u32_u24_sdwa v29, v7, s61 dst_sel:DWORD dst_unused:UNUSED_PAD src0_sel:WORD_0 src1_sel:DWORD
	v_mul_u32_u24_sdwa v7, v7, s61 dst_sel:DWORD dst_unused:UNUSED_PAD src0_sel:WORD_1 src1_sel:DWORD
	v_pk_fma_f16 v24, v10, v9, v24
	v_pk_fma_f16 v25, v10, v6, v25
	;; [unrolled: 1-line block ×8, first 2 shown]
	ds_read2_b64 v[4:7], v129 offset0:184 offset1:212
	s_waitcnt lgkmcnt(3)
	v_mul_u32_u24_sdwa v28, v12, s61 dst_sel:DWORD dst_unused:UNUSED_PAD src0_sel:WORD_0 src1_sel:DWORD
	v_mul_u32_u24_sdwa v12, v12, s61 dst_sel:DWORD dst_unused:UNUSED_PAD src0_sel:WORD_1 src1_sel:DWORD
	v_mul_u32_u24_sdwa v29, v13, s61 dst_sel:DWORD dst_unused:UNUSED_PAD src0_sel:WORD_0 src1_sel:DWORD
	v_mul_u32_u24_sdwa v13, v13, s61 dst_sel:DWORD dst_unused:UNUSED_PAD src0_sel:WORD_1 src1_sel:DWORD
	s_waitcnt lgkmcnt(0)
	v_pk_fma_f16 v24, v4, v28, v24
	v_pk_fma_f16 v25, v4, v12, v25
	;; [unrolled: 1-line block ×8, first 2 shown]
	v_mul_u32_u24_sdwa v11, v14, s61 dst_sel:DWORD dst_unused:UNUSED_PAD src0_sel:WORD_0 src1_sel:DWORD
	v_mul_u32_u24_sdwa v12, v14, s61 dst_sel:DWORD dst_unused:UNUSED_PAD src0_sel:WORD_1 src1_sel:DWORD
	v_mul_u32_u24_sdwa v13, v15, s61 dst_sel:DWORD dst_unused:UNUSED_PAD src0_sel:WORD_0 src1_sel:DWORD
	v_mul_u32_u24_sdwa v14, v15, s61 dst_sel:DWORD dst_unused:UNUSED_PAD src0_sel:WORD_1 src1_sel:DWORD
	v_pk_fma_f16 v15, v6, v11, v24
	v_pk_fma_f16 v24, v6, v12, v25
	;; [unrolled: 1-line block ×8, first 2 shown]
	ds_read2_b64 v[4:7], v128 offset0:112 offset1:140
	v_mul_u32_u24_sdwa v12, v16, s61 dst_sel:DWORD dst_unused:UNUSED_PAD src0_sel:WORD_0 src1_sel:DWORD
	v_mul_u32_u24_sdwa v13, v16, s61 dst_sel:DWORD dst_unused:UNUSED_PAD src0_sel:WORD_1 src1_sel:DWORD
	v_mul_u32_u24_sdwa v14, v17, s61 dst_sel:DWORD dst_unused:UNUSED_PAD src0_sel:WORD_0 src1_sel:DWORD
	v_mul_u32_u24_sdwa v16, v17, s61 dst_sel:DWORD dst_unused:UNUSED_PAD src0_sel:WORD_1 src1_sel:DWORD
	s_waitcnt lgkmcnt(0)
	v_pk_fma_f16 v15, v4, v12, v15
	v_pk_fma_f16 v17, v4, v13, v24
	;; [unrolled: 1-line block ×8, first 2 shown]
	v_mul_u32_u24_sdwa v11, v18, s61 dst_sel:DWORD dst_unused:UNUSED_PAD src0_sel:WORD_0 src1_sel:DWORD
	v_mul_u32_u24_sdwa v12, v18, s61 dst_sel:DWORD dst_unused:UNUSED_PAD src0_sel:WORD_1 src1_sel:DWORD
	v_mul_u32_u24_sdwa v13, v19, s61 dst_sel:DWORD dst_unused:UNUSED_PAD src0_sel:WORD_0 src1_sel:DWORD
	v_mul_u32_u24_sdwa v14, v19, s61 dst_sel:DWORD dst_unused:UNUSED_PAD src0_sel:WORD_1 src1_sel:DWORD
	v_pk_fma_f16 v15, v6, v11, v15
	v_pk_fma_f16 v16, v6, v12, v17
	;; [unrolled: 1-line block ×8, first 2 shown]
	ds_read2_b64 v[4:7], v127 offset0:40 offset1:68
	v_mul_u32_u24_sdwa v12, v20, s61 dst_sel:DWORD dst_unused:UNUSED_PAD src0_sel:WORD_0 src1_sel:DWORD
	v_mul_u32_u24_sdwa v13, v20, s61 dst_sel:DWORD dst_unused:UNUSED_PAD src0_sel:WORD_1 src1_sel:DWORD
	v_mul_u32_u24_sdwa v14, v21, s61 dst_sel:DWORD dst_unused:UNUSED_PAD src0_sel:WORD_0 src1_sel:DWORD
	v_mul_u32_u24_sdwa v19, v21, s61 dst_sel:DWORD dst_unused:UNUSED_PAD src0_sel:WORD_1 src1_sel:DWORD
	s_waitcnt lgkmcnt(0)
	v_pk_fma_f16 v15, v4, v12, v15
	v_pk_fma_f16 v16, v4, v13, v16
	;; [unrolled: 1-line block ×6, first 2 shown]
	v_mul_u32_u24_sdwa v10, v22, s61 dst_sel:DWORD dst_unused:UNUSED_PAD src0_sel:WORD_0 src1_sel:DWORD
	v_mul_u32_u24_sdwa v11, v22, s61 dst_sel:DWORD dst_unused:UNUSED_PAD src0_sel:WORD_1 src1_sel:DWORD
	v_pk_fma_f16 v17, v4, v14, v17
	v_pk_fma_f16 v4, v4, v19, v18
	;; [unrolled: 1-line block ×6, first 2 shown]
	ds_read_b128 v[8:11], v115 offset:192
	v_mul_u32_u24_sdwa v13, v23, s61 dst_sel:DWORD dst_unused:UNUSED_PAD src0_sel:WORD_0 src1_sel:DWORD
	v_mul_u32_u24_sdwa v14, v23, s61 dst_sel:DWORD dst_unused:UNUSED_PAD src0_sel:WORD_1 src1_sel:DWORD
	v_pk_fma_f16 v17, v6, v13, v17
	v_pk_fma_f16 v19, v6, v14, v4
	v_pk_fma_f16 v22, v7, v13, v12
	v_pk_fma_f16 v23, v7, v14, v5
	ds_read2_b64 v[4:7], v127 offset0:96 offset1:124
	ds_read_b128 v[12:15], v115 offset:208
	s_waitcnt lgkmcnt(2)
	v_mul_u32_u24_sdwa v24, v8, s61 dst_sel:DWORD dst_unused:UNUSED_PAD src0_sel:WORD_0 src1_sel:DWORD
	v_mul_u32_u24_sdwa v8, v8, s61 dst_sel:DWORD dst_unused:UNUSED_PAD src0_sel:WORD_1 src1_sel:DWORD
	v_mul_u32_u24_sdwa v25, v9, s61 dst_sel:DWORD dst_unused:UNUSED_PAD src0_sel:WORD_0 src1_sel:DWORD
	v_mul_u32_u24_sdwa v9, v9, s61 dst_sel:DWORD dst_unused:UNUSED_PAD src0_sel:WORD_1 src1_sel:DWORD
	s_waitcnt lgkmcnt(1)
	v_pk_fma_f16 v18, v4, v24, v18
	v_pk_fma_f16 v16, v4, v8, v16
	;; [unrolled: 1-line block ×8, first 2 shown]
	v_mul_u32_u24_sdwa v9, v10, s61 dst_sel:DWORD dst_unused:UNUSED_PAD src0_sel:WORD_0 src1_sel:DWORD
	v_mul_u32_u24_sdwa v10, v10, s61 dst_sel:DWORD dst_unused:UNUSED_PAD src0_sel:WORD_1 src1_sel:DWORD
	v_mul_u32_u24_sdwa v21, v11, s61 dst_sel:DWORD dst_unused:UNUSED_PAD src0_sel:WORD_0 src1_sel:DWORD
	v_mul_u32_u24_sdwa v11, v11, s61 dst_sel:DWORD dst_unused:UNUSED_PAD src0_sel:WORD_1 src1_sel:DWORD
	v_pk_fma_f16 v18, v6, v9, v18
	v_pk_fma_f16 v16, v6, v10, v16
	;; [unrolled: 1-line block ×8, first 2 shown]
	ds_read2_b64 v[4:7], v127 offset0:152 offset1:180
	s_waitcnt lgkmcnt(1)
	v_mul_u32_u24_sdwa v19, v12, s61 dst_sel:DWORD dst_unused:UNUSED_PAD src0_sel:WORD_0 src1_sel:DWORD
	v_mul_u32_u24_sdwa v12, v12, s61 dst_sel:DWORD dst_unused:UNUSED_PAD src0_sel:WORD_1 src1_sel:DWORD
	v_mul_u32_u24_sdwa v20, v13, s61 dst_sel:DWORD dst_unused:UNUSED_PAD src0_sel:WORD_0 src1_sel:DWORD
	v_mul_u32_u24_sdwa v13, v13, s61 dst_sel:DWORD dst_unused:UNUSED_PAD src0_sel:WORD_1 src1_sel:DWORD
	s_waitcnt lgkmcnt(0)
	v_pk_fma_f16 v18, v4, v19, v18
	v_pk_fma_f16 v16, v4, v12, v16
	;; [unrolled: 1-line block ×6, first 2 shown]
	v_mul_u32_u24_sdwa v10, v14, s61 dst_sel:DWORD dst_unused:UNUSED_PAD src0_sel:WORD_0 src1_sel:DWORD
	v_mul_u32_u24_sdwa v11, v14, s61 dst_sel:DWORD dst_unused:UNUSED_PAD src0_sel:WORD_1 src1_sel:DWORD
	v_pk_fma_f16 v17, v4, v20, v17
	v_pk_fma_f16 v18, v6, v10, v18
	;; [unrolled: 1-line block ×5, first 2 shown]
	ds_read_b128 v[8:11], v115 offset:224
	v_pk_fma_f16 v4, v4, v13, v22
	v_mul_u32_u24_sdwa v13, v15, s61 dst_sel:DWORD dst_unused:UNUSED_PAD src0_sel:WORD_0 src1_sel:DWORD
	v_mul_u32_u24_sdwa v14, v15, s61 dst_sel:DWORD dst_unused:UNUSED_PAD src0_sel:WORD_1 src1_sel:DWORD
	v_pk_fma_f16 v17, v6, v13, v17
	v_pk_fma_f16 v19, v6, v14, v4
	;; [unrolled: 1-line block ×4, first 2 shown]
	ds_read2_b64 v[4:7], v127 offset0:208 offset1:236
	ds_read_b128 v[12:15], v115 offset:240
	s_waitcnt lgkmcnt(2)
	v_mul_u32_u24_sdwa v24, v8, s61 dst_sel:DWORD dst_unused:UNUSED_PAD src0_sel:WORD_0 src1_sel:DWORD
	v_mul_u32_u24_sdwa v8, v8, s61 dst_sel:DWORD dst_unused:UNUSED_PAD src0_sel:WORD_1 src1_sel:DWORD
	v_mul_u32_u24_sdwa v25, v9, s61 dst_sel:DWORD dst_unused:UNUSED_PAD src0_sel:WORD_0 src1_sel:DWORD
	v_mul_u32_u24_sdwa v9, v9, s61 dst_sel:DWORD dst_unused:UNUSED_PAD src0_sel:WORD_1 src1_sel:DWORD
	s_waitcnt lgkmcnt(1)
	v_pk_fma_f16 v18, v4, v24, v18
	v_pk_fma_f16 v16, v4, v8, v16
	;; [unrolled: 1-line block ×8, first 2 shown]
	v_mul_u32_u24_sdwa v9, v10, s61 dst_sel:DWORD dst_unused:UNUSED_PAD src0_sel:WORD_0 src1_sel:DWORD
	v_mul_u32_u24_sdwa v10, v10, s61 dst_sel:DWORD dst_unused:UNUSED_PAD src0_sel:WORD_1 src1_sel:DWORD
	v_mul_u32_u24_sdwa v21, v11, s61 dst_sel:DWORD dst_unused:UNUSED_PAD src0_sel:WORD_0 src1_sel:DWORD
	v_mul_u32_u24_sdwa v11, v11, s61 dst_sel:DWORD dst_unused:UNUSED_PAD src0_sel:WORD_1 src1_sel:DWORD
	v_pk_fma_f16 v18, v6, v9, v18
	v_pk_fma_f16 v16, v6, v10, v16
	;; [unrolled: 1-line block ×8, first 2 shown]
	ds_read2_b64 v[4:7], v126 offset0:8 offset1:36
	s_waitcnt lgkmcnt(0)
	s_barrier
	s_load_dword s14, s[36:37], 0x4
	v_mul_u32_u24_sdwa v19, v12, s61 dst_sel:DWORD dst_unused:UNUSED_PAD src0_sel:WORD_0 src1_sel:DWORD
	v_mul_u32_u24_sdwa v12, v12, s61 dst_sel:DWORD dst_unused:UNUSED_PAD src0_sel:WORD_1 src1_sel:DWORD
	v_mul_u32_u24_sdwa v20, v13, s61 dst_sel:DWORD dst_unused:UNUSED_PAD src0_sel:WORD_0 src1_sel:DWORD
	v_mul_u32_u24_sdwa v13, v13, s61 dst_sel:DWORD dst_unused:UNUSED_PAD src0_sel:WORD_1 src1_sel:DWORD
	s_waitcnt lgkmcnt(0)
	s_lshl_b32 s14, s14, 5
	v_pk_fma_f16 v18, v4, v19, v18
	v_pk_fma_f16 v16, v4, v12, v16
	;; [unrolled: 1-line block ×8, first 2 shown]
	v_mul_u32_u24_sdwa v11, v14, s61 dst_sel:DWORD dst_unused:UNUSED_PAD src0_sel:WORD_0 src1_sel:DWORD
	v_mul_u32_u24_sdwa v12, v14, s61 dst_sel:DWORD dst_unused:UNUSED_PAD src0_sel:WORD_1 src1_sel:DWORD
	v_mul_u32_u24_sdwa v13, v15, s61 dst_sel:DWORD dst_unused:UNUSED_PAD src0_sel:WORD_0 src1_sel:DWORD
	v_mul_u32_u24_sdwa v14, v15, s61 dst_sel:DWORD dst_unused:UNUSED_PAD src0_sel:WORD_1 src1_sel:DWORD
	s_add_i32 s2, s14, s2
	v_pk_fma_f32 v[72:73], v[72:73], v[130:131], v[98:99]
	v_pk_fma_f32 v[74:75], v[74:75], v[100:101], v[96:97]
	v_pk_fma_f16 v108, v6, v11, v18
	v_pk_fma_f16 v105, v6, v12, v16
	;; [unrolled: 1-line block ×7, first 2 shown]
	s_cmp_ge_i32 s2, s34
	v_pk_fma_f16 v102, v7, v14, v5
	s_cbranch_scc1 .LBB5_9
; %bb.48:                               ;   in Loop: Header=BB5_31 Depth=1
	v_mov_b32_e32 v6, v0
	v_mov_b32_e32 v9, v1
	;; [unrolled: 1-line block ×4, first 2 shown]
	s_branch .LBB5_31
.LBB5_49:                               ;   in Loop: Header=BB5_31 Depth=1
	global_load_dwordx4 v[0:3], v[4:5], off offset:96
	s_waitcnt vmcnt(0)
	ds_write_b128 v112, v[0:3]
	s_or_b64 exec, exec, s[16:17]
	v_lshl_add_u64 v[0:1], v[78:79], 2, s[14:15]
	s_and_saveexec_b64 s[16:17], s[4:5]
	s_cbranch_execz .LBB5_33
.LBB5_50:                               ;   in Loop: Header=BB5_31 Depth=1
	v_lshl_add_u64 v[2:3], v[0:1], 0, v[80:81]
	global_load_dwordx4 v[10:13], v[2:3], off offset:64
	s_waitcnt vmcnt(0)
	ds_write_b128 v113, v[10:13]
	s_or_b64 exec, exec, s[16:17]
	v_lshl_add_u64 v[2:3], v[82:83], 2, s[14:15]
	s_and_saveexec_b64 s[14:15], s[6:7]
	s_cbranch_execnz .LBB5_34
	s_branch .LBB5_35
.LBB5_51:                               ;   in Loop: Header=BB5_31 Depth=1
	global_load_dwordx4 v[14:17], v[4:5], off offset:208
	s_waitcnt vmcnt(0)
	ds_write_b128 v112, v[14:17]
	s_or_b64 exec, exec, s[14:15]
	s_and_saveexec_b64 s[14:15], s[4:5]
	s_cbranch_execz .LBB5_37
.LBB5_52:                               ;   in Loop: Header=BB5_31 Depth=1
	v_lshl_add_u64 v[0:1], v[0:1], 0, v[80:81]
	global_load_dwordx4 v[14:17], v[0:1], off offset:176
	s_waitcnt vmcnt(0)
	ds_write_b128 v113, v[14:17]
	s_or_b64 exec, exec, s[14:15]
	s_and_saveexec_b64 s[14:15], s[6:7]
	s_cbranch_execnz .LBB5_38
	s_branch .LBB5_39
.LBB5_53:                               ;   in Loop: Header=BB5_31 Depth=1
	v_lshl_add_u64 v[4:5], v[86:87], 2, s[14:15]
	v_lshl_add_u64 v[4:5], v[4:5], 0, v[80:81]
	global_load_dwordx4 v[10:13], v[4:5], off offset:192
	s_waitcnt vmcnt(0)
	ds_write_b128 v116, v[10:13]
	s_or_b64 exec, exec, s[16:17]
	s_and_saveexec_b64 s[16:17], s[10:11]
	s_cbranch_execz .LBB5_41
.LBB5_54:                               ;   in Loop: Header=BB5_31 Depth=1
	v_lshl_add_u64 v[4:5], v[88:89], 2, s[14:15]
	v_mov_b32_e32 v95, v81
	v_lshl_add_u64 v[4:5], v[4:5], 0, v[94:95]
	global_load_dwordx4 v[10:13], v[4:5], off offset:128
	s_waitcnt vmcnt(0)
	ds_write_b128 v117, v[10:13]
	s_or_b64 exec, exec, s[16:17]
	v_lshlrev_b32_e32 v100, 2, v90
	s_and_saveexec_b64 s[16:17], s[12:13]
	s_cbranch_execnz .LBB5_42
	s_branch .LBB5_43
.LBB5_55:                               ;   in Loop: Header=BB5_31 Depth=1
	v_lshl_add_u64 v[134:135], v[86:87], 2, s[38:39]
	v_lshl_add_u64 v[134:135], v[134:135], 0, v[80:81]
	global_load_dwordx4 v[134:137], v[134:135], off offset:192
	s_waitcnt vmcnt(0)
	ds_write_b128 v116, v[134:137]
	s_or_b64 exec, exec, s[40:41]
	s_and_saveexec_b64 s[40:41], s[10:11]
	s_cbranch_execz .LBB5_45
.LBB5_56:                               ;   in Loop: Header=BB5_31 Depth=1
	v_lshl_add_u64 v[134:135], v[88:89], 2, s[38:39]
	v_mov_b32_e32 v95, v81
	v_lshl_add_u64 v[134:135], v[134:135], 0, v[94:95]
	global_load_dwordx4 v[134:137], v[134:135], off offset:128
	s_waitcnt vmcnt(0)
	ds_write_b128 v117, v[134:137]
	s_or_b64 exec, exec, s[40:41]
	s_and_saveexec_b64 s[40:41], s[12:13]
	s_cbranch_execnz .LBB5_46
	s_branch .LBB5_47
.LBB5_57:
	v_div_scale_f32 v0, s[6:7], v7, v7, 1.0
	v_rcp_f32_e32 v6, v0
	v_div_scale_f32 v8, vcc, 1.0, v7, 1.0
	v_fma_f32 v10, -v0, v6, 1.0
	v_fmac_f32_e32 v6, v10, v6
	v_mul_f32_e32 v10, v8, v6
	v_fma_f32 v11, -v0, v10, v8
	v_fmac_f32_e32 v10, v11, v6
	v_fma_f32 v0, -v0, v10, v8
	v_div_fmas_f32 v0, v0, v6, v10
	v_div_fixup_f32 v0, v0, v7, 1.0
	v_add_u32_e32 v10, s2, v9
	v_add_u32_e32 v8, s3, v10
	s_and_saveexec_b64 s[6:7], s[30:31]
	s_cbranch_execz .LBB5_20
.LBB5_58:
	v_cvt_f32_f16_sdwa v15, v105 dst_sel:DWORD dst_unused:UNUSED_PAD src0_sel:WORD_1
	v_cvt_f32_f16_e32 v14, v105
	v_cvt_f32_f16_sdwa v17, v106 dst_sel:DWORD dst_unused:UNUSED_PAD src0_sel:WORD_1
	v_cvt_f32_f16_e32 v16, v106
	s_movk_i32 s8, 0x70
	v_mad_u64_u32 v[12:13], s[8:9], v8, s8, v[68:69]
	v_mov_b32_e32 v13, 0
	v_lshl_add_u64 v[18:19], v[12:13], 2, s[48:49]
	v_pk_mul_f32 v[12:13], v[0:1], v[14:15] op_sel_hi:[0,1]
	v_pk_mul_f32 v[14:15], v[0:1], v[16:17] op_sel_hi:[0,1]
	global_store_dwordx4 v[18:19], v[12:15], off
	s_or_b64 exec, exec, s[6:7]
	s_and_saveexec_b64 s[6:7], s[4:5]
	s_cbranch_execz .LBB5_21
.LBB5_59:
	v_ashrrev_i32_e32 v9, 31, v8
	v_lshl_add_u64 v[8:9], v[8:9], 3, s[50:51]
	v_mov_b32_e32 v6, v1
	global_store_dwordx2 v[8:9], v[6:7], off
	s_or_b64 exec, exec, s[6:7]
	s_and_b64 vcc, exec, s[0:1]
	v_mov_b32_e32 v6, 1.0
	s_cbranch_vccnz .LBB5_22
.LBB5_60:
	v_div_scale_f32 v0, s[6:7], v4, v4, 1.0
	v_rcp_f32_e32 v1, v0
	v_div_scale_f32 v6, vcc, 1.0, v4, 1.0
	v_fma_f32 v7, -v0, v1, 1.0
	v_fmac_f32_e32 v1, v7, v1
	v_mul_f32_e32 v7, v6, v1
	v_fma_f32 v8, -v0, v7, v6
	v_fmac_f32_e32 v7, v8, v1
	v_fma_f32 v0, -v0, v7, v6
	v_div_fmas_f32 v0, v0, v1, v7
	v_div_fixup_f32 v6, v0, v4, 1.0
	v_add_u32_e32 v7, s2, v10
	v_add_u32_e32 v0, s3, v7
	s_and_saveexec_b64 s[6:7], s[30:31]
	s_cbranch_execz .LBB5_23
.LBB5_61:
	v_cvt_f32_f16_sdwa v11, v103 dst_sel:DWORD dst_unused:UNUSED_PAD src0_sel:WORD_1
	v_cvt_f32_f16_e32 v10, v103
	v_cvt_f32_f16_sdwa v13, v104 dst_sel:DWORD dst_unused:UNUSED_PAD src0_sel:WORD_1
	v_cvt_f32_f16_e32 v12, v104
	s_movk_i32 s8, 0x70
	v_mad_u64_u32 v[8:9], s[8:9], v0, s8, v[68:69]
	v_mov_b32_e32 v9, 0
	v_lshl_add_u64 v[14:15], v[8:9], 2, s[48:49]
	v_pk_mul_f32 v[8:9], v[6:7], v[10:11] op_sel_hi:[0,1]
	v_pk_mul_f32 v[10:11], v[6:7], v[12:13] op_sel_hi:[0,1]
	global_store_dwordx4 v[14:15], v[8:11], off
	s_or_b64 exec, exec, s[6:7]
	s_and_saveexec_b64 s[6:7], s[4:5]
	s_cbranch_execz .LBB5_24
.LBB5_62:
	v_ashrrev_i32_e32 v1, 31, v0
	v_lshl_add_u64 v[0:1], v[0:1], 3, s[50:51]
	v_mov_b32_e32 v8, v2
	v_mov_b32_e32 v9, v4
	global_store_dwordx2 v[0:1], v[8:9], off
	s_or_b64 exec, exec, s[6:7]
	s_and_b64 vcc, exec, s[0:1]
	v_mov_b32_e32 v2, 1.0
	s_cbranch_vccnz .LBB5_25
.LBB5_63:
	v_div_scale_f32 v0, s[0:1], v5, v5, 1.0
	v_rcp_f32_e32 v1, v0
	v_div_scale_f32 v2, vcc, 1.0, v5, 1.0
	v_fma_f32 v4, -v0, v1, 1.0
	v_fmac_f32_e32 v1, v4, v1
	v_mul_f32_e32 v4, v2, v1
	v_fma_f32 v6, -v0, v4, v2
	v_fmac_f32_e32 v4, v6, v1
	v_fma_f32 v0, -v0, v4, v2
	v_div_fmas_f32 v0, v0, v1, v4
	v_div_fixup_f32 v2, v0, v5, 1.0
	s_add_i32 s3, s3, s2
	v_add_u32_e32 v0, s3, v7
	s_and_saveexec_b64 s[0:1], s[30:31]
	s_cbranch_execz .LBB5_26
.LBB5_64:
	v_cvt_f32_f16_sdwa v9, v85 dst_sel:DWORD dst_unused:UNUSED_PAD src0_sel:WORD_1
	v_cvt_f32_f16_e32 v8, v85
	v_cvt_f32_f16_sdwa v11, v102 dst_sel:DWORD dst_unused:UNUSED_PAD src0_sel:WORD_1
	v_cvt_f32_f16_e32 v10, v102
	s_movk_i32 s2, 0x70
	v_mad_u64_u32 v[6:7], s[2:3], v0, s2, v[68:69]
	v_mov_b32_e32 v7, 0
	v_lshl_add_u64 v[12:13], v[6:7], 2, s[48:49]
	v_pk_mul_f32 v[6:7], v[2:3], v[8:9] op_sel_hi:[0,1]
	v_pk_mul_f32 v[8:9], v[2:3], v[10:11] op_sel_hi:[0,1]
	global_store_dwordx4 v[12:13], v[6:9], off
	s_or_b64 exec, exec, s[0:1]
	s_and_b64 exec, exec, s[4:5]
	s_cbranch_execnz .LBB5_27
	s_branch .LBB5_28
	.section	.rodata,"a",@progbits
	.p2align	6, 0x0
	.amdhsa_kernel _ZL15flash_attn_tileILi112ELi112ELi4ELi8ELb0EEvPKcS1_S1_S1_S1_PKiPfP15HIP_vector_typeIfLj2EEffffjfiS5_IjLj3EEiiiiiiiiiiiliiliiiiil
		.amdhsa_group_segment_fixed_size 13376
		.amdhsa_private_segment_fixed_size 0
		.amdhsa_kernarg_size 464
		.amdhsa_user_sgpr_count 2
		.amdhsa_user_sgpr_dispatch_ptr 0
		.amdhsa_user_sgpr_queue_ptr 0
		.amdhsa_user_sgpr_kernarg_segment_ptr 1
		.amdhsa_user_sgpr_dispatch_id 0
		.amdhsa_user_sgpr_kernarg_preload_length 0
		.amdhsa_user_sgpr_kernarg_preload_offset 0
		.amdhsa_user_sgpr_private_segment_size 0
		.amdhsa_uses_dynamic_stack 0
		.amdhsa_enable_private_segment 0
		.amdhsa_system_sgpr_workgroup_id_x 1
		.amdhsa_system_sgpr_workgroup_id_y 1
		.amdhsa_system_sgpr_workgroup_id_z 1
		.amdhsa_system_sgpr_workgroup_info 0
		.amdhsa_system_vgpr_workitem_id 1
		.amdhsa_next_free_vgpr 167
		.amdhsa_next_free_sgpr 62
		.amdhsa_accum_offset 168
		.amdhsa_reserve_vcc 1
		.amdhsa_float_round_mode_32 0
		.amdhsa_float_round_mode_16_64 0
		.amdhsa_float_denorm_mode_32 3
		.amdhsa_float_denorm_mode_16_64 3
		.amdhsa_dx10_clamp 1
		.amdhsa_ieee_mode 1
		.amdhsa_fp16_overflow 0
		.amdhsa_tg_split 0
		.amdhsa_exception_fp_ieee_invalid_op 0
		.amdhsa_exception_fp_denorm_src 0
		.amdhsa_exception_fp_ieee_div_zero 0
		.amdhsa_exception_fp_ieee_overflow 0
		.amdhsa_exception_fp_ieee_underflow 0
		.amdhsa_exception_fp_ieee_inexact 0
		.amdhsa_exception_int_div_zero 0
	.end_amdhsa_kernel
	.section	.text._ZL15flash_attn_tileILi112ELi112ELi4ELi8ELb0EEvPKcS1_S1_S1_S1_PKiPfP15HIP_vector_typeIfLj2EEffffjfiS5_IjLj3EEiiiiiiiiiiiliiliiiiil,"axG",@progbits,_ZL15flash_attn_tileILi112ELi112ELi4ELi8ELb0EEvPKcS1_S1_S1_S1_PKiPfP15HIP_vector_typeIfLj2EEffffjfiS5_IjLj3EEiiiiiiiiiiiliiliiiiil,comdat
.Lfunc_end5:
	.size	_ZL15flash_attn_tileILi112ELi112ELi4ELi8ELb0EEvPKcS1_S1_S1_S1_PKiPfP15HIP_vector_typeIfLj2EEffffjfiS5_IjLj3EEiiiiiiiiiiiliiliiiiil, .Lfunc_end5-_ZL15flash_attn_tileILi112ELi112ELi4ELi8ELb0EEvPKcS1_S1_S1_S1_PKiPfP15HIP_vector_typeIfLj2EEffffjfiS5_IjLj3EEiiiiiiiiiiiliiliiiiil
                                        ; -- End function
	.set _ZL15flash_attn_tileILi112ELi112ELi4ELi8ELb0EEvPKcS1_S1_S1_S1_PKiPfP15HIP_vector_typeIfLj2EEffffjfiS5_IjLj3EEiiiiiiiiiiiliiliiiiil.num_vgpr, 167
	.set _ZL15flash_attn_tileILi112ELi112ELi4ELi8ELb0EEvPKcS1_S1_S1_S1_PKiPfP15HIP_vector_typeIfLj2EEffffjfiS5_IjLj3EEiiiiiiiiiiiliiliiiiil.num_agpr, 0
	.set _ZL15flash_attn_tileILi112ELi112ELi4ELi8ELb0EEvPKcS1_S1_S1_S1_PKiPfP15HIP_vector_typeIfLj2EEffffjfiS5_IjLj3EEiiiiiiiiiiiliiliiiiil.numbered_sgpr, 62
	.set _ZL15flash_attn_tileILi112ELi112ELi4ELi8ELb0EEvPKcS1_S1_S1_S1_PKiPfP15HIP_vector_typeIfLj2EEffffjfiS5_IjLj3EEiiiiiiiiiiiliiliiiiil.num_named_barrier, 0
	.set _ZL15flash_attn_tileILi112ELi112ELi4ELi8ELb0EEvPKcS1_S1_S1_S1_PKiPfP15HIP_vector_typeIfLj2EEffffjfiS5_IjLj3EEiiiiiiiiiiiliiliiiiil.private_seg_size, 0
	.set _ZL15flash_attn_tileILi112ELi112ELi4ELi8ELb0EEvPKcS1_S1_S1_S1_PKiPfP15HIP_vector_typeIfLj2EEffffjfiS5_IjLj3EEiiiiiiiiiiiliiliiiiil.uses_vcc, 1
	.set _ZL15flash_attn_tileILi112ELi112ELi4ELi8ELb0EEvPKcS1_S1_S1_S1_PKiPfP15HIP_vector_typeIfLj2EEffffjfiS5_IjLj3EEiiiiiiiiiiiliiliiiiil.uses_flat_scratch, 0
	.set _ZL15flash_attn_tileILi112ELi112ELi4ELi8ELb0EEvPKcS1_S1_S1_S1_PKiPfP15HIP_vector_typeIfLj2EEffffjfiS5_IjLj3EEiiiiiiiiiiiliiliiiiil.has_dyn_sized_stack, 0
	.set _ZL15flash_attn_tileILi112ELi112ELi4ELi8ELb0EEvPKcS1_S1_S1_S1_PKiPfP15HIP_vector_typeIfLj2EEffffjfiS5_IjLj3EEiiiiiiiiiiiliiliiiiil.has_recursion, 0
	.set _ZL15flash_attn_tileILi112ELi112ELi4ELi8ELb0EEvPKcS1_S1_S1_S1_PKiPfP15HIP_vector_typeIfLj2EEffffjfiS5_IjLj3EEiiiiiiiiiiiliiliiiiil.has_indirect_call, 0
	.section	.AMDGPU.csdata,"",@progbits
; Kernel info:
; codeLenInByte = 15248
; TotalNumSgprs: 68
; NumVgprs: 167
; NumAgprs: 0
; TotalNumVgprs: 167
; ScratchSize: 0
; MemoryBound: 0
; FloatMode: 240
; IeeeMode: 1
; LDSByteSize: 13376 bytes/workgroup (compile time only)
; SGPRBlocks: 8
; VGPRBlocks: 20
; NumSGPRsForWavesPerEU: 68
; NumVGPRsForWavesPerEU: 167
; AccumOffset: 168
; Occupancy: 3
; WaveLimiterHint : 1
; COMPUTE_PGM_RSRC2:SCRATCH_EN: 0
; COMPUTE_PGM_RSRC2:USER_SGPR: 2
; COMPUTE_PGM_RSRC2:TRAP_HANDLER: 0
; COMPUTE_PGM_RSRC2:TGID_X_EN: 1
; COMPUTE_PGM_RSRC2:TGID_Y_EN: 1
; COMPUTE_PGM_RSRC2:TGID_Z_EN: 1
; COMPUTE_PGM_RSRC2:TIDIG_COMP_CNT: 1
; COMPUTE_PGM_RSRC3_GFX90A:ACCUM_OFFSET: 41
; COMPUTE_PGM_RSRC3_GFX90A:TG_SPLIT: 0
	.section	.text._ZL25flash_attn_mask_to_KV_maxILi4EEvPK7__half2Piiii,"axG",@progbits,_ZL25flash_attn_mask_to_KV_maxILi4EEvPK7__half2Piiii,comdat
	.globl	_ZL25flash_attn_mask_to_KV_maxILi4EEvPK7__half2Piiii ; -- Begin function _ZL25flash_attn_mask_to_KV_maxILi4EEvPK7__half2Piiii
	.p2align	8
	.type	_ZL25flash_attn_mask_to_KV_maxILi4EEvPK7__half2Piiii,@function
_ZL25flash_attn_mask_to_KV_maxILi4EEvPK7__half2Piiii: ; @_ZL25flash_attn_mask_to_KV_maxILi4EEvPK7__half2Piiii
; %bb.0:
	s_load_dwordx4 s[4:7], s[0:1], 0x0
	v_cmp_gt_u32_e32 vcc, 32, v0
	s_and_saveexec_b64 s[8:9], vcc
; %bb.1:
	v_lshlrev_b32_e32 v1, 2, v0
	v_mov_b32_e32 v2, 1
	ds_write_b32 v1, v2
; %bb.2:
	s_or_b64 exec, exec, s[8:9]
	s_load_dwordx4 s[8:11], s[0:1], 0x10
	s_load_dword s24, s[0:1], 0x20
	v_and_b32_e32 v2, 31, v0
	v_lshlrev_b32_e32 v6, 2, v2
	v_lshrrev_b32_e32 v1, 3, v0
	s_waitcnt lgkmcnt(0)
	s_mul_i32 s1, s2, s9
	s_mul_i32 s0, s10, s3
	s_lshl_b32 s1, s1, 2
	s_add_i32 s0, s0, s1
	s_ashr_i32 s1, s0, 31
	s_lshl_b64 s[0:1], s[0:1], 2
	s_add_u32 s10, s4, s0
	s_addc_u32 s11, s5, s1
	v_cmp_eq_u32_e64 s[0:1], 0, v2
	v_mbcnt_lo_u32_b32 v2, -1, 0
	v_mbcnt_hi_u32_b32 v7, -1, v2
	v_and_b32_e32 v2, 0x60, v7
	s_lshl_b32 s8, s8, 8
	s_mov_b64 s[12:13], 0
	v_mov_b32_e32 v3, 0
	s_movk_i32 s25, 0x204
	v_add_u32_e32 v8, 32, v2
	v_xor_b32_e32 v9, 16, v7
	v_xor_b32_e32 v10, 8, v7
	;; [unrolled: 1-line block ×5, first 2 shown]
	s_barrier
                                        ; implicit-def: $sgpr4_sgpr5
	s_branch .LBB6_5
.LBB6_3:                                ;   in Loop: Header=BB6_5 Depth=1
	s_or_b64 exec, exec, s[14:15]
	s_waitcnt lgkmcnt(0)
	s_barrier
	ds_read_b32 v16, v6
	s_waitcnt lgkmcnt(0)
	s_barrier
	ds_bpermute_b32 v2, v2, v16
	v_cmp_ne_u32_e32 vcc, 0, v16
	s_waitcnt lgkmcnt(0)
	v_cmp_ne_u32_e64 s[4:5], 0, v2
	s_and_b64 s[4:5], vcc, s[4:5]
	s_nop 0
	v_cndmask_b32_e64 v2, 0, 1, s[4:5]
	ds_bpermute_b32 v2, v4, v2
	s_waitcnt lgkmcnt(0)
	v_cmp_ne_u32_e32 vcc, 0, v2
	s_and_b64 s[4:5], vcc, s[4:5]
	v_cndmask_b32_e64 v2, 0, 1, s[4:5]
	ds_bpermute_b32 v2, v5, v2
	s_waitcnt lgkmcnt(0)
	v_cmp_ne_u32_e32 vcc, 0, v2
	s_and_b64 s[4:5], vcc, s[4:5]
	;; [unrolled: 5-line block ×3, first 2 shown]
	v_cndmask_b32_e64 v2, 0, 1, s[4:5]
	ds_bpermute_b32 v2, v15, v2
	s_xor_b64 s[4:5], s[4:5], -1
	s_waitcnt lgkmcnt(0)
	v_cmp_eq_u32_e32 vcc, 0, v2
	s_or_b64 s[4:5], vcc, s[4:5]
.LBB6_4:                                ;   in Loop: Header=BB6_5 Depth=1
	s_and_b64 s[14:15], exec, s[4:5]
	s_or_b64 s[12:13], s[14:15], s[12:13]
	v_mov_b32_e32 v2, s8
	s_mov_b32 s8, s26
	s_andn2_b64 exec, exec, s[12:13]
	s_cbranch_execz .LBB6_20
.LBB6_5:                                ; =>This Inner Loop Header: Depth=1
	s_add_i32 s26, s8, 0xffffff00
	s_or_b64 s[4:5], s[4:5], exec
	s_cmp_lt_i32 s26, 0
	s_cbranch_scc1 .LBB6_4
; %bb.6:                                ;   in Loop: Header=BB6_5 Depth=1
	s_lshr_b32 s4, s26, 1
	v_add_u32_e32 v2, s4, v0
	v_lshl_add_u64 v[4:5], v[2:3], 2, s[10:11]
	global_load_dword v4, v[4:5], off
	v_mov_b32_e32 v5, 0
	s_waitcnt vmcnt(0)
	v_cmp_class_f16_e64 s[4:5], v4, s25
	v_cmp_class_f16_sdwa s[14:15], v4, s25 src0_sel:WORD_1 src1_sel:DWORD
	s_and_b64 s[14:15], s[4:5], s[14:15]
	s_and_saveexec_b64 s[4:5], s[14:15]
	s_cbranch_execz .LBB6_18
; %bb.7:                                ;   in Loop: Header=BB6_5 Depth=1
	v_add_u32_e32 v4, s9, v2
	v_ashrrev_i32_e32 v5, 31, v4
	v_lshl_add_u64 v[14:15], v[4:5], 2, s[10:11]
	global_load_dword v2, v[14:15], off
	v_mov_b32_e32 v5, 0
	s_waitcnt vmcnt(0)
	v_cmp_class_f16_e64 s[16:17], v2, s25
	s_and_saveexec_b64 s[14:15], s[16:17]
	s_cbranch_execz .LBB6_17
; %bb.8:                                ;   in Loop: Header=BB6_5 Depth=1
	v_cmp_class_f16_sdwa s[18:19], v2, s25 src0_sel:WORD_1 src1_sel:DWORD
	v_mov_b32_e32 v5, 0
	s_and_saveexec_b64 s[16:17], s[18:19]
	s_cbranch_execz .LBB6_16
; %bb.9:                                ;   in Loop: Header=BB6_5 Depth=1
	v_add_u32_e32 v4, s9, v4
	v_ashrrev_i32_e32 v5, 31, v4
	v_lshl_add_u64 v[14:15], v[4:5], 2, s[10:11]
	global_load_dword v2, v[14:15], off
	v_mov_b32_e32 v5, 0
	s_waitcnt vmcnt(0)
	v_cmp_class_f16_e64 s[20:21], v2, s25
	s_and_saveexec_b64 s[18:19], s[20:21]
	s_cbranch_execz .LBB6_15
; %bb.10:                               ;   in Loop: Header=BB6_5 Depth=1
	v_cmp_class_f16_sdwa s[22:23], v2, s25 src0_sel:WORD_1 src1_sel:DWORD
	v_mov_b32_e32 v5, 0
	s_and_saveexec_b64 s[20:21], s[22:23]
	s_cbranch_execz .LBB6_14
; %bb.11:                               ;   in Loop: Header=BB6_5 Depth=1
	v_add_u32_e32 v4, s9, v4
	v_ashrrev_i32_e32 v5, 31, v4
	v_lshl_add_u64 v[4:5], v[4:5], 2, s[10:11]
	global_load_dword v2, v[4:5], off
	v_mov_b32_e32 v5, 0
	s_waitcnt vmcnt(0)
	v_cmp_class_f16_e64 s[28:29], v2, s25
	s_and_saveexec_b64 s[22:23], s[28:29]
; %bb.12:                               ;   in Loop: Header=BB6_5 Depth=1
	v_cmp_class_f16_sdwa s[28:29], v2, s25 src0_sel:WORD_1 src1_sel:DWORD
	s_nop 1
	v_cndmask_b32_e64 v5, 0, 1, s[28:29]
; %bb.13:                               ;   in Loop: Header=BB6_5 Depth=1
	s_or_b64 exec, exec, s[22:23]
.LBB6_14:                               ;   in Loop: Header=BB6_5 Depth=1
	s_or_b64 exec, exec, s[20:21]
.LBB6_15:                               ;   in Loop: Header=BB6_5 Depth=1
	s_or_b64 exec, exec, s[18:19]
.LBB6_16:                               ;   in Loop: Header=BB6_5 Depth=1
	s_or_b64 exec, exec, s[16:17]
.LBB6_17:                               ;   in Loop: Header=BB6_5 Depth=1
	s_or_b64 exec, exec, s[14:15]
.LBB6_18:                               ;   in Loop: Header=BB6_5 Depth=1
	s_or_b64 exec, exec, s[4:5]
	v_cmp_lt_i32_e32 vcc, v9, v8
	s_nop 1
	v_cndmask_b32_e32 v2, v7, v9, vcc
	v_lshlrev_b32_e32 v2, 2, v2
	ds_bpermute_b32 v4, v2, v5
	v_cmp_ne_u32_e32 vcc, 0, v5
	s_waitcnt lgkmcnt(0)
	v_cmp_ne_u32_e64 s[4:5], 0, v4
	s_and_b64 s[4:5], vcc, s[4:5]
	v_cmp_lt_i32_e32 vcc, v10, v8
	v_cndmask_b32_e64 v5, 0, 1, s[4:5]
	s_nop 0
	v_cndmask_b32_e32 v4, v7, v10, vcc
	v_lshlrev_b32_e32 v4, 2, v4
	ds_bpermute_b32 v5, v4, v5
	s_waitcnt lgkmcnt(0)
	v_cmp_ne_u32_e32 vcc, 0, v5
	s_and_b64 s[4:5], vcc, s[4:5]
	v_cmp_lt_i32_e32 vcc, v11, v8
	v_cndmask_b32_e64 v14, 0, 1, s[4:5]
	s_nop 0
	v_cndmask_b32_e32 v5, v7, v11, vcc
	v_lshlrev_b32_e32 v5, 2, v5
	ds_bpermute_b32 v14, v5, v14
	s_waitcnt lgkmcnt(0)
	v_cmp_ne_u32_e32 vcc, 0, v14
	;; [unrolled: 9-line block ×3, first 2 shown]
	s_and_b64 s[4:5], vcc, s[4:5]
	v_cmp_lt_i32_e32 vcc, v13, v8
	v_cndmask_b32_e64 v16, 0, 1, s[4:5]
	s_nop 0
	v_cndmask_b32_e32 v15, v7, v13, vcc
	v_lshlrev_b32_e32 v15, 2, v15
	ds_bpermute_b32 v16, v15, v16
	s_and_saveexec_b64 s[14:15], s[0:1]
	s_cbranch_execz .LBB6_3
; %bb.19:                               ;   in Loop: Header=BB6_5 Depth=1
	s_waitcnt lgkmcnt(0)
	v_cmp_ne_u32_e32 vcc, 0, v16
	s_and_b64 s[4:5], vcc, s[4:5]
	v_cndmask_b32_e64 v16, 0, 1, s[4:5]
	ds_write_b32 v1, v16
	s_branch .LBB6_3
.LBB6_20:
	s_or_b64 exec, exec, s[12:13]
	v_cmp_eq_u32_e32 vcc, 0, v0
	s_and_saveexec_b64 s[0:1], vcc
	s_cbranch_execz .LBB6_22
; %bb.21:
	s_mul_i32 s0, s24, s3
	s_add_i32 s0, s0, s2
	s_ashr_i32 s1, s0, 31
	s_lshl_b64 s[0:1], s[0:1], 2
	s_add_u32 s0, s6, s0
	s_addc_u32 s1, s7, s1
	v_mov_b32_e32 v0, 0
	global_store_dword v0, v2, s[0:1]
.LBB6_22:
	s_endpgm
	.section	.rodata,"a",@progbits
	.p2align	6, 0x0
	.amdhsa_kernel _ZL25flash_attn_mask_to_KV_maxILi4EEvPK7__half2Piiii
		.amdhsa_group_segment_fixed_size 128
		.amdhsa_private_segment_fixed_size 0
		.amdhsa_kernarg_size 288
		.amdhsa_user_sgpr_count 2
		.amdhsa_user_sgpr_dispatch_ptr 0
		.amdhsa_user_sgpr_queue_ptr 0
		.amdhsa_user_sgpr_kernarg_segment_ptr 1
		.amdhsa_user_sgpr_dispatch_id 0
		.amdhsa_user_sgpr_kernarg_preload_length 0
		.amdhsa_user_sgpr_kernarg_preload_offset 0
		.amdhsa_user_sgpr_private_segment_size 0
		.amdhsa_uses_dynamic_stack 0
		.amdhsa_enable_private_segment 0
		.amdhsa_system_sgpr_workgroup_id_x 1
		.amdhsa_system_sgpr_workgroup_id_y 1
		.amdhsa_system_sgpr_workgroup_id_z 0
		.amdhsa_system_sgpr_workgroup_info 0
		.amdhsa_system_vgpr_workitem_id 0
		.amdhsa_next_free_vgpr 17
		.amdhsa_next_free_sgpr 30
		.amdhsa_accum_offset 20
		.amdhsa_reserve_vcc 1
		.amdhsa_float_round_mode_32 0
		.amdhsa_float_round_mode_16_64 0
		.amdhsa_float_denorm_mode_32 3
		.amdhsa_float_denorm_mode_16_64 3
		.amdhsa_dx10_clamp 1
		.amdhsa_ieee_mode 1
		.amdhsa_fp16_overflow 0
		.amdhsa_tg_split 0
		.amdhsa_exception_fp_ieee_invalid_op 0
		.amdhsa_exception_fp_denorm_src 0
		.amdhsa_exception_fp_ieee_div_zero 0
		.amdhsa_exception_fp_ieee_overflow 0
		.amdhsa_exception_fp_ieee_underflow 0
		.amdhsa_exception_fp_ieee_inexact 0
		.amdhsa_exception_int_div_zero 0
	.end_amdhsa_kernel
	.section	.text._ZL25flash_attn_mask_to_KV_maxILi4EEvPK7__half2Piiii,"axG",@progbits,_ZL25flash_attn_mask_to_KV_maxILi4EEvPK7__half2Piiii,comdat
.Lfunc_end6:
	.size	_ZL25flash_attn_mask_to_KV_maxILi4EEvPK7__half2Piiii, .Lfunc_end6-_ZL25flash_attn_mask_to_KV_maxILi4EEvPK7__half2Piiii
                                        ; -- End function
	.set _ZL25flash_attn_mask_to_KV_maxILi4EEvPK7__half2Piiii.num_vgpr, 17
	.set _ZL25flash_attn_mask_to_KV_maxILi4EEvPK7__half2Piiii.num_agpr, 0
	.set _ZL25flash_attn_mask_to_KV_maxILi4EEvPK7__half2Piiii.numbered_sgpr, 30
	.set _ZL25flash_attn_mask_to_KV_maxILi4EEvPK7__half2Piiii.num_named_barrier, 0
	.set _ZL25flash_attn_mask_to_KV_maxILi4EEvPK7__half2Piiii.private_seg_size, 0
	.set _ZL25flash_attn_mask_to_KV_maxILi4EEvPK7__half2Piiii.uses_vcc, 1
	.set _ZL25flash_attn_mask_to_KV_maxILi4EEvPK7__half2Piiii.uses_flat_scratch, 0
	.set _ZL25flash_attn_mask_to_KV_maxILi4EEvPK7__half2Piiii.has_dyn_sized_stack, 0
	.set _ZL25flash_attn_mask_to_KV_maxILi4EEvPK7__half2Piiii.has_recursion, 0
	.set _ZL25flash_attn_mask_to_KV_maxILi4EEvPK7__half2Piiii.has_indirect_call, 0
	.section	.AMDGPU.csdata,"",@progbits
; Kernel info:
; codeLenInByte = 988
; TotalNumSgprs: 36
; NumVgprs: 17
; NumAgprs: 0
; TotalNumVgprs: 17
; ScratchSize: 0
; MemoryBound: 0
; FloatMode: 240
; IeeeMode: 1
; LDSByteSize: 128 bytes/workgroup (compile time only)
; SGPRBlocks: 4
; VGPRBlocks: 2
; NumSGPRsForWavesPerEU: 36
; NumVGPRsForWavesPerEU: 17
; AccumOffset: 20
; Occupancy: 8
; WaveLimiterHint : 0
; COMPUTE_PGM_RSRC2:SCRATCH_EN: 0
; COMPUTE_PGM_RSRC2:USER_SGPR: 2
; COMPUTE_PGM_RSRC2:TRAP_HANDLER: 0
; COMPUTE_PGM_RSRC2:TGID_X_EN: 1
; COMPUTE_PGM_RSRC2:TGID_Y_EN: 1
; COMPUTE_PGM_RSRC2:TGID_Z_EN: 0
; COMPUTE_PGM_RSRC2:TIDIG_COMP_CNT: 0
; COMPUTE_PGM_RSRC3_GFX90A:ACCUM_OFFSET: 4
; COMPUTE_PGM_RSRC3_GFX90A:TG_SPLIT: 0
	.section	.text._ZL33flash_attn_stream_k_fixup_uniformILi112ELi4ELi8EEvPfPK15HIP_vector_typeIfLj2EEiiiiiiS1_IjLj3EES5_S5_,"axG",@progbits,_ZL33flash_attn_stream_k_fixup_uniformILi112ELi4ELi8EEvPfPK15HIP_vector_typeIfLj2EEiiiiiiS1_IjLj3EES5_S5_,comdat
	.globl	_ZL33flash_attn_stream_k_fixup_uniformILi112ELi4ELi8EEvPfPK15HIP_vector_typeIfLj2EEiiiiiiS1_IjLj3EES5_S5_ ; -- Begin function _ZL33flash_attn_stream_k_fixup_uniformILi112ELi4ELi8EEvPfPK15HIP_vector_typeIfLj2EEiiiiiiS1_IjLj3EES5_S5_
	.p2align	8
	.type	_ZL33flash_attn_stream_k_fixup_uniformILi112ELi4ELi8EEvPfPK15HIP_vector_typeIfLj2EEiiiiiiS1_IjLj3EES5_S5_,@function
_ZL33flash_attn_stream_k_fixup_uniformILi112ELi4ELi8EEvPfPK15HIP_vector_typeIfLj2EEiiiiiiS1_IjLj3EES5_S5_: ; @_ZL33flash_attn_stream_k_fixup_uniformILi112ELi4ELi8EEvPfPK15HIP_vector_typeIfLj2EEiiiiiiS1_IjLj3EES5_S5_
; %bb.0:
	s_load_dwordx8 s[8:15], s[0:1], 0x1c
	s_load_dwordx2 s[6:7], s[0:1], 0x10
	s_load_dwordx4 s[16:19], s[0:1], 0x3c
	s_waitcnt lgkmcnt(0)
	s_mul_hi_u32 s5, s11, s2
	s_add_i32 s5, s2, s5
	s_lshr_b32 s5, s5, s12
	s_mul_i32 s11, s5, s13
	s_sub_i32 s12, s2, s11
	s_mul_hi_u32 s11, s12, s14
	s_add_i32 s11, s12, s11
	s_lshr_b32 s11, s11, s15
	s_mul_i32 s13, s11, s16
	s_sub_i32 s12, s12, s13
	;; [unrolled: 5-line block ×3, first 2 shown]
	s_lshl_b32 s12, s16, 2
	s_lshl_b32 s17, s13, 3
	s_add_i32 s12, s12, s3
	s_cmp_lt_i32 s12, s6
	s_cselect_b64 s[12:13], -1, 0
	s_add_i32 s17, s17, s4
	s_cmp_lt_i32 s17, s9
	s_cselect_b64 s[14:15], -1, 0
	s_and_b64 s[12:13], s[12:13], s[14:15]
	s_andn2_b64 vcc, exec, s[12:13]
	s_cbranch_vccnz .LBB7_6
; %bb.1:
	s_load_dwordx4 s[12:15], s[0:1], 0x0
	s_mul_i32 s0, s5, s6
	s_mul_i32 s11, s11, s9
	s_add_i32 s0, s0, s3
	s_mul_i32 s0, s0, s7
	s_add_i32 s5, s17, s11
	;; [unrolled: 2-line block ×3, first 2 shown]
	s_mulk_i32 s1, 0x1c0
	s_mulk_i32 s0, 0x70
	s_add_i32 s0, s0, s1
	v_add_u32_e32 v4, s0, v0
	s_waitcnt lgkmcnt(0)
	v_mov_b32_e32 v2, s12
	v_mov_b32_e32 v3, s13
	v_ashrrev_i32_e32 v5, 31, v4
	v_lshl_add_u64 v[2:3], v[4:5], 2, v[2:3]
	global_load_dword v5, v[2:3], off
	s_mul_i32 s5, s10, s2
	s_lshl_b32 s11, s3, 3
	s_add_i32 s9, s5, s10
	s_add_i32 s0, s11, s4
	s_lshl_b32 s1, s9, 5
	s_add_i32 s0, s0, s1
	s_sub_i32 s0, s0, 32
	s_ashr_i32 s1, s0, 31
	s_lshl_b64 s[0:1], s[0:1], 3
	s_add_u32 s0, s14, s0
	s_addc_u32 s1, s15, s1
	s_load_dword s12, s[0:1], 0x4
	s_add_i32 s6, s9, -2
	s_cmp_lt_i32 s6, s5
	s_cbranch_scc1 .LBB7_4
; %bb.2:
	s_lshl_b32 s6, s8, 7
	s_ashr_i32 s7, s6, 31
	s_lshl_b64 s[6:7], s[6:7], 2
	s_add_u32 s6, s14, s6
	s_addc_u32 s7, s15, s7
	s_add_i32 s2, s2, 1
	s_load_dword s0, s[0:1], 0x0
	s_mul_i32 s1, s10, s2
	s_lshl_b32 s2, s1, 5
	s_add_i32 s2, s4, s2
	s_mulk_i32 s3, 0x380
	s_mulk_i32 s4, 0x70
	s_lshl_b32 s8, s8, 5
	s_mulk_i32 s1, 0xe00
	s_add_i32 s3, s4, s3
	s_add_i32 s2, s2, s8
	s_add_i32 s3, s3, s1
	s_add_i32 s2, s2, s11
	v_add_u32_e32 v0, s3, v0
	s_add_i32 s9, s9, -1
	s_sub_i32 s2, s2, 64
	v_add_u32_e32 v0, 0xffffe400, v0
	s_waitcnt lgkmcnt(0)
	v_mov_b32_e32 v7, s0
	v_mov_b32_e32 v4, s12
	s_mov_b32 s4, 0x3fb8aa3b
	s_mov_b32 s8, 0xc2ce8ed0
	;; [unrolled: 1-line block ×3, first 2 shown]
	v_mov_b32_e32 v6, 0x7f800000
	s_mov_b32 s11, 0xc1a00000
.LBB7_3:                                ; =>This Inner Loop Header: Depth=1
	v_ashrrev_i32_e32 v1, 31, v0
	v_lshl_add_u64 v[8:9], v[0:1], 2, s[6:7]
	global_load_dword v9, v[8:9], off
	s_ashr_i32 s3, s2, 31
	s_lshl_b64 s[0:1], s[2:3], 3
	s_add_u32 s0, s14, s0
	s_addc_u32 s1, s15, s1
	s_load_dwordx2 s[0:1], s[0:1], 0x0
	v_max_f32_e32 v1, v7, v7
	s_add_i32 s9, s9, -1
	s_sub_i32 s2, s2, 32
	v_add_u32_e32 v0, 0xfffff200, v0
	s_waitcnt lgkmcnt(0)
	v_max_f32_e64 v10, s0, s0
	v_max_f32_e32 v1, v1, v10
	v_sub_f32_e32 v11, s0, v1
	v_sub_f32_e32 v10, v7, v1
	v_mul_f32_e32 v12, 0x3fb8aa3b, v11
	v_mov_b32_e32 v7, v1
	v_mul_f32_e32 v1, 0x3fb8aa3b, v10
	v_fma_f32 v15, v11, s4, -v12
	v_rndne_f32_e32 v16, v12
	v_fma_f32 v13, v10, s4, -v1
	v_rndne_f32_e32 v14, v1
	v_fmac_f32_e32 v15, 0x32a5705f, v11
	v_sub_f32_e32 v12, v12, v16
	v_fmac_f32_e32 v13, 0x32a5705f, v10
	v_sub_f32_e32 v1, v1, v14
	v_add_f32_e32 v12, v12, v15
	v_cvt_i32_f32_e32 v16, v16
	v_add_f32_e32 v1, v1, v13
	v_exp_f32_e32 v12, v12
	v_cvt_i32_f32_e32 v14, v14
	v_exp_f32_e32 v1, v1
	v_cmp_ngt_f32_e32 vcc, s8, v11
	v_ldexp_f32 v12, v12, v16
	v_mov_b32_e32 v8, s1
	v_ldexp_f32 v1, v1, v14
	v_cmp_ngt_f32_e64 s[0:1], s8, v10
	v_cndmask_b32_e32 v12, 0, v12, vcc
	v_cmp_nlt_f32_e32 vcc, s10, v11
	v_cndmask_b32_e64 v1, 0, v1, s[0:1]
	v_cmp_nlt_f32_e64 s[0:1], s10, v10
	v_cndmask_b32_e32 v12, v6, v12, vcc
	v_cmp_le_f32_e32 vcc, s11, v11
	v_cndmask_b32_e64 v1, v6, v1, s[0:1]
	v_cmp_le_f32_e64 s[0:1], s11, v10
	v_cndmask_b32_e32 v12, 0, v12, vcc
	s_cmp_le_i32 s9, s5
	v_cndmask_b32_e64 v10, 0, v1, s[0:1]
	s_waitcnt vmcnt(0)
	v_pk_mul_f32 v[8:9], v[8:9], v[12:13] op_sel_hi:[1,0]
	s_nop 0
	v_pk_fma_f32 v[4:5], v[4:5], v[10:11], v[8:9] op_sel_hi:[1,0,1]
	s_cbranch_scc0 .LBB7_3
	s_branch .LBB7_5
.LBB7_4:
	s_waitcnt lgkmcnt(0)
	v_mov_b32_e32 v4, s12
.LBB7_5:
	s_waitcnt vmcnt(0)
	v_div_scale_f32 v0, s[0:1], v4, v4, v5
	v_rcp_f32_e32 v1, v0
	v_div_scale_f32 v6, vcc, v5, v4, v5
	v_fma_f32 v7, -v0, v1, 1.0
	v_fmac_f32_e32 v1, v7, v1
	v_mul_f32_e32 v7, v6, v1
	v_fma_f32 v8, -v0, v7, v6
	v_fmac_f32_e32 v7, v8, v1
	v_fma_f32 v0, -v0, v7, v6
	v_div_fmas_f32 v0, v0, v1, v7
	v_div_fixup_f32 v0, v0, v4, v5
	global_store_dword v[2:3], v0, off
.LBB7_6:
	s_endpgm
	.section	.rodata,"a",@progbits
	.p2align	6, 0x0
	.amdhsa_kernel _ZL33flash_attn_stream_k_fixup_uniformILi112ELi4ELi8EEvPfPK15HIP_vector_typeIfLj2EEiiiiiiS1_IjLj3EES5_S5_
		.amdhsa_group_segment_fixed_size 0
		.amdhsa_private_segment_fixed_size 0
		.amdhsa_kernarg_size 76
		.amdhsa_user_sgpr_count 2
		.amdhsa_user_sgpr_dispatch_ptr 0
		.amdhsa_user_sgpr_queue_ptr 0
		.amdhsa_user_sgpr_kernarg_segment_ptr 1
		.amdhsa_user_sgpr_dispatch_id 0
		.amdhsa_user_sgpr_kernarg_preload_length 0
		.amdhsa_user_sgpr_kernarg_preload_offset 0
		.amdhsa_user_sgpr_private_segment_size 0
		.amdhsa_uses_dynamic_stack 0
		.amdhsa_enable_private_segment 0
		.amdhsa_system_sgpr_workgroup_id_x 1
		.amdhsa_system_sgpr_workgroup_id_y 1
		.amdhsa_system_sgpr_workgroup_id_z 1
		.amdhsa_system_sgpr_workgroup_info 0
		.amdhsa_system_vgpr_workitem_id 0
		.amdhsa_next_free_vgpr 17
		.amdhsa_next_free_sgpr 20
		.amdhsa_accum_offset 20
		.amdhsa_reserve_vcc 1
		.amdhsa_float_round_mode_32 0
		.amdhsa_float_round_mode_16_64 0
		.amdhsa_float_denorm_mode_32 3
		.amdhsa_float_denorm_mode_16_64 3
		.amdhsa_dx10_clamp 1
		.amdhsa_ieee_mode 1
		.amdhsa_fp16_overflow 0
		.amdhsa_tg_split 0
		.amdhsa_exception_fp_ieee_invalid_op 0
		.amdhsa_exception_fp_denorm_src 0
		.amdhsa_exception_fp_ieee_div_zero 0
		.amdhsa_exception_fp_ieee_overflow 0
		.amdhsa_exception_fp_ieee_underflow 0
		.amdhsa_exception_fp_ieee_inexact 0
		.amdhsa_exception_int_div_zero 0
	.end_amdhsa_kernel
	.section	.text._ZL33flash_attn_stream_k_fixup_uniformILi112ELi4ELi8EEvPfPK15HIP_vector_typeIfLj2EEiiiiiiS1_IjLj3EES5_S5_,"axG",@progbits,_ZL33flash_attn_stream_k_fixup_uniformILi112ELi4ELi8EEvPfPK15HIP_vector_typeIfLj2EEiiiiiiS1_IjLj3EES5_S5_,comdat
.Lfunc_end7:
	.size	_ZL33flash_attn_stream_k_fixup_uniformILi112ELi4ELi8EEvPfPK15HIP_vector_typeIfLj2EEiiiiiiS1_IjLj3EES5_S5_, .Lfunc_end7-_ZL33flash_attn_stream_k_fixup_uniformILi112ELi4ELi8EEvPfPK15HIP_vector_typeIfLj2EEiiiiiiS1_IjLj3EES5_S5_
                                        ; -- End function
	.set _ZL33flash_attn_stream_k_fixup_uniformILi112ELi4ELi8EEvPfPK15HIP_vector_typeIfLj2EEiiiiiiS1_IjLj3EES5_S5_.num_vgpr, 17
	.set _ZL33flash_attn_stream_k_fixup_uniformILi112ELi4ELi8EEvPfPK15HIP_vector_typeIfLj2EEiiiiiiS1_IjLj3EES5_S5_.num_agpr, 0
	.set _ZL33flash_attn_stream_k_fixup_uniformILi112ELi4ELi8EEvPfPK15HIP_vector_typeIfLj2EEiiiiiiS1_IjLj3EES5_S5_.numbered_sgpr, 20
	.set _ZL33flash_attn_stream_k_fixup_uniformILi112ELi4ELi8EEvPfPK15HIP_vector_typeIfLj2EEiiiiiiS1_IjLj3EES5_S5_.num_named_barrier, 0
	.set _ZL33flash_attn_stream_k_fixup_uniformILi112ELi4ELi8EEvPfPK15HIP_vector_typeIfLj2EEiiiiiiS1_IjLj3EES5_S5_.private_seg_size, 0
	.set _ZL33flash_attn_stream_k_fixup_uniformILi112ELi4ELi8EEvPfPK15HIP_vector_typeIfLj2EEiiiiiiS1_IjLj3EES5_S5_.uses_vcc, 1
	.set _ZL33flash_attn_stream_k_fixup_uniformILi112ELi4ELi8EEvPfPK15HIP_vector_typeIfLj2EEiiiiiiS1_IjLj3EES5_S5_.uses_flat_scratch, 0
	.set _ZL33flash_attn_stream_k_fixup_uniformILi112ELi4ELi8EEvPfPK15HIP_vector_typeIfLj2EEiiiiiiS1_IjLj3EES5_S5_.has_dyn_sized_stack, 0
	.set _ZL33flash_attn_stream_k_fixup_uniformILi112ELi4ELi8EEvPfPK15HIP_vector_typeIfLj2EEiiiiiiS1_IjLj3EES5_S5_.has_recursion, 0
	.set _ZL33flash_attn_stream_k_fixup_uniformILi112ELi4ELi8EEvPfPK15HIP_vector_typeIfLj2EEiiiiiiS1_IjLj3EES5_S5_.has_indirect_call, 0
	.section	.AMDGPU.csdata,"",@progbits
; Kernel info:
; codeLenInByte = 832
; TotalNumSgprs: 26
; NumVgprs: 17
; NumAgprs: 0
; TotalNumVgprs: 17
; ScratchSize: 0
; MemoryBound: 0
; FloatMode: 240
; IeeeMode: 1
; LDSByteSize: 0 bytes/workgroup (compile time only)
; SGPRBlocks: 3
; VGPRBlocks: 2
; NumSGPRsForWavesPerEU: 26
; NumVGPRsForWavesPerEU: 17
; AccumOffset: 20
; Occupancy: 8
; WaveLimiterHint : 0
; COMPUTE_PGM_RSRC2:SCRATCH_EN: 0
; COMPUTE_PGM_RSRC2:USER_SGPR: 2
; COMPUTE_PGM_RSRC2:TRAP_HANDLER: 0
; COMPUTE_PGM_RSRC2:TGID_X_EN: 1
; COMPUTE_PGM_RSRC2:TGID_Y_EN: 1
; COMPUTE_PGM_RSRC2:TGID_Z_EN: 1
; COMPUTE_PGM_RSRC2:TIDIG_COMP_CNT: 0
; COMPUTE_PGM_RSRC3_GFX90A:ACCUM_OFFSET: 4
; COMPUTE_PGM_RSRC3_GFX90A:TG_SPLIT: 0
	.section	.text._ZL33flash_attn_stream_k_fixup_generalILi112ELi4ELi8EEvPfPK15HIP_vector_typeIfLj2EEiiiiS1_IjLj3EES5_S5_S5_,"axG",@progbits,_ZL33flash_attn_stream_k_fixup_generalILi112ELi4ELi8EEvPfPK15HIP_vector_typeIfLj2EEiiiiS1_IjLj3EES5_S5_S5_,comdat
	.globl	_ZL33flash_attn_stream_k_fixup_generalILi112ELi4ELi8EEvPfPK15HIP_vector_typeIfLj2EEiiiiS1_IjLj3EES5_S5_S5_ ; -- Begin function _ZL33flash_attn_stream_k_fixup_generalILi112ELi4ELi8EEvPfPK15HIP_vector_typeIfLj2EEiiiiS1_IjLj3EES5_S5_S5_
	.p2align	8
	.type	_ZL33flash_attn_stream_k_fixup_generalILi112ELi4ELi8EEvPfPK15HIP_vector_typeIfLj2EEiiiiS1_IjLj3EES5_S5_S5_,@function
_ZL33flash_attn_stream_k_fixup_generalILi112ELi4ELi8EEvPfPK15HIP_vector_typeIfLj2EEiiiiS1_IjLj3EES5_S5_S5_: ; @_ZL33flash_attn_stream_k_fixup_generalILi112ELi4ELi8EEvPfPK15HIP_vector_typeIfLj2EEiiiiS1_IjLj3EES5_S5_S5_
; %bb.0:
	s_load_dwordx4 s[8:11], s[0:1], 0x10
	s_load_dword s22, s[0:1], 0x50
	s_mov_b32 s12, 0
	s_waitcnt lgkmcnt(0)
	s_mul_hi_i32 s13, s11, s2
	s_cmp_lg_u64 s[12:13], 0
	s_mul_i32 s5, s11, s2
	s_cbranch_scc0 .LBB8_20
; %bb.1:
	s_add_u32 s6, s22, 0
	s_addc_u32 s7, 0, 0
	s_xor_b64 s[6:7], s[6:7], 0
	v_cvt_f32_u32_e32 v1, s6
	v_cvt_f32_u32_e32 v2, s7
	s_sub_u32 s12, 0, s6
	s_subb_u32 s18, 0, s7
	v_fmamk_f32 v1, v2, 0x4f800000, v1
	v_rcp_f32_e32 v1, v1
	s_nop 0
	v_mul_f32_e32 v1, 0x5f7ffffc, v1
	v_mul_f32_e32 v2, 0x2f800000, v1
	v_trunc_f32_e32 v2, v2
	v_fmamk_f32 v1, v2, 0xcf800000, v1
	v_cvt_u32_f32_e32 v2, v2
	v_cvt_u32_f32_e32 v1, v1
	v_readfirstlane_b32 s19, v2
	v_readfirstlane_b32 s14, v1
	s_mul_i32 s15, s12, s19
	s_mul_hi_u32 s21, s12, s14
	s_mul_i32 s20, s18, s14
	s_add_i32 s15, s21, s15
	s_add_i32 s15, s15, s20
	s_mul_i32 s23, s12, s14
	s_mul_i32 s21, s14, s15
	s_mul_hi_u32 s24, s14, s23
	s_mul_hi_u32 s20, s14, s15
	s_add_u32 s21, s24, s21
	s_addc_u32 s20, 0, s20
	s_mul_hi_u32 s25, s19, s23
	s_mul_i32 s23, s19, s23
	s_add_u32 s21, s21, s23
	s_mul_hi_u32 s24, s19, s15
	s_addc_u32 s20, s20, s25
	s_addc_u32 s21, s24, 0
	s_mul_i32 s15, s19, s15
	s_add_u32 s15, s20, s15
	s_addc_u32 s20, 0, s21
	s_add_u32 s21, s14, s15
	s_cselect_b64 s[14:15], -1, 0
	s_cmp_lg_u64 s[14:15], 0
	s_addc_u32 s19, s19, s20
	s_mul_i32 s14, s12, s19
	s_mul_hi_u32 s15, s12, s21
	s_add_i32 s14, s15, s14
	s_mul_i32 s18, s18, s21
	s_add_i32 s14, s14, s18
	s_mul_i32 s12, s12, s21
	s_mul_hi_u32 s18, s19, s12
	s_mul_i32 s20, s19, s12
	s_mul_i32 s24, s21, s14
	s_mul_hi_u32 s12, s21, s12
	s_mul_hi_u32 s23, s21, s14
	s_add_u32 s12, s12, s24
	s_addc_u32 s23, 0, s23
	s_add_u32 s12, s12, s20
	s_mul_hi_u32 s15, s19, s14
	s_addc_u32 s12, s23, s18
	s_addc_u32 s15, s15, 0
	s_mul_i32 s14, s19, s14
	s_add_u32 s12, s12, s14
	s_addc_u32 s18, 0, s15
	s_add_u32 s20, s21, s12
	s_cselect_b64 s[14:15], -1, 0
	s_cmp_lg_u64 s[14:15], 0
	s_addc_u32 s18, s19, s18
	s_ashr_i32 s14, s13, 31
	s_add_u32 s12, s5, s14
	s_mov_b32 s15, s14
	s_addc_u32 s13, s13, s14
	s_xor_b64 s[12:13], s[12:13], s[14:15]
	s_mul_i32 s21, s12, s18
	s_mul_hi_u32 s23, s12, s20
	s_mul_hi_u32 s19, s12, s18
	s_add_u32 s21, s23, s21
	s_addc_u32 s19, 0, s19
	s_mul_hi_u32 s24, s13, s20
	s_mul_i32 s20, s13, s20
	s_add_u32 s20, s21, s20
	s_mul_hi_u32 s23, s13, s18
	s_addc_u32 s19, s19, s24
	s_addc_u32 s20, s23, 0
	s_mul_i32 s18, s13, s18
	s_add_u32 s23, s19, s18
	s_addc_u32 s24, 0, s20
	s_mul_i32 s18, s6, s24
	s_mul_hi_u32 s19, s6, s23
	s_add_i32 s18, s19, s18
	s_mul_i32 s19, s7, s23
	s_add_i32 s25, s18, s19
	s_sub_i32 s20, s13, s25
	s_mul_i32 s18, s6, s23
	s_sub_u32 s12, s12, s18
	s_cselect_b64 s[18:19], -1, 0
	s_cmp_lg_u64 s[18:19], 0
	s_subb_u32 s26, s20, s7
	s_sub_u32 s27, s12, s6
	s_cselect_b64 s[20:21], -1, 0
	s_cmp_lg_u64 s[20:21], 0
	s_subb_u32 s20, s26, 0
	s_cmp_ge_u32 s20, s7
	s_cselect_b32 s21, -1, 0
	s_cmp_ge_u32 s27, s6
	s_cselect_b32 s26, -1, 0
	s_cmp_eq_u32 s20, s7
	s_cselect_b32 s20, s26, s21
	s_add_u32 s21, s23, 1
	s_addc_u32 s26, s24, 0
	s_add_u32 s27, s23, 2
	s_addc_u32 s28, s24, 0
	s_cmp_lg_u32 s20, 0
	s_cselect_b32 s20, s27, s21
	s_cselect_b32 s21, s28, s26
	s_cmp_lg_u64 s[18:19], 0
	s_subb_u32 s13, s13, s25
	s_cmp_ge_u32 s13, s7
	s_cselect_b32 s18, -1, 0
	s_cmp_ge_u32 s12, s6
	s_cselect_b32 s6, -1, 0
	s_cmp_eq_u32 s13, s7
	s_cselect_b32 s6, s6, s18
	s_cmp_lg_u32 s6, 0
	s_cselect_b32 s7, s21, s24
	s_cselect_b32 s6, s20, s23
	s_xor_b64 s[12:13], s[14:15], 0
	s_xor_b64 s[6:7], s[6:7], s[12:13]
	s_sub_u32 s6, s6, s12
	s_load_dwordx4 s[12:15], s[0:1], 0x44
	s_cbranch_execnz .LBB8_3
.LBB8_2:
	v_cvt_f32_u32_e32 v1, s22
	s_sub_i32 s6, 0, s22
	v_rcp_iflag_f32_e32 v1, v1
	s_nop 0
	v_mul_f32_e32 v1, 0x4f7ffffe, v1
	v_cvt_u32_f32_e32 v1, v1
	s_nop 0
	v_readfirstlane_b32 s7, v1
	s_mul_i32 s6, s6, s7
	s_mul_hi_u32 s6, s7, s6
	s_add_i32 s7, s7, s6
	s_mul_hi_u32 s6, s5, s7
	s_waitcnt lgkmcnt(0)
	s_mul_i32 s15, s6, s22
	s_sub_i32 s5, s5, s15
	s_add_i32 s7, s6, 1
	s_sub_i32 s15, s5, s22
	s_cmp_ge_u32 s5, s22
	s_cselect_b32 s6, s7, s6
	s_cselect_b32 s5, s15, s5
	s_add_i32 s7, s6, 1
	s_cmp_ge_u32 s5, s22
	s_cselect_b32 s6, s7, s6
.LBB8_3:
	s_add_i32 s5, s2, 1
	s_mul_hi_i32 s21, s11, s5
	s_mov_b32 s20, 0
	s_cmp_lg_u64 s[20:21], 0
	s_mul_i32 s5, s11, s5
	s_cbranch_scc0 .LBB8_21
; %bb.4:
	s_add_u32 s16, s22, 0
	s_addc_u32 s17, 0, 0
	s_xor_b64 s[18:19], s[16:17], 0
	v_cvt_f32_u32_e32 v1, s18
	v_cvt_f32_u32_e32 v2, s19
	s_sub_u32 s7, 0, s18
	s_waitcnt lgkmcnt(0)
	s_subb_u32 s15, 0, s19
	v_fmamk_f32 v1, v2, 0x4f800000, v1
	v_rcp_f32_e32 v1, v1
	s_nop 0
	v_mul_f32_e32 v1, 0x5f7ffffc, v1
	v_mul_f32_e32 v2, 0x2f800000, v1
	v_trunc_f32_e32 v2, v2
	v_fmamk_f32 v1, v2, 0xcf800000, v1
	v_cvt_u32_f32_e32 v2, v2
	v_cvt_u32_f32_e32 v1, v1
	v_readfirstlane_b32 s20, v2
	v_readfirstlane_b32 s23, v1
	s_mul_i32 s24, s7, s20
	s_mul_hi_u32 s26, s7, s23
	s_mul_i32 s25, s15, s23
	s_add_i32 s24, s26, s24
	s_add_i32 s24, s24, s25
	s_mul_i32 s27, s7, s23
	s_mul_i32 s26, s23, s24
	s_mul_hi_u32 s28, s23, s27
	s_mul_hi_u32 s25, s23, s24
	s_add_u32 s26, s28, s26
	s_addc_u32 s25, 0, s25
	s_mul_hi_u32 s29, s20, s27
	s_mul_i32 s27, s20, s27
	s_add_u32 s26, s26, s27
	s_mul_hi_u32 s28, s20, s24
	s_addc_u32 s25, s25, s29
	s_addc_u32 s26, s28, 0
	s_mul_i32 s24, s20, s24
	s_add_u32 s24, s25, s24
	s_addc_u32 s26, 0, s26
	s_add_u32 s23, s23, s24
	s_cselect_b64 s[24:25], -1, 0
	s_cmp_lg_u64 s[24:25], 0
	s_addc_u32 s20, s20, s26
	s_mul_i32 s24, s7, s20
	s_mul_hi_u32 s25, s7, s23
	s_add_i32 s24, s25, s24
	s_mul_i32 s15, s15, s23
	s_add_i32 s24, s24, s15
	s_mul_i32 s7, s7, s23
	s_mul_hi_u32 s25, s20, s7
	s_mul_i32 s26, s20, s7
	s_mul_i32 s28, s23, s24
	s_mul_hi_u32 s7, s23, s7
	s_mul_hi_u32 s27, s23, s24
	s_add_u32 s7, s7, s28
	s_addc_u32 s27, 0, s27
	s_add_u32 s7, s7, s26
	s_mul_hi_u32 s15, s20, s24
	s_addc_u32 s7, s27, s25
	s_addc_u32 s15, s15, 0
	s_mul_i32 s24, s20, s24
	s_add_u32 s7, s7, s24
	s_addc_u32 s15, 0, s15
	s_add_u32 s7, s23, s7
	s_cselect_b64 s[24:25], -1, 0
	s_cmp_lg_u64 s[24:25], 0
	s_addc_u32 s15, s20, s15
	s_ashr_i32 s24, s21, 31
	s_add_u32 s20, s5, s24
	s_mov_b32 s25, s24
	s_addc_u32 s21, s21, s24
	s_xor_b64 s[20:21], s[20:21], s[24:25]
	s_mul_i32 s26, s20, s15
	s_mul_hi_u32 s27, s20, s7
	s_mul_hi_u32 s23, s20, s15
	s_add_u32 s26, s27, s26
	s_addc_u32 s23, 0, s23
	s_mul_hi_u32 s28, s21, s7
	s_mul_i32 s7, s21, s7
	s_add_u32 s7, s26, s7
	s_mul_hi_u32 s27, s21, s15
	s_addc_u32 s7, s23, s28
	s_addc_u32 s23, s27, 0
	s_mul_i32 s15, s21, s15
	s_add_u32 s7, s7, s15
	s_addc_u32 s15, 0, s23
	s_mul_i32 s23, s18, s15
	s_mul_hi_u32 s26, s18, s7
	s_add_i32 s23, s26, s23
	s_mul_i32 s26, s19, s7
	s_add_i32 s23, s23, s26
	s_sub_i32 s28, s21, s23
	s_mul_i32 s26, s18, s7
	s_sub_u32 s20, s20, s26
	s_cselect_b64 s[26:27], -1, 0
	s_cmp_lg_u64 s[26:27], 0
	s_subb_u32 s30, s28, s19
	s_sub_u32 s31, s20, s18
	s_cselect_b64 s[28:29], -1, 0
	s_cmp_lg_u64 s[28:29], 0
	s_subb_u32 s28, s30, 0
	s_cmp_ge_u32 s28, s19
	s_cselect_b32 s29, -1, 0
	s_cmp_ge_u32 s31, s18
	s_cselect_b32 s30, -1, 0
	s_cmp_eq_u32 s28, s19
	s_cselect_b32 s28, s30, s29
	s_add_u32 s29, s7, 1
	s_addc_u32 s30, s15, 0
	s_add_u32 s31, s7, 2
	s_addc_u32 s33, s15, 0
	s_cmp_lg_u32 s28, 0
	s_cselect_b32 s28, s31, s29
	s_cselect_b32 s29, s33, s30
	s_cmp_lg_u64 s[26:27], 0
	s_subb_u32 s21, s21, s23
	s_cmp_ge_u32 s21, s19
	s_cselect_b32 s23, -1, 0
	s_cmp_ge_u32 s20, s18
	s_cselect_b32 s18, -1, 0
	s_cmp_eq_u32 s21, s19
	s_cselect_b32 s18, s18, s23
	s_cmp_lg_u32 s18, 0
	s_cselect_b32 s19, s29, s15
	s_cselect_b32 s18, s28, s7
	s_xor_b64 s[20:21], s[24:25], 0
	s_xor_b64 s[18:19], s[18:19], s[20:21]
	s_sub_u32 s18, s18, s20
	s_cbranch_execnz .LBB8_6
.LBB8_5:
	v_cvt_f32_u32_e32 v1, s22
	s_sub_i32 s7, 0, s22
	v_rcp_iflag_f32_e32 v1, v1
	s_nop 0
	v_mul_f32_e32 v1, 0x4f7ffffe, v1
	v_cvt_u32_f32_e32 v1, v1
	s_waitcnt lgkmcnt(0)
	v_readfirstlane_b32 s15, v1
	s_mul_i32 s7, s7, s15
	s_mul_hi_u32 s7, s15, s7
	s_add_i32 s15, s15, s7
	s_mul_hi_u32 s7, s5, s15
	s_mul_i32 s16, s7, s22
	s_sub_i32 s5, s5, s16
	s_add_i32 s15, s7, 1
	s_sub_i32 s16, s5, s22
	s_cmp_ge_u32 s5, s22
	s_cselect_b32 s7, s15, s7
	s_cselect_b32 s5, s16, s5
	s_add_i32 s15, s7, 1
	s_cmp_ge_u32 s5, s22
	s_cselect_b32 s18, s15, s7
.LBB8_6:
	s_cmp_eq_u32 s6, s18
	s_waitcnt lgkmcnt(0)
	s_mul_hi_u32 s5, s6, s12
	s_cselect_b64 s[16:17], -1, 0
	s_add_i32 s5, s5, s6
	s_lshr_b32 s7, s5, s13
	s_mul_i32 s5, s7, s14
	s_cmp_eq_u32 s5, s6
	s_mul_hi_u32 s5, s18, s12
	s_cselect_b64 s[20:21], -1, 0
	s_add_i32 s5, s5, s18
	s_lshr_b32 s5, s5, s13
	s_cmp_eq_u32 s7, s5
	s_mul_i32 s5, s5, s14
	s_cselect_b64 s[24:25], -1, 0
	s_cmp_lg_u32 s5, s18
	s_cselect_b64 s[18:19], -1, 0
	s_and_b64 s[18:19], s[24:25], s[18:19]
	s_or_b64 s[16:17], s[16:17], s[20:21]
	s_or_b64 s[16:17], s[16:17], s[18:19]
	s_and_b64 vcc, exec, s[16:17]
	s_cbranch_vccnz .LBB8_23
; %bb.7:
	s_load_dwordx8 s[24:31], s[0:1], 0x20
	s_load_dword s5, s[0:1], 0x40
	s_waitcnt lgkmcnt(0)
	s_mul_hi_u32 s15, s6, s24
	s_add_i32 s15, s15, s6
	s_lshr_b32 s20, s15, s25
	s_mul_i32 s15, s20, s26
	s_sub_i32 s15, s6, s15
	s_mul_hi_u32 s16, s15, s27
	s_add_i32 s16, s15, s16
	s_lshr_b32 s21, s16, s28
	s_mul_i32 s16, s21, s29
	s_sub_i32 s15, s15, s16
	;; [unrolled: 5-line block ×3, first 2 shown]
	s_mul_hi_u32 s15, s5, s12
	s_add_i32 s5, s5, s15
	s_lshr_b32 s23, s5, s13
	s_lshl_b32 s5, s23, 2
	s_lshl_b32 s24, s16, 3
	s_add_i32 s5, s5, s3
	s_cmp_lt_i32 s5, s8
	s_cselect_b64 s[16:17], -1, 0
	s_add_i32 s24, s24, s4
	s_cmp_lt_i32 s24, s10
	s_cselect_b64 s[18:19], -1, 0
	s_and_b64 s[16:17], s[16:17], s[18:19]
	s_andn2_b64 vcc, exec, s[16:17]
	s_cbranch_vccnz .LBB8_23
; %bb.8:
	s_load_dwordx4 s[16:19], s[0:1], 0x0
	s_mov_b32 s0, 0
	s_lshl_b32 s15, s3, 3
	s_lshl_b32 s26, s22, 7
	s_mov_b32 s27, s0
	s_add_i32 s15, s15, s4
	s_lshl_b64 s[4:5], s[26:27], 2
	s_waitcnt lgkmcnt(0)
	s_add_u32 s4, s18, s4
	s_mul_i32 s1, s20, s8
	s_addc_u32 s5, s19, s5
	s_mul_i32 s21, s21, s10
	s_add_i32 s1, s1, s3
	s_mul_i32 s1, s1, s9
	s_add_i32 s3, s24, s21
	s_mul_i32 s8, s9, s23
	s_add_i32 s1, s3, s1
	s_mulk_i32 s8, 0x1c0
	s_mulk_i32 s1, 0x70
	s_add_i32 s8, s8, s1
	v_add_u32_e32 v4, s8, v0
	v_mov_b32_e32 v2, s16
	v_mov_b32_e32 v3, s17
	v_ashrrev_i32_e32 v5, 31, v4
	v_lshl_add_u64 v[2:3], v[4:5], 2, v[2:3]
	global_load_dword v1, v[2:3], off
	v_cvt_f32_u32_e32 v4, s22
	s_lshl_b32 s1, s2, 5
	s_add_i32 s8, s15, s1
	s_ashr_i32 s9, s8, 31
	s_lshl_b64 s[8:9], s[8:9], 3
	v_rcp_iflag_f32_e32 v4, v4
	s_add_u32 s8, s18, s8
	s_addc_u32 s9, s19, s9
	s_load_dwordx2 s[8:9], s[8:9], 0x0
	v_mul_f32_e32 v4, 0x4f7ffffe, v4
	v_cvt_u32_f32_e32 v7, v4
	s_mul_i32 s1, s15, 0x70
	s_add_i32 s21, s2, -1
	v_add_u32_e32 v6, s1, v0
	s_waitcnt lgkmcnt(0)
	v_mov_b32_e32 v0, s9
	v_mov_b32_e32 v9, s8
	s_mov_b32 s10, 0x3fb8aa3b
	s_mov_b32 s20, 0xc2ce8ed0
	;; [unrolled: 1-line block ×4, first 2 shown]
	v_mov_b32_e32 v8, 0x7f800000
	s_mul_hi_i32 s1, s21, s11
	s_cmp_lg_u64 s[0:1], 0
	s_mul_i32 s16, s21, s11
	s_cbranch_scc0 .LBB8_19
.LBB8_9:
	s_add_u32 s2, s22, 0
	s_addc_u32 s3, 0, 0
	s_xor_b64 s[2:3], s[2:3], 0
	v_cvt_f32_u32_e32 v4, s2
	v_cvt_f32_u32_e32 v5, s3
	s_sub_u32 s17, 0, s2
	s_subb_u32 s25, 0, s3
	v_fmac_f32_e32 v4, 0x4f800000, v5
	v_rcp_f32_e32 v4, v4
	s_nop 0
	v_mul_f32_e32 v4, 0x5f7ffffc, v4
	v_mul_f32_e32 v5, 0x2f800000, v4
	v_trunc_f32_e32 v5, v5
	v_fmac_f32_e32 v4, 0xcf800000, v5
	v_cvt_u32_f32_e32 v5, v5
	v_cvt_u32_f32_e32 v4, v4
	v_readfirstlane_b32 s26, v5
	v_readfirstlane_b32 s8, v4
	s_mul_i32 s9, s17, s26
	s_mul_hi_u32 s28, s17, s8
	s_mul_i32 s27, s25, s8
	s_add_i32 s9, s28, s9
	s_mul_i32 s29, s17, s8
	s_add_i32 s9, s9, s27
	s_mul_i32 s28, s8, s9
	s_mul_hi_u32 s30, s8, s29
	s_mul_hi_u32 s27, s8, s9
	s_add_u32 s28, s30, s28
	s_addc_u32 s27, 0, s27
	s_mul_hi_u32 s31, s26, s29
	s_mul_i32 s29, s26, s29
	s_add_u32 s28, s28, s29
	s_mul_hi_u32 s30, s26, s9
	s_addc_u32 s27, s27, s31
	s_addc_u32 s28, s30, 0
	s_mul_i32 s9, s26, s9
	s_add_u32 s9, s27, s9
	s_addc_u32 s27, 0, s28
	s_add_u32 s28, s8, s9
	s_cselect_b64 s[8:9], -1, 0
	s_cmp_lg_u64 s[8:9], 0
	s_addc_u32 s26, s26, s27
	s_mul_i32 s8, s17, s26
	s_mul_hi_u32 s9, s17, s28
	s_add_i32 s8, s9, s8
	s_mul_i32 s25, s25, s28
	s_add_i32 s8, s8, s25
	s_mul_i32 s17, s17, s28
	s_mul_hi_u32 s25, s26, s17
	s_mul_i32 s27, s26, s17
	s_mul_i32 s30, s28, s8
	s_mul_hi_u32 s17, s28, s17
	s_mul_hi_u32 s29, s28, s8
	s_add_u32 s17, s17, s30
	s_addc_u32 s29, 0, s29
	s_add_u32 s17, s17, s27
	s_mul_hi_u32 s9, s26, s8
	s_addc_u32 s17, s29, s25
	s_addc_u32 s9, s9, 0
	s_mul_i32 s8, s26, s8
	s_add_u32 s8, s17, s8
	s_addc_u32 s17, 0, s9
	s_add_u32 s25, s28, s8
	s_cselect_b64 s[8:9], -1, 0
	s_cmp_lg_u64 s[8:9], 0
	s_addc_u32 s17, s26, s17
	s_ashr_i32 s8, s1, 31
	s_add_u32 s26, s16, s8
	s_mov_b32 s9, s8
	s_addc_u32 s27, s1, s8
	s_xor_b64 s[26:27], s[26:27], s[8:9]
	s_mul_i32 s28, s26, s17
	s_mul_hi_u32 s29, s26, s25
	s_mul_hi_u32 s1, s26, s17
	s_add_u32 s28, s29, s28
	s_addc_u32 s1, 0, s1
	s_mul_hi_u32 s30, s27, s25
	s_mul_i32 s25, s27, s25
	s_add_u32 s25, s28, s25
	s_mul_hi_u32 s29, s27, s17
	s_addc_u32 s1, s1, s30
	s_addc_u32 s25, s29, 0
	s_mul_i32 s17, s27, s17
	s_add_u32 s1, s1, s17
	s_addc_u32 s17, 0, s25
	s_mul_i32 s25, s2, s17
	s_mul_hi_u32 s28, s2, s1
	s_add_i32 s25, s28, s25
	s_mul_i32 s28, s3, s1
	s_add_i32 s25, s25, s28
	s_sub_i32 s30, s27, s25
	s_mul_i32 s28, s2, s1
	s_sub_u32 s26, s26, s28
	s_cselect_b64 s[28:29], -1, 0
	s_cmp_lg_u64 s[28:29], 0
	s_subb_u32 s33, s30, s3
	s_sub_u32 s34, s26, s2
	s_cselect_b64 s[30:31], -1, 0
	s_cmp_lg_u64 s[30:31], 0
	s_subb_u32 s30, s33, 0
	s_cmp_ge_u32 s30, s3
	s_cselect_b32 s31, -1, 0
	s_cmp_ge_u32 s34, s2
	s_cselect_b32 s33, -1, 0
	s_cmp_eq_u32 s30, s3
	s_cselect_b32 s30, s33, s31
	s_add_u32 s31, s1, 1
	s_addc_u32 s33, s17, 0
	s_add_u32 s34, s1, 2
	s_addc_u32 s35, s17, 0
	s_cmp_lg_u32 s30, 0
	s_cselect_b32 s30, s34, s31
	s_cselect_b32 s31, s35, s33
	s_cmp_lg_u64 s[28:29], 0
	s_subb_u32 s25, s27, s25
	s_cmp_ge_u32 s25, s3
	s_cselect_b32 s27, -1, 0
	s_cmp_ge_u32 s26, s2
	s_cselect_b32 s2, -1, 0
	s_cmp_eq_u32 s25, s3
	s_cselect_b32 s2, s2, s27
	s_cmp_lg_u32 s2, 0
	s_cselect_b32 s3, s31, s17
	s_cselect_b32 s2, s30, s1
	s_xor_b64 s[8:9], s[8:9], 0
	s_xor_b64 s[2:3], s[2:3], s[8:9]
	s_sub_u32 s8, s2, s8
	s_cbranch_execnz .LBB8_11
.LBB8_10:
	s_sub_i32 s1, 0, s22
	v_readfirstlane_b32 s2, v7
	s_mul_i32 s1, s1, s2
	s_mul_hi_u32 s1, s2, s1
	s_add_i32 s2, s2, s1
	s_mul_hi_u32 s1, s16, s2
	s_mul_i32 s3, s1, s22
	s_sub_i32 s3, s16, s3
	s_add_i32 s2, s1, 1
	s_sub_i32 s8, s3, s22
	s_cmp_ge_u32 s3, s22
	s_cselect_b32 s1, s2, s1
	s_cselect_b32 s3, s8, s3
	s_add_i32 s2, s1, 1
	s_cmp_ge_u32 s3, s22
	s_cselect_b32 s8, s2, s1
.LBB8_11:
	s_cmp_lg_u32 s6, s8
	s_cbranch_scc0 .LBB8_15
; %bb.12:
	s_add_i32 s1, s21, s22
	s_lshl_b32 s1, s1, 5
	s_add_i32 s2, s1, s15
	s_mov_b32 s3, s0
	s_lshl_b64 s[2:3], s[2:3], 3
	s_add_u32 s16, s18, s2
	s_mul_hi_u32 s1, s8, s12
	s_addc_u32 s17, s19, s3
	s_add_i32 s1, s1, s8
	s_lshr_b32 s1, s1, s13
	s_mul_i32 s2, s1, s14
	s_cmp_eq_u32 s2, s8
	s_cselect_b64 s[2:3], -1, 0
	s_cmp_lt_u32 s1, s7
	s_cselect_b64 s[26:27], -1, 0
	s_or_b64 s[26:27], s[26:27], s[2:3]
	s_mov_b64 s[2:3], -1
	s_and_b64 vcc, exec, s[26:27]
	s_mov_b32 s1, s21
	s_mov_b32 s25, s6
	s_cbranch_vccnz .LBB8_14
; %bb.13:
	s_add_i32 s1, s21, -1
	s_mov_b64 s[2:3], 0
	s_mov_b32 s25, s8
.LBB8_14:
	s_mul_i32 s8, s21, 0xe00
	v_add_u32_e32 v4, s8, v6
	v_ashrrev_i32_e32 v5, 31, v4
	v_lshl_add_u64 v[4:5], v[4:5], 2, s[4:5]
	global_load_dword v5, v[4:5], off
	s_load_dwordx2 s[8:9], s[16:17], 0x0
	v_max_f32_e32 v4, v9, v9
	s_waitcnt lgkmcnt(0)
	v_max_f32_e64 v10, s8, s8
	v_max_f32_e32 v10, v4, v10
	v_sub_f32_e32 v11, v9, v10
	v_sub_f32_e32 v13, s8, v10
	v_mul_f32_e32 v4, 0x3fb8aa3b, v11
	v_mul_f32_e32 v12, 0x3fb8aa3b, v13
	v_fma_f32 v14, v11, s10, -v4
	v_rndne_f32_e32 v15, v4
	v_fma_f32 v16, v13, s10, -v12
	v_rndne_f32_e32 v17, v12
	v_fmac_f32_e32 v14, 0x32a5705f, v11
	v_sub_f32_e32 v4, v4, v15
	v_fmac_f32_e32 v16, 0x32a5705f, v13
	v_sub_f32_e32 v12, v12, v17
	v_add_f32_e32 v4, v4, v14
	v_cvt_i32_f32_e32 v15, v15
	v_add_f32_e32 v12, v12, v16
	v_exp_f32_e32 v14, v4
	v_cvt_i32_f32_e32 v17, v17
	v_exp_f32_e32 v12, v12
	v_cmp_ngt_f32_e32 vcc, s20, v11
	v_ldexp_f32 v14, v14, v15
	v_mov_b32_e32 v4, s9
	v_ldexp_f32 v12, v12, v17
	v_cndmask_b32_e32 v14, 0, v14, vcc
	v_cmp_ngt_f32_e32 vcc, s20, v13
	s_nop 1
	v_cndmask_b32_e32 v12, 0, v12, vcc
	v_cmp_nlt_f32_e32 vcc, s23, v11
	s_nop 1
	v_cndmask_b32_e32 v14, v8, v14, vcc
	v_cmp_nlt_f32_e32 vcc, s23, v13
	s_nop 1
	v_cndmask_b32_e32 v15, v8, v12, vcc
	v_cmp_le_f32_e32 vcc, s24, v11
	s_nop 1
	v_cndmask_b32_e32 v12, 0, v14, vcc
	v_cmp_le_f32_e32 vcc, s24, v13
	s_nop 1
	v_cndmask_b32_e32 v14, 0, v15, vcc
	s_waitcnt vmcnt(0)
	v_pk_mul_f32 v[4:5], v[4:5], v[14:15] op_sel_hi:[1,0]
	s_nop 0
	v_pk_fma_f32 v[4:5], v[0:1], v[12:13], v[4:5] op_sel_hi:[1,0,1]
	s_cbranch_execz .LBB8_16
	s_branch .LBB8_17
.LBB8_15:
                                        ; implicit-def: $vgpr4_vgpr5
                                        ; implicit-def: $sgpr2_sgpr3
                                        ; implicit-def: $vgpr10
                                        ; implicit-def: $sgpr1
                                        ; implicit-def: $sgpr25
.LBB8_16:
	s_add_i32 s1, s21, -1
	s_mov_b64 s[2:3], 0
	s_mov_b32 s25, s6
	v_mov_b32_e32 v10, v9
	s_waitcnt vmcnt(0)
	v_mov_b64_e32 v[4:5], v[0:1]
.LBB8_17:
	s_andn2_b64 vcc, exec, s[2:3]
	s_cbranch_vccz .LBB8_22
; %bb.18:
	s_mov_b32 s6, s25
	s_mov_b32 s21, s1
	v_mov_b32_e32 v9, v10
	s_waitcnt vmcnt(0)
	v_mov_b64_e32 v[0:1], v[4:5]
	s_mul_hi_i32 s1, s21, s11
	s_cmp_lg_u64 s[0:1], 0
	s_mul_i32 s16, s21, s11
	s_cbranch_scc1 .LBB8_9
.LBB8_19:
                                        ; implicit-def: $sgpr8_sgpr9
	s_branch .LBB8_10
.LBB8_20:
                                        ; implicit-def: $sgpr6_sgpr7
	s_load_dwordx4 s[12:15], s[0:1], 0x44
	s_branch .LBB8_2
.LBB8_21:
                                        ; implicit-def: $sgpr18_sgpr19
	s_branch .LBB8_5
.LBB8_22:
	v_div_scale_f32 v0, s[0:1], v4, v4, v5
	s_waitcnt vmcnt(0)
	v_rcp_f32_e32 v1, v0
	v_div_scale_f32 v6, vcc, v5, v4, v5
	v_fma_f32 v7, -v0, v1, 1.0
	v_fmac_f32_e32 v1, v7, v1
	v_mul_f32_e32 v7, v6, v1
	v_fma_f32 v8, -v0, v7, v6
	v_fmac_f32_e32 v7, v8, v1
	v_fma_f32 v0, -v0, v7, v6
	v_div_fmas_f32 v0, v0, v1, v7
	v_div_fixup_f32 v0, v0, v4, v5
	global_store_dword v[2:3], v0, off
.LBB8_23:
	s_endpgm
	.section	.rodata,"a",@progbits
	.p2align	6, 0x0
	.amdhsa_kernel _ZL33flash_attn_stream_k_fixup_generalILi112ELi4ELi8EEvPfPK15HIP_vector_typeIfLj2EEiiiiS1_IjLj3EES5_S5_S5_
		.amdhsa_group_segment_fixed_size 0
		.amdhsa_private_segment_fixed_size 0
		.amdhsa_kernarg_size 336
		.amdhsa_user_sgpr_count 2
		.amdhsa_user_sgpr_dispatch_ptr 0
		.amdhsa_user_sgpr_queue_ptr 0
		.amdhsa_user_sgpr_kernarg_segment_ptr 1
		.amdhsa_user_sgpr_dispatch_id 0
		.amdhsa_user_sgpr_kernarg_preload_length 0
		.amdhsa_user_sgpr_kernarg_preload_offset 0
		.amdhsa_user_sgpr_private_segment_size 0
		.amdhsa_uses_dynamic_stack 0
		.amdhsa_enable_private_segment 0
		.amdhsa_system_sgpr_workgroup_id_x 1
		.amdhsa_system_sgpr_workgroup_id_y 1
		.amdhsa_system_sgpr_workgroup_id_z 1
		.amdhsa_system_sgpr_workgroup_info 0
		.amdhsa_system_vgpr_workitem_id 0
		.amdhsa_next_free_vgpr 18
		.amdhsa_next_free_sgpr 36
		.amdhsa_accum_offset 20
		.amdhsa_reserve_vcc 1
		.amdhsa_float_round_mode_32 0
		.amdhsa_float_round_mode_16_64 0
		.amdhsa_float_denorm_mode_32 3
		.amdhsa_float_denorm_mode_16_64 3
		.amdhsa_dx10_clamp 1
		.amdhsa_ieee_mode 1
		.amdhsa_fp16_overflow 0
		.amdhsa_tg_split 0
		.amdhsa_exception_fp_ieee_invalid_op 0
		.amdhsa_exception_fp_denorm_src 0
		.amdhsa_exception_fp_ieee_div_zero 0
		.amdhsa_exception_fp_ieee_overflow 0
		.amdhsa_exception_fp_ieee_underflow 0
		.amdhsa_exception_fp_ieee_inexact 0
		.amdhsa_exception_int_div_zero 0
	.end_amdhsa_kernel
	.section	.text._ZL33flash_attn_stream_k_fixup_generalILi112ELi4ELi8EEvPfPK15HIP_vector_typeIfLj2EEiiiiS1_IjLj3EES5_S5_S5_,"axG",@progbits,_ZL33flash_attn_stream_k_fixup_generalILi112ELi4ELi8EEvPfPK15HIP_vector_typeIfLj2EEiiiiS1_IjLj3EES5_S5_S5_,comdat
.Lfunc_end8:
	.size	_ZL33flash_attn_stream_k_fixup_generalILi112ELi4ELi8EEvPfPK15HIP_vector_typeIfLj2EEiiiiS1_IjLj3EES5_S5_S5_, .Lfunc_end8-_ZL33flash_attn_stream_k_fixup_generalILi112ELi4ELi8EEvPfPK15HIP_vector_typeIfLj2EEiiiiS1_IjLj3EES5_S5_S5_
                                        ; -- End function
	.set _ZL33flash_attn_stream_k_fixup_generalILi112ELi4ELi8EEvPfPK15HIP_vector_typeIfLj2EEiiiiS1_IjLj3EES5_S5_S5_.num_vgpr, 18
	.set _ZL33flash_attn_stream_k_fixup_generalILi112ELi4ELi8EEvPfPK15HIP_vector_typeIfLj2EEiiiiS1_IjLj3EES5_S5_S5_.num_agpr, 0
	.set _ZL33flash_attn_stream_k_fixup_generalILi112ELi4ELi8EEvPfPK15HIP_vector_typeIfLj2EEiiiiS1_IjLj3EES5_S5_S5_.numbered_sgpr, 36
	.set _ZL33flash_attn_stream_k_fixup_generalILi112ELi4ELi8EEvPfPK15HIP_vector_typeIfLj2EEiiiiS1_IjLj3EES5_S5_S5_.num_named_barrier, 0
	.set _ZL33flash_attn_stream_k_fixup_generalILi112ELi4ELi8EEvPfPK15HIP_vector_typeIfLj2EEiiiiS1_IjLj3EES5_S5_S5_.private_seg_size, 0
	.set _ZL33flash_attn_stream_k_fixup_generalILi112ELi4ELi8EEvPfPK15HIP_vector_typeIfLj2EEiiiiS1_IjLj3EES5_S5_S5_.uses_vcc, 1
	.set _ZL33flash_attn_stream_k_fixup_generalILi112ELi4ELi8EEvPfPK15HIP_vector_typeIfLj2EEiiiiS1_IjLj3EES5_S5_S5_.uses_flat_scratch, 0
	.set _ZL33flash_attn_stream_k_fixup_generalILi112ELi4ELi8EEvPfPK15HIP_vector_typeIfLj2EEiiiiS1_IjLj3EES5_S5_S5_.has_dyn_sized_stack, 0
	.set _ZL33flash_attn_stream_k_fixup_generalILi112ELi4ELi8EEvPfPK15HIP_vector_typeIfLj2EEiiiiS1_IjLj3EES5_S5_S5_.has_recursion, 0
	.set _ZL33flash_attn_stream_k_fixup_generalILi112ELi4ELi8EEvPfPK15HIP_vector_typeIfLj2EEiiiiS1_IjLj3EES5_S5_S5_.has_indirect_call, 0
	.section	.AMDGPU.csdata,"",@progbits
; Kernel info:
; codeLenInByte = 2944
; TotalNumSgprs: 42
; NumVgprs: 18
; NumAgprs: 0
; TotalNumVgprs: 18
; ScratchSize: 0
; MemoryBound: 0
; FloatMode: 240
; IeeeMode: 1
; LDSByteSize: 0 bytes/workgroup (compile time only)
; SGPRBlocks: 5
; VGPRBlocks: 2
; NumSGPRsForWavesPerEU: 42
; NumVGPRsForWavesPerEU: 18
; AccumOffset: 20
; Occupancy: 8
; WaveLimiterHint : 0
; COMPUTE_PGM_RSRC2:SCRATCH_EN: 0
; COMPUTE_PGM_RSRC2:USER_SGPR: 2
; COMPUTE_PGM_RSRC2:TRAP_HANDLER: 0
; COMPUTE_PGM_RSRC2:TGID_X_EN: 1
; COMPUTE_PGM_RSRC2:TGID_Y_EN: 1
; COMPUTE_PGM_RSRC2:TGID_Z_EN: 1
; COMPUTE_PGM_RSRC2:TIDIG_COMP_CNT: 0
; COMPUTE_PGM_RSRC3_GFX90A:ACCUM_OFFSET: 4
; COMPUTE_PGM_RSRC3_GFX90A:TG_SPLIT: 0
	.section	.text._ZL15flash_attn_tileILi112ELi112ELi2ELi8ELb0EEvPKcS1_S1_S1_S1_PKiPfP15HIP_vector_typeIfLj2EEffffjfiS5_IjLj3EEiiiiiiiiiiiliiliiiiil,"axG",@progbits,_ZL15flash_attn_tileILi112ELi112ELi2ELi8ELb0EEvPKcS1_S1_S1_S1_PKiPfP15HIP_vector_typeIfLj2EEffffjfiS5_IjLj3EEiiiiiiiiiiiliiliiiiil,comdat
	.globl	_ZL15flash_attn_tileILi112ELi112ELi2ELi8ELb0EEvPKcS1_S1_S1_S1_PKiPfP15HIP_vector_typeIfLj2EEffffjfiS5_IjLj3EEiiiiiiiiiiiliiliiiiil ; -- Begin function _ZL15flash_attn_tileILi112ELi112ELi2ELi8ELb0EEvPKcS1_S1_S1_S1_PKiPfP15HIP_vector_typeIfLj2EEffffjfiS5_IjLj3EEiiiiiiiiiiiliiliiiiil
	.p2align	8
	.type	_ZL15flash_attn_tileILi112ELi112ELi2ELi8ELb0EEvPKcS1_S1_S1_S1_PKiPfP15HIP_vector_typeIfLj2EEffffjfiS5_IjLj3EEiiiiiiiiiiiliiliiiiil,@function
_ZL15flash_attn_tileILi112ELi112ELi2ELi8ELb0EEvPKcS1_S1_S1_S1_PKiPfP15HIP_vector_typeIfLj2EEffffjfiS5_IjLj3EEiiiiiiiiiiiliiliiiiil: ; @_ZL15flash_attn_tileILi112ELi112ELi2ELi8ELb0EEvPKcS1_S1_S1_S1_PKiPfP15HIP_vector_typeIfLj2EEffffjfiS5_IjLj3EEiiiiiiiiiiiliiliiiiil
; %bb.0:
	s_load_dwordx4 s[36:39], s[0:1], 0x5c
	s_load_dwordx2 s[34:35], s[0:1], 0x80
	s_load_dwordx16 s[16:31], s[0:1], 0x0
	s_mov_b64 s[40:41], 0
	s_waitcnt lgkmcnt(0)
	s_ashr_i32 s5, s39, 31
	s_lshr_b32 s5, s5, 29
	s_add_i32 s5, s39, s5
	s_ashr_i32 s5, s5, 3
	v_cvt_f32_u32_e32 v1, s5
	s_sub_i32 s6, 0, s5
	v_rcp_iflag_f32_e32 v1, v1
	s_nop 0
	v_mul_f32_e32 v1, 0x4f7ffffe, v1
	v_cvt_u32_f32_e32 v1, v1
	s_nop 0
	v_readfirstlane_b32 s7, v1
	s_mul_i32 s6, s6, s7
	s_mul_hi_u32 s6, s7, s6
	s_add_i32 s7, s7, s6
	s_mul_hi_u32 s6, s4, s7
	s_mul_i32 s7, s6, s5
	s_sub_i32 s7, s4, s7
	s_add_i32 s8, s6, 1
	s_sub_i32 s9, s7, s5
	s_cmp_ge_u32 s7, s5
	s_cselect_b32 s6, s8, s6
	s_cselect_b32 s7, s9, s7
	s_add_i32 s8, s6, 1
	s_cmp_ge_u32 s7, s5
	s_cselect_b32 s33, s8, s6
	s_abs_i32 s5, s35
	v_cvt_f32_u32_e32 v1, s5
	s_sub_i32 s8, 0, s5
	s_abs_i32 s7, s39
	s_lshl_b32 s6, s4, 3
	v_rcp_iflag_f32_e32 v1, v1
	s_xor_b32 s4, s39, s35
	s_ashr_i32 s4, s4, 31
	v_mul_f32_e32 v1, 0x4f7ffffe, v1
	v_cvt_u32_f32_e32 v1, v1
	s_nop 0
	v_readfirstlane_b32 s9, v1
	s_mul_i32 s8, s8, s9
	s_mul_hi_u32 s8, s9, s8
	s_add_i32 s9, s9, s8
	s_mul_hi_u32 s8, s7, s9
	s_mul_i32 s9, s8, s5
	s_sub_i32 s7, s7, s9
	s_add_i32 s10, s8, 1
	s_sub_i32 s9, s7, s5
	s_cmp_ge_u32 s7, s5
	s_cselect_b32 s8, s10, s8
	s_cselect_b32 s7, s9, s7
	s_add_i32 s9, s8, 1
	s_cmp_ge_u32 s7, s5
	s_cselect_b32 s5, s9, s8
	s_xor_b32 s5, s5, s4
	s_sub_i32 s9, s5, s4
	s_abs_i32 s8, s9
	v_cvt_f32_u32_e32 v1, s8
	s_load_dwordx2 s[4:5], s[0:1], 0xb8
	s_mul_i32 s7, s33, s39
	s_cmp_eq_u64 s[22:23], 0
	v_rcp_iflag_f32_e32 v1, v1
	s_nop 0
	v_mul_f32_e32 v1, 0x4f7ffffe, v1
	v_cvt_u32_f32_e32 v1, v1
	s_nop 0
	v_readfirstlane_b32 s10, v1
	s_cbranch_scc1 .LBB9_2
; %bb.1:
	s_waitcnt lgkmcnt(0)
	s_abs_i32 s4, s4
	v_cvt_f32_u32_e32 v1, s4
	s_sub_i32 s15, 0, s4
	s_abs_i32 s14, s33
	s_ashr_i32 s11, s33, 31
	v_rcp_iflag_f32_e32 v1, v1
	s_load_dwordx2 s[12:13], s[0:1], 0xc8
	v_mul_f32_e32 v1, 0x4f7ffffe, v1
	v_cvt_u32_f32_e32 v1, v1
	s_nop 0
	v_readfirstlane_b32 s35, v1
	s_mul_i32 s15, s15, s35
	s_mul_hi_u32 s15, s35, s15
	s_add_i32 s35, s35, s15
	s_mul_hi_u32 s15, s14, s35
	s_mul_i32 s15, s15, s4
	s_sub_i32 s14, s14, s15
	s_sub_i32 s15, s14, s4
	s_cmp_ge_u32 s14, s4
	s_cselect_b32 s14, s15, s14
	s_sub_i32 s15, s14, s4
	s_cmp_ge_u32 s14, s4
	s_cselect_b32 s4, s15, s14
	s_xor_b32 s4, s4, s11
	s_sub_i32 s4, s4, s11
	s_ashr_i32 s11, s4, 31
	s_waitcnt lgkmcnt(0)
	s_mul_hi_u32 s14, s12, s4
	s_mul_i32 s11, s12, s11
	s_mul_i32 s13, s13, s4
	s_add_i32 s11, s14, s11
	s_add_i32 s11, s11, s13
	s_mul_i32 s4, s12, s4
	s_add_u32 s40, s22, s4
	s_addc_u32 s41, s23, s11
.LBB9_2:
	v_lshrrev_b32_e32 v3, 10, v0
	v_bfe_u32 v3, v3, 2, 8
	v_lshl_add_u32 v49, s2, 1, v3
	v_bfe_u32 v1, v0, 10, 10
	v_and_b32_e32 v50, 0x3ff, v0
	v_mul_hi_u32 v0, s36, v49
	v_add_u32_e32 v0, v49, v0
	v_lshrrev_b32_e32 v0, s37, v0
	v_lshlrev_b32_e32 v2, 1, v1
	v_mul_lo_u32 v0, v0, s38
	s_sub_i32 s35, s6, s7
	v_cmp_gt_u32_e64 s[22:23], 28, v50
	v_sub_u32_e32 v0, v49, v0
	v_lshlrev_b32_e32 v48, 2, v50
	v_lshlrev_b32_e32 v69, 3, v50
	v_and_b32_e32 v51, 6, v2
	s_and_saveexec_b64 s[6:7], s[22:23]
	s_cbranch_execz .LBB9_4
; %bb.3:
	s_load_dwordx4 s[12:15], s[0:1], 0x70
	v_bitop3_b32 v3, v2, 7, 1 bitop3:0xc8
	v_or_b32_e32 v2, 1, v2
	s_waitcnt lgkmcnt(0)
	s_mul_i32 s4, s33, s14
	s_ashr_i32 s15, s4, 31
	s_mul_i32 s11, s35, s13
	s_add_u32 s4, s16, s4
	s_addc_u32 s15, s17, s15
	s_ashr_i32 s17, s11, 31
	s_add_u32 s16, s4, s11
	s_mov_b32 s14, s12
	s_addc_u32 s17, s15, s17
	s_ashr_i32 s15, s12, 31
	s_lshr_b64 s[36:37], s[14:15], 2
	s_lshr_b32 s4, s15, 2
	v_mad_u64_u32 v[4:5], s[14:15], s36, v0, 0
	v_mov_b32_e32 v6, v5
	v_mad_u64_u32 v[6:7], s[14:15], s4, v0, v[6:7]
	v_mov_b32_e32 v5, v6
	s_ashr_i32 s15, s13, 31
	s_mov_b32 s14, s13
	v_lshl_add_u64 v[4:5], v[4:5], 2, s[16:17]
	v_lshlrev_b32_e32 v6, 2, v48
	v_mov_b32_e32 v7, 0
	s_lshr_b64 s[12:13], s[14:15], 2
	v_lshl_add_u64 v[8:9], v[4:5], 0, v[6:7]
	v_mad_u64_u32 v[4:5], s[16:17], s12, v51, 0
	v_mov_b32_e32 v6, v5
	s_lshr_b32 s4, s15, 2
	v_mad_u64_u32 v[10:11], s[12:13], s12, v3, 0
	v_mad_u64_u32 v[6:7], s[14:15], s4, v51, v[6:7]
	v_mov_b32_e32 v12, v11
	v_mov_b32_e32 v5, v6
	v_mad_u64_u32 v[12:13], s[12:13], s4, v3, v[12:13]
	v_lshl_add_u64 v[4:5], v[4:5], 2, v[8:9]
	v_mov_b32_e32 v11, v12
	global_load_dwordx4 v[4:7], v[4:5], off
	v_lshl_add_u64 v[8:9], v[10:11], 2, v[8:9]
	global_load_dwordx4 v[8:11], v[8:9], off
	s_load_dword s4, s[0:1], 0x40
	v_add_u32_e32 v3, 0x1040, v69
	s_movk_i32 s11, 0x1c0
	s_movk_i32 s12, 0xe0
	v_mad_u32_u24 v12, v1, s11, v3
	v_mad_u32_u24 v13, v2, s12, v3
	s_waitcnt vmcnt(1) lgkmcnt(0)
	v_fma_mixlo_f16 v2, s4, v4, 0
	v_fma_mixlo_f16 v3, s4, v5, 0
	;; [unrolled: 1-line block ×4, first 2 shown]
	s_waitcnt vmcnt(0)
	v_fma_mixlo_f16 v6, s4, v8, 0
	v_fma_mixlo_f16 v7, s4, v9, 0
	v_lshlrev_b32_e32 v3, 16, v3
	v_and_b32_e32 v2, 0xffff, v2
	v_fma_mixlo_f16 v8, s4, v10, 0
	v_fma_mixlo_f16 v9, s4, v11, 0
	v_lshlrev_b32_e32 v5, 16, v5
	v_and_b32_e32 v4, 0xffff, v4
	v_lshlrev_b32_e32 v7, 16, v7
	v_and_b32_e32 v6, 0xffff, v6
	v_or_b32_e32 v2, v3, v2
	v_lshlrev_b32_e32 v9, 16, v9
	v_and_b32_e32 v8, 0xffff, v8
	v_or3_b32 v3, v5, v4, 0
	v_or_b32_e32 v4, v7, v6
	v_or3_b32 v2, 0, 0, v2
	v_or3_b32 v5, v9, v8, 0
	;; [unrolled: 1-line block ×3, first 2 shown]
	ds_write_b64 v12, v[2:3]
	ds_write_b64 v13, v[4:5]
.LBB9_4:
	s_or_b64 exec, exec, s[6:7]
	s_cmp_eq_u64 s[26:27], 0
	s_waitcnt lgkmcnt(0)
	s_barrier
	s_cbranch_scc1 .LBB9_6
; %bb.5:
	s_load_dword s4, s[0:1], 0xd0
	s_mov_b32 s7, 0
	s_waitcnt lgkmcnt(0)
	s_mul_i32 s4, s4, s33
	s_add_i32 s6, s4, s2
	s_lshl_b64 s[6:7], s[6:7], 2
	s_add_u32 s6, s26, s6
	s_addc_u32 s7, s27, s7
	s_load_dword s34, s[6:7], 0x0
.LBB9_6:
	s_lshl_b32 s2, s3, 5
	s_waitcnt lgkmcnt(0)
	s_cmp_lt_i32 s2, s34
	v_mbcnt_lo_u32_b32 v2, -1, 0
	s_cbranch_scc1 .LBB9_22
; %bb.7:
	v_mbcnt_hi_u32_b32 v81, -1, v2
	v_and_b32_e32 v3, 0x60, v81
	v_add_u32_e32 v99, 32, v3
	v_xor_b32_e32 v98, 16, v81
	v_xor_b32_e32 v97, 8, v81
	;; [unrolled: 1-line block ×5, first 2 shown]
	s_cbranch_execz .LBB9_23
; %bb.8:
	v_mov_b32_e32 v53, 0
	v_mov_b32_e32 v75, 0xfeffffff
	;; [unrolled: 1-line block ×8, first 2 shown]
.LBB9_9:
	v_cmp_lt_i32_e32 vcc, v98, v99
	s_cmp_lg_u64 s[24:25], 0
	s_cselect_b64 s[4:5], -1, 0
	v_cndmask_b32_e32 v0, v81, v98, vcc
	v_lshlrev_b32_e32 v1, 2, v0
	ds_bpermute_b32 v0, v1, v52
	ds_bpermute_b32 v1, v1, v53
	v_cmp_lt_i32_e32 vcc, v97, v99
	s_cmp_eq_u32 s3, 0
	s_cselect_b64 s[6:7], -1, 0
	v_cndmask_b32_e32 v2, v81, v97, vcc
	v_lshlrev_b32_e32 v3, 2, v2
	s_waitcnt lgkmcnt(0)
	v_pk_add_f32 v[0:1], v[52:53], v[0:1]
	ds_bpermute_b32 v2, v3, v0
	ds_bpermute_b32 v3, v3, v1
	v_cmp_lt_i32_e32 vcc, v96, v99
	s_and_b64 s[4:5], s[6:7], s[4:5]
	s_waitcnt lgkmcnt(0)
	v_pk_add_f32 v[0:1], v[0:1], v[2:3]
	v_cndmask_b32_e32 v4, v81, v96, vcc
	v_lshlrev_b32_e32 v4, 2, v4
	ds_bpermute_b32 v2, v4, v0
	ds_bpermute_b32 v3, v4, v1
	v_cmp_lt_i32_e32 vcc, v95, v99
	s_waitcnt lgkmcnt(0)
	v_pk_add_f32 v[0:1], v[0:1], v[2:3]
	v_cndmask_b32_e32 v4, v81, v95, vcc
	v_lshlrev_b32_e32 v4, 2, v4
	ds_bpermute_b32 v2, v4, v0
	ds_bpermute_b32 v3, v4, v1
	v_cmp_lt_i32_e32 vcc, v94, v99
	s_waitcnt lgkmcnt(0)
	v_pk_add_f32 v[0:1], v[0:1], v[2:3]
	v_cndmask_b32_e32 v4, v81, v94, vcc
	v_lshlrev_b32_e32 v4, 2, v4
	ds_bpermute_b32 v2, v4, v0
	ds_bpermute_b32 v3, v4, v1
	s_and_b64 vcc, exec, s[4:5]
	s_waitcnt lgkmcnt(0)
	v_pk_add_f32 v[0:1], v[0:1], v[2:3]
	s_cbranch_vccz .LBB9_11
; %bb.10:
	v_add_u32_e32 v2, s35, v51
	v_ashrrev_i32_e32 v3, 31, v2
	v_lshl_add_u64 v[2:3], v[2:3], 2, s[24:25]
	global_load_dwordx2 v[2:3], v[2:3], off
	v_max_f32_e32 v4, v74, v74
	v_max_f32_e32 v5, v75, v75
	s_mov_b32 s2, 0x3fb8aa3b
	s_mov_b32 s4, 0xc2ce8ed0
	;; [unrolled: 1-line block ×3, first 2 shown]
	v_mov_b32_e32 v7, 0x7f800000
	s_waitcnt vmcnt(0)
	v_max_f32_e32 v6, v2, v2
	v_max_f32_e32 v4, v4, v6
	;; [unrolled: 1-line block ×3, first 2 shown]
	v_sub_f32_e32 v6, v74, v4
	v_max_f32_e32 v5, v5, v8
	v_sub_f32_e32 v8, v2, v4
	v_mul_f32_e32 v2, 0x3fb8aa3b, v6
	v_sub_f32_e32 v9, v75, v5
	v_sub_f32_e32 v10, v3, v5
	v_mul_f32_e32 v3, 0x3fb8aa3b, v8
	v_fma_f32 v13, v6, s2, -v2
	v_rndne_f32_e32 v14, v2
	v_mul_f32_e32 v11, 0x3fb8aa3b, v9
	v_fma_f32 v15, v8, s2, -v3
	v_rndne_f32_e32 v16, v3
	v_fmac_f32_e32 v13, 0x32a5705f, v6
	v_sub_f32_e32 v2, v2, v14
	v_mul_f32_e32 v12, 0x3fb8aa3b, v10
	v_fma_f32 v17, v9, s2, -v11
	v_rndne_f32_e32 v18, v11
	v_fmac_f32_e32 v15, 0x32a5705f, v8
	v_sub_f32_e32 v3, v3, v16
	v_add_f32_e32 v2, v2, v13
	v_fma_f32 v19, v10, s2, -v12
	v_rndne_f32_e32 v20, v12
	v_cvt_i32_f32_e32 v14, v14
	v_fmac_f32_e32 v17, 0x32a5705f, v9
	v_sub_f32_e32 v11, v11, v18
	v_add_f32_e32 v3, v3, v15
	v_exp_f32_e32 v2, v2
	v_cvt_i32_f32_e32 v16, v16
	v_fmac_f32_e32 v19, 0x32a5705f, v10
	v_sub_f32_e32 v12, v12, v20
	v_add_f32_e32 v11, v11, v17
	v_exp_f32_e32 v3, v3
	v_cvt_i32_f32_e32 v18, v18
	v_add_f32_e32 v12, v12, v19
	v_exp_f32_e32 v11, v11
	v_cvt_i32_f32_e32 v20, v20
	v_exp_f32_e32 v12, v12
	v_ldexp_f32 v2, v2, v14
	v_cmp_ngt_f32_e32 vcc, s4, v6
	v_ldexp_f32 v3, v3, v16
	v_ldexp_f32 v11, v11, v18
	v_cndmask_b32_e32 v2, 0, v2, vcc
	v_cmp_ngt_f32_e32 vcc, s4, v8
	v_ldexp_f32 v12, v12, v20
	v_mov_b64_e32 v[74:75], v[4:5]
	v_cndmask_b32_e32 v3, 0, v3, vcc
	v_cmp_ngt_f32_e32 vcc, s4, v9
	s_nop 1
	v_cndmask_b32_e32 v11, 0, v11, vcc
	v_cmp_ngt_f32_e32 vcc, s4, v10
	s_nop 1
	v_cndmask_b32_e32 v12, 0, v12, vcc
	v_cmp_nlt_f32_e32 vcc, s5, v6
	s_nop 1
	v_cndmask_b32_e32 v2, v7, v2, vcc
	v_cmp_nlt_f32_e32 vcc, s5, v8
	v_cvt_f16_f32_e32 v8, v2
	s_nop 0
	v_cndmask_b32_e32 v6, v7, v3, vcc
	v_cmp_nlt_f32_e32 vcc, s5, v9
	s_nop 1
	v_cndmask_b32_e32 v3, v7, v11, vcc
	v_cvt_f16_f32_e32 v9, v3
	v_cmp_nlt_f32_e32 vcc, s5, v10
	s_nop 1
	v_cndmask_b32_e32 v7, v7, v12, vcc
	v_pk_fma_f32 v[0:1], v[0:1], v[2:3], v[6:7]
	v_mul_u32_u24_e32 v2, 0x10001, v8
	v_mul_u32_u24_e32 v3, 0x10001, v9
	v_pk_mul_f16 v82, v82, v2
	v_pk_mul_f16 v83, v83, v2
	;; [unrolled: 1-line block ×4, first 2 shown]
.LBB9_11:
	v_cmp_gt_i32_e32 vcc, s38, v49
	s_and_saveexec_b64 s[4:5], vcc
	s_cbranch_execz .LBB9_21
; %bb.12:
	s_load_dword s2, s[0:1], 0xd4
	v_mov_b32_e32 v2, 1.0
	s_waitcnt lgkmcnt(0)
	s_cmp_lg_u32 s2, 1
	s_cselect_b64 s[4:5], -1, 0
	s_cmp_eq_u32 s2, 1
	s_cselect_b64 s[0:1], -1, 0
	s_and_b64 vcc, exec, s[4:5]
	s_cbranch_vccnz .LBB9_14
; %bb.13:
	v_div_scale_f32 v2, s[6:7], v0, v0, 1.0
	v_rcp_f32_e32 v3, v2
	v_div_scale_f32 v4, vcc, 1.0, v0, 1.0
	v_fma_f32 v5, -v2, v3, 1.0
	v_fmac_f32_e32 v3, v5, v3
	v_mul_f32_e32 v5, v4, v3
	v_fma_f32 v6, -v2, v5, v4
	v_fmac_f32_e32 v5, v6, v3
	v_fma_f32 v2, -v2, v5, v4
	v_div_fmas_f32 v2, v2, v3, v5
	v_div_fixup_f32 v2, v2, v0, 1.0
.LBB9_14:
	s_mul_i32 s33, s33, s38
	v_add_u32_e32 v3, s33, v49
	v_mul_lo_u32 v3, v3, s39
	v_add3_u32 v3, s35, v51, v3
	v_mul_lo_u32 v3, s2, v3
	v_add_u32_e32 v4, s3, v3
	s_and_saveexec_b64 s[6:7], s[22:23]
	s_cbranch_execz .LBB9_16
; %bb.15:
	v_cvt_f32_f16_sdwa v9, v82 dst_sel:DWORD dst_unused:UNUSED_PAD src0_sel:WORD_1
	v_cvt_f32_f16_e32 v8, v82
	v_cvt_f32_f16_sdwa v11, v83 dst_sel:DWORD dst_unused:UNUSED_PAD src0_sel:WORD_1
	v_cvt_f32_f16_e32 v10, v83
	s_movk_i32 s8, 0x70
	v_mad_u64_u32 v[6:7], s[8:9], v4, s8, v[48:49]
	v_mov_b32_e32 v7, 0
	v_lshl_add_u64 v[12:13], v[6:7], 2, s[28:29]
	v_pk_mul_f32 v[6:7], v[2:3], v[8:9] op_sel_hi:[0,1]
	v_pk_mul_f32 v[8:9], v[2:3], v[10:11] op_sel_hi:[0,1]
	global_store_dwordx4 v[12:13], v[6:9], off
.LBB9_16:
	s_or_b64 exec, exec, s[6:7]
	v_cmp_eq_u32_e32 vcc, 0, v50
	s_and_b64 s[4:5], vcc, s[4:5]
	s_and_saveexec_b64 s[6:7], s[4:5]
	s_cbranch_execnz .LBB9_50
; %bb.17:
	s_or_b64 exec, exec, s[6:7]
	s_andn2_b64 vcc, exec, s[0:1]
	v_mov_b32_e32 v0, 1.0
	s_cbranch_vccz .LBB9_51
.LBB9_18:
	s_add_i32 s3, s3, s2
	v_add_u32_e32 v2, s3, v3
	s_and_saveexec_b64 s[0:1], s[22:23]
	s_cbranch_execnz .LBB9_52
.LBB9_19:
	s_or_b64 exec, exec, s[0:1]
	s_and_b64 exec, exec, s[4:5]
	s_cbranch_execz .LBB9_21
.LBB9_20:
	v_ashrrev_i32_e32 v3, 31, v2
	v_lshl_add_u64 v[2:3], v[2:3], 3, s[30:31]
	v_mov_b32_e32 v0, v75
	global_store_dwordx2 v[2:3], v[0:1], off
.LBB9_21:
	s_endpgm
.LBB9_22:
                                        ; implicit-def: $vgpr81
                                        ; implicit-def: $vgpr99
                                        ; implicit-def: $vgpr98
                                        ; implicit-def: $vgpr97
                                        ; implicit-def: $vgpr96
                                        ; implicit-def: $vgpr95
                                        ; implicit-def: $vgpr94
.LBB9_23:
	s_load_dwordx2 s[6:7], s[0:1], 0x8c
	s_load_dwordx4 s[12:15], s[0:1], 0x98
	s_sub_i32 s4, 0, s8
	s_mul_i32 s4, s4, s10
	s_mul_hi_u32 s4, s10, s4
	s_waitcnt lgkmcnt(0)
	s_ashr_i32 s45, s6, 2
	s_ashr_i32 s44, s14, 2
	;; [unrolled: 1-line block ×4, first 2 shown]
	s_mul_hi_u32 s6, s12, s33
	s_mul_i32 s26, s12, s5
	s_abs_i32 s16, s35
	s_add_i32 s10, s10, s4
	s_add_i32 s6, s6, s26
	s_mul_i32 s13, s13, s33
	s_mul_hi_u32 s4, s16, s10
	s_ashr_i32 s17, s35, 31
	s_ashr_i32 s9, s9, 31
	s_add_i32 s6, s6, s13
	s_mul_i32 s12, s12, s33
	s_add_u32 s12, s18, s12
	s_mul_i32 s13, s4, s8
	s_addc_u32 s6, s19, s6
	s_sub_i32 s13, s16, s13
	s_xor_b32 s9, s17, s9
	s_add_i32 s16, s4, 1
	s_sub_i32 s17, s13, s8
	s_cmp_ge_u32 s13, s8
	s_cselect_b32 s4, s16, s4
	s_cselect_b32 s13, s17, s13
	s_add_i32 s16, s4, 1
	s_cmp_ge_u32 s13, s8
	s_cselect_b32 s4, s16, s4
	s_load_dwordx2 s[10:11], s[0:1], 0xa8
	s_xor_b32 s4, s4, s9
	s_sub_i32 s4, s4, s9
	s_mul_i32 s7, s4, s7
	s_ashr_i32 s8, s7, 31
	s_add_u32 s46, s12, s7
	s_addc_u32 s47, s6, s8
	s_waitcnt lgkmcnt(0)
	s_mul_hi_u32 s6, s10, s33
	s_mul_i32 s5, s10, s5
	s_add_i32 s5, s6, s5
	s_mul_i32 s6, s11, s33
	v_lshrrev_b32_e32 v4, 1, v50
	s_movk_i32 s8, 0x1c0
	v_mov_b32_e32 v9, 0x1040
	s_add_i32 s5, s5, s6
	s_mul_i32 s6, s10, s33
	v_lshl_add_u32 v5, v1, 4, v4
	v_lshrrev_b32_e32 v4, 2, v50
	v_mad_u32_u24 v88, v1, s8, v9
	v_mad_u64_u32 v[62:63], s[8:9], v0, s14, v[50:51]
	v_mov_b32_e32 v0, 0x1e40
	s_add_u32 s6, s20, s6
	s_mul_i32 s4, s4, s15
	v_lshl_add_u32 v6, v1, 3, v4
	v_and_b32_e32 v4, 4, v48
	v_lshl_add_u32 v89, v1, 7, v0
	v_lshrrev_b32_e32 v0, 3, v50
	s_addc_u32 s5, s21, s5
	s_ashr_i32 s7, s4, 31
	v_lshl_add_u32 v3, v1, 5, v50
	v_lshlrev_b32_e32 v7, 2, v4
	v_lshl_add_u32 v0, v1, 2, v0
	v_mul_u32_u24_e32 v1, 0xe0, v5
	s_add_u32 s48, s6, s4
	v_cmp_gt_u32_e32 vcc, 32, v3
	v_mul_lo_u32 v54, s45, v3
	v_lshlrev_b32_e32 v3, 7, v5
	v_and_b32_e32 v8, 12, v48
	v_or_b32_e32 v1, v1, v7
	s_addc_u32 s49, s5, s7
	v_or3_b32 v86, v3, v7, 64
	v_lshlrev_b32_e32 v3, 2, v8
	v_add_u32_e32 v90, 0xc0, v1
	v_mul_u32_u24_e32 v1, 0xe0, v6
	s_movk_i32 s15, 0x80
	v_and_b32_e32 v68, 28, v48
	v_lshlrev_b32_e32 v84, 7, v50
	v_mul_lo_u32 v56, s45, v5
	v_mov_b32_e32 v59, 0
	v_mul_lo_u32 v60, s45, v6
	s_movk_i32 s14, 0xe0
	v_mul_lo_u32 v64, s44, v5
	v_add3_u32 v91, v1, v3, s15
	v_mul_lo_u32 v66, s44, v6
	v_lshlrev_b32_e32 v1, 2, v68
	v_mul_lo_u32 v70, s44, v0
	s_add_u32 s26, s0, 0xd0
	v_cmp_gt_u32_e64 s[4:5], 32, v5
	v_cmp_gt_u32_e64 s[6:7], 32, v6
	v_or_b32_e32 v85, 0x60, v84
	v_ashrrev_i32_e32 v55, 31, v54
	v_ashrrev_i32_e32 v57, 31, v56
	v_lshl_or_b32 v87, v6, 7, v3
	v_ashrrev_i32_e32 v61, 31, v60
	v_cmp_gt_u32_e64 s[8:9], 16, v5
	v_cmp_gt_u32_e64 s[10:11], 16, v6
	;; [unrolled: 1-line block ×3, first 2 shown]
	v_ashrrev_i32_e32 v65, 31, v64
	v_ashrrev_i32_e32 v67, 31, v66
	v_mad_u32_u24 v92, v0, s14, v1
	v_ashrrev_i32_e32 v71, 31, v70
	s_addc_u32 s27, s1, 0
	v_mov_b32_e32 v6, 0xfeffffff
	s_mov_b32 s50, 0x3fb8aa3b
	s_mov_b32 s51, 0xc2ce8ed0
	;; [unrolled: 1-line block ×4, first 2 shown]
	v_lshlrev_b32_e32 v58, 2, v4
	v_lshlrev_b32_e32 v72, 2, v8
	v_mbcnt_hi_u32_b32 v81, -1, v2
	v_mov_b32_e32 v93, 0x7f800000
	v_mov_b32_e32 v80, v59
	v_mov_b32_e32 v63, v59
	v_mov_b32_e32 v83, v59
	v_mov_b32_e32 v82, v59
	v_mov_b32_e32 v7, 0xfeffffff
	v_mov_b32_e32 v52, v59
	v_mov_b32_e32 v53, v59
.LBB9_24:                               ; =>This Inner Loop Header: Depth=1
	s_mul_hi_i32 s15, s2, s45
	s_mul_i32 s14, s2, s45
	s_lshl_b64 s[14:15], s[14:15], 2
	s_add_u32 s14, s46, s14
	s_addc_u32 s15, s47, s15
	v_lshl_add_u64 v[4:5], v[54:55], 2, s[14:15]
	s_and_saveexec_b64 s[16:17], vcc
	s_cbranch_execnz .LBB9_42
; %bb.25:                               ;   in Loop: Header=BB9_24 Depth=1
	s_or_b64 exec, exec, s[16:17]
	v_lshl_add_u64 v[0:1], v[56:57], 2, s[14:15]
	s_and_saveexec_b64 s[16:17], s[4:5]
	s_cbranch_execnz .LBB9_43
.LBB9_26:                               ;   in Loop: Header=BB9_24 Depth=1
	s_or_b64 exec, exec, s[16:17]
	v_lshl_add_u64 v[2:3], v[60:61], 2, s[14:15]
	s_and_saveexec_b64 s[14:15], s[6:7]
	s_cbranch_execz .LBB9_28
.LBB9_27:                               ;   in Loop: Header=BB9_24 Depth=1
	v_mov_b32_e32 v73, v59
	v_lshl_add_u64 v[8:9], v[2:3], 0, v[72:73]
	global_load_dwordx4 v[8:11], v[8:9], off
	s_waitcnt vmcnt(0)
	ds_write_b128 v87, v[8:11]
.LBB9_28:                               ;   in Loop: Header=BB9_24 Depth=1
	s_or_b64 exec, exec, s[14:15]
	s_waitcnt lgkmcnt(0)
	s_barrier
	ds_read_b128 v[10:13], v84
	ds_read_b128 v[14:17], v88
	ds_read_b128 v[18:21], v88 offset:224
	v_mov_b32_e32 v8, 0
	s_waitcnt lgkmcnt(1)
	;;#ASMSTART
	v_dot2_f32_f16 v8, v10, v14, v8
	;;#ASMEND
	s_nop 0
	;;#ASMSTART
	v_dot2_f32_f16 v8, v11, v15, v8
	;;#ASMEND
	v_mov_b32_e32 v9, 0
	;;#ASMSTART
	v_dot2_f32_f16 v8, v12, v16, v8
	;;#ASMEND
	s_nop 0
	;;#ASMSTART
	v_dot2_f32_f16 v8, v13, v17, v8
	;;#ASMEND
	s_waitcnt lgkmcnt(0)
	;;#ASMSTART
	v_dot2_f32_f16 v9, v10, v18, v9
	;;#ASMEND
	s_nop 0
	;;#ASMSTART
	v_dot2_f32_f16 v9, v11, v19, v9
	;;#ASMEND
	s_nop 0
	;;#ASMSTART
	v_dot2_f32_f16 v9, v12, v20, v9
	;;#ASMEND
	s_nop 0
	;;#ASMSTART
	v_dot2_f32_f16 v9, v13, v21, v9
	;;#ASMEND
	ds_read_b128 v[10:13], v84 offset:16
	ds_read_b128 v[14:17], v88 offset:16
	ds_read_b128 v[18:21], v88 offset:240
	s_waitcnt lgkmcnt(1)
	;;#ASMSTART
	v_dot2_f32_f16 v8, v10, v14, v8
	;;#ASMEND
	s_nop 0
	;;#ASMSTART
	v_dot2_f32_f16 v8, v11, v15, v8
	;;#ASMEND
	s_nop 0
	;;#ASMSTART
	v_dot2_f32_f16 v8, v12, v16, v8
	;;#ASMEND
	s_nop 0
	;;#ASMSTART
	v_dot2_f32_f16 v8, v13, v17, v8
	;;#ASMEND
	s_waitcnt lgkmcnt(0)
	;;#ASMSTART
	v_dot2_f32_f16 v9, v10, v18, v9
	;;#ASMEND
	s_nop 0
	;;#ASMSTART
	v_dot2_f32_f16 v9, v11, v19, v9
	;;#ASMEND
	s_nop 0
	;;#ASMSTART
	v_dot2_f32_f16 v9, v12, v20, v9
	;;#ASMEND
	s_nop 0
	;;#ASMSTART
	v_dot2_f32_f16 v9, v13, v21, v9
	;;#ASMEND
	ds_read_b128 v[10:13], v84 offset:32
	ds_read_b128 v[14:17], v88 offset:32
	ds_read_b128 v[18:21], v88 offset:256
	s_waitcnt lgkmcnt(1)
	;;#ASMSTART
	v_dot2_f32_f16 v8, v10, v14, v8
	;;#ASMEND
	s_nop 0
	;;#ASMSTART
	v_dot2_f32_f16 v8, v11, v15, v8
	;;#ASMEND
	s_nop 0
	;; [unrolled: 35-line block ×6, first 2 shown]
	;;#ASMSTART
	v_dot2_f32_f16 v8, v12, v16, v8
	;;#ASMEND
	s_nop 0
	;;#ASMSTART
	v_dot2_f32_f16 v8, v13, v17, v8
	;;#ASMEND
	s_waitcnt lgkmcnt(0)
	;;#ASMSTART
	v_dot2_f32_f16 v9, v10, v18, v9
	;;#ASMEND
	s_nop 0
	;;#ASMSTART
	v_dot2_f32_f16 v9, v11, v19, v9
	;;#ASMEND
	s_nop 0
	;; [unrolled: 4-line block ×3, first 2 shown]
	;;#ASMSTART
	v_dot2_f32_f16 v9, v13, v21, v9
	;;#ASMEND
	s_barrier
	s_and_saveexec_b64 s[14:15], vcc
	s_cbranch_execnz .LBB9_44
; %bb.29:                               ;   in Loop: Header=BB9_24 Depth=1
	s_or_b64 exec, exec, s[14:15]
	s_and_saveexec_b64 s[14:15], s[4:5]
	s_cbranch_execnz .LBB9_45
.LBB9_30:                               ;   in Loop: Header=BB9_24 Depth=1
	s_or_b64 exec, exec, s[14:15]
	s_and_saveexec_b64 s[14:15], s[6:7]
	s_cbranch_execz .LBB9_32
.LBB9_31:                               ;   in Loop: Header=BB9_24 Depth=1
	v_mov_b32_e32 v73, v59
	v_lshl_add_u64 v[0:1], v[2:3], 0, v[72:73]
	global_load_dwordx4 v[0:3], v[0:1], off offset:112
	s_waitcnt vmcnt(0)
	ds_write_b128 v87, v[0:3]
.LBB9_32:                               ;   in Loop: Header=BB9_24 Depth=1
	s_or_b64 exec, exec, s[14:15]
	s_waitcnt lgkmcnt(0)
	s_barrier
	ds_read_b128 v[0:3], v84
	ds_read_b128 v[10:13], v88 offset:112
	ds_read_b128 v[14:17], v88 offset:336
	s_waitcnt lgkmcnt(1)
	;;#ASMSTART
	v_dot2_f32_f16 v8, v0, v10, v8
	;;#ASMEND
	s_nop 0
	;;#ASMSTART
	v_dot2_f32_f16 v8, v1, v11, v8
	;;#ASMEND
	v_xor_b32_e32 v98, 16, v81
	;;#ASMSTART
	v_dot2_f32_f16 v8, v2, v12, v8
	;;#ASMEND
	v_xor_b32_e32 v97, 8, v81
	;;#ASMSTART
	v_dot2_f32_f16 v8, v3, v13, v8
	;;#ASMEND
	s_waitcnt lgkmcnt(0)
	;;#ASMSTART
	v_dot2_f32_f16 v9, v0, v14, v9
	;;#ASMEND
	v_xor_b32_e32 v96, 4, v81
	;;#ASMSTART
	v_dot2_f32_f16 v9, v1, v15, v9
	;;#ASMEND
	v_xor_b32_e32 v95, 2, v81
	;; [unrolled: 4-line block ×3, first 2 shown]
	;;#ASMSTART
	v_dot2_f32_f16 v9, v3, v17, v9
	;;#ASMEND
	ds_read_b128 v[0:3], v84 offset:16
	ds_read_b128 v[10:13], v88 offset:128
	;; [unrolled: 1-line block ×3, first 2 shown]
	s_waitcnt lgkmcnt(1)
	;;#ASMSTART
	v_dot2_f32_f16 v8, v0, v10, v8
	;;#ASMEND
	s_nop 0
	;;#ASMSTART
	v_dot2_f32_f16 v8, v1, v11, v8
	;;#ASMEND
	s_mul_hi_i32 s17, s2, s44
	;;#ASMSTART
	v_dot2_f32_f16 v8, v2, v12, v8
	;;#ASMEND
	s_mul_i32 s16, s2, s44
	;;#ASMSTART
	v_dot2_f32_f16 v8, v3, v13, v8
	;;#ASMEND
	s_waitcnt lgkmcnt(0)
	;;#ASMSTART
	v_dot2_f32_f16 v9, v0, v14, v9
	;;#ASMEND
	s_lshl_b64 s[16:17], s[16:17], 2
	;;#ASMSTART
	v_dot2_f32_f16 v9, v1, v15, v9
	;;#ASMEND
	s_add_u32 s16, s48, s16
	;;#ASMSTART
	v_dot2_f32_f16 v9, v2, v16, v9
	;;#ASMEND
	v_add_u32_e32 v4, v89, v48
	;;#ASMSTART
	v_dot2_f32_f16 v9, v3, v17, v9
	;;#ASMEND
	ds_read_b128 v[0:3], v84 offset:32
	ds_read_b128 v[10:13], v88 offset:144
	;; [unrolled: 1-line block ×3, first 2 shown]
	s_waitcnt lgkmcnt(1)
	;;#ASMSTART
	v_dot2_f32_f16 v8, v0, v10, v8
	;;#ASMEND
	s_nop 0
	;;#ASMSTART
	v_dot2_f32_f16 v8, v1, v11, v8
	;;#ASMEND
	s_addc_u32 s17, s49, s17
	;;#ASMSTART
	v_dot2_f32_f16 v8, v2, v12, v8
	;;#ASMEND
	s_nop 0
	;;#ASMSTART
	v_dot2_f32_f16 v8, v3, v13, v8
	;;#ASMEND
	s_waitcnt lgkmcnt(0)
	;;#ASMSTART
	v_dot2_f32_f16 v9, v0, v14, v9
	;;#ASMEND
	s_nop 0
	;;#ASMSTART
	v_dot2_f32_f16 v9, v1, v15, v9
	;;#ASMEND
	s_nop 0
	;;#ASMSTART
	v_dot2_f32_f16 v9, v2, v16, v9
	;;#ASMEND
	s_nop 0
	;;#ASMSTART
	v_dot2_f32_f16 v9, v3, v17, v9
	;;#ASMEND
	ds_read_b128 v[0:3], v84 offset:48
	ds_read_b128 v[10:13], v88 offset:160
	ds_read_b128 v[14:17], v88 offset:384
	s_waitcnt lgkmcnt(1)
	;;#ASMSTART
	v_dot2_f32_f16 v8, v0, v10, v8
	;;#ASMEND
	s_nop 0
	;;#ASMSTART
	v_dot2_f32_f16 v8, v1, v11, v8
	;;#ASMEND
	s_nop 0
	;;#ASMSTART
	v_dot2_f32_f16 v8, v2, v12, v8
	;;#ASMEND
	s_nop 0
	;;#ASMSTART
	v_dot2_f32_f16 v8, v3, v13, v8
	;;#ASMEND
	s_waitcnt lgkmcnt(0)
	;;#ASMSTART
	v_dot2_f32_f16 v9, v0, v14, v9
	;;#ASMEND
	s_nop 0
	;;#ASMSTART
	v_dot2_f32_f16 v9, v1, v15, v9
	;;#ASMEND
	s_nop 0
	;;#ASMSTART
	v_dot2_f32_f16 v9, v2, v16, v9
	;;#ASMEND
	s_nop 0
	;;#ASMSTART
	v_dot2_f32_f16 v9, v3, v17, v9
	;;#ASMEND
	ds_read_b128 v[0:3], v84 offset:64
	ds_read_b128 v[10:13], v88 offset:176
	ds_read_b128 v[14:17], v88 offset:400
	s_waitcnt lgkmcnt(1)
	;;#ASMSTART
	v_dot2_f32_f16 v8, v0, v10, v8
	;;#ASMEND
	s_nop 0
	;;#ASMSTART
	v_dot2_f32_f16 v8, v1, v11, v8
	;;#ASMEND
	s_nop 0
	;;#ASMSTART
	v_dot2_f32_f16 v8, v2, v12, v8
	;;#ASMEND
	s_nop 0
	;;#ASMSTART
	v_dot2_f32_f16 v8, v3, v13, v8
	;;#ASMEND
	s_waitcnt lgkmcnt(0)
	;;#ASMSTART
	v_dot2_f32_f16 v9, v0, v14, v9
	;;#ASMEND
	s_nop 0
	;;#ASMSTART
	v_dot2_f32_f16 v9, v1, v15, v9
	;;#ASMEND
	s_nop 0
	;;#ASMSTART
	v_dot2_f32_f16 v9, v2, v16, v9
	;;#ASMEND
	s_nop 0
	;;#ASMSTART
	v_dot2_f32_f16 v9, v3, v17, v9
	;;#ASMEND
	ds_read_b128 v[0:3], v84 offset:80
	ds_read_b128 v[10:13], v88 offset:192
	ds_read_b128 v[14:17], v88 offset:416
	s_waitcnt lgkmcnt(1)
	;;#ASMSTART
	v_dot2_f32_f16 v8, v0, v10, v8
	;;#ASMEND
	s_nop 0
	;;#ASMSTART
	v_dot2_f32_f16 v8, v1, v11, v8
	;;#ASMEND
	s_nop 0
	;;#ASMSTART
	v_dot2_f32_f16 v8, v2, v12, v8
	;;#ASMEND
	s_nop 0
	;;#ASMSTART
	v_dot2_f32_f16 v8, v3, v13, v8
	;;#ASMEND
	s_waitcnt lgkmcnt(0)
	;;#ASMSTART
	v_dot2_f32_f16 v9, v0, v14, v9
	;;#ASMEND
	s_nop 0
	;;#ASMSTART
	v_dot2_f32_f16 v9, v1, v15, v9
	;;#ASMEND
	s_nop 0
	;;#ASMSTART
	v_dot2_f32_f16 v9, v2, v16, v9
	;;#ASMEND
	s_nop 0
	;;#ASMSTART
	v_dot2_f32_f16 v9, v3, v17, v9
	;;#ASMEND
	ds_read_b128 v[0:3], v84 offset:96
	ds_read_b128 v[10:13], v88 offset:208
	ds_read_b128 v[14:17], v88 offset:432
	s_waitcnt lgkmcnt(1)
	;;#ASMSTART
	v_dot2_f32_f16 v8, v0, v10, v8
	;;#ASMEND
	s_nop 0
	;;#ASMSTART
	v_dot2_f32_f16 v8, v1, v11, v8
	;;#ASMEND
	s_nop 0
	;;#ASMSTART
	v_dot2_f32_f16 v8, v2, v12, v8
	;;#ASMEND
	s_nop 0
	;;#ASMSTART
	v_dot2_f32_f16 v8, v3, v13, v8
	;;#ASMEND
	s_waitcnt lgkmcnt(0)
	;;#ASMSTART
	v_dot2_f32_f16 v9, v0, v14, v9
	;;#ASMEND
	v_add_u32_e32 v0, s2, v62
	;;#ASMSTART
	v_dot2_f32_f16 v9, v1, v15, v9
	;;#ASMEND
	v_ashrrev_i32_e32 v1, 31, v0
	;;#ASMSTART
	v_dot2_f32_f16 v9, v2, v16, v9
	;;#ASMEND
	v_lshl_add_u64 v[0:1], v[0:1], 1, s[40:41]
	;;#ASMSTART
	v_dot2_f32_f16 v9, v3, v17, v9
	;;#ASMEND
	global_load_ushort v0, v[0:1], off
	v_and_b32_e32 v1, 0x60, v81
	v_add_u32_e32 v99, 32, v1
	v_cmp_lt_i32_e64 s[14:15], v98, v99
	v_max_f32_e32 v2, v6, v6
	v_max_f32_e32 v3, v7, v7
	v_cndmask_b32_e64 v1, v81, v98, s[14:15]
	v_lshlrev_b32_e32 v1, 2, v1
	v_cmp_lt_i32_e64 s[14:15], v97, v99
	s_barrier
	s_waitcnt vmcnt(0)
	v_cvt_f32_f16_e32 v0, v0
	v_add_f32_e32 v5, v8, v0
	v_add_f32_e32 v0, v9, v0
	;; [unrolled: 1-line block ×4, first 2 shown]
	v_max_f32_e32 v2, v2, v8
	v_max_f32_e32 v3, v3, v9
	ds_bpermute_b32 v8, v1, v2
	ds_bpermute_b32 v1, v1, v3
	v_cndmask_b32_e64 v9, v81, v97, s[14:15]
	v_lshlrev_b32_e32 v9, 2, v9
	v_cmp_lt_i32_e64 s[14:15], v96, v99
	s_waitcnt lgkmcnt(1)
	v_max_f32_e32 v8, v8, v8
	s_waitcnt lgkmcnt(0)
	v_max_f32_e32 v1, v1, v1
	v_max_f32_e32 v2, v2, v8
	v_max_f32_e32 v1, v3, v1
	ds_bpermute_b32 v3, v9, v2
	ds_bpermute_b32 v8, v9, v1
	v_cndmask_b32_e64 v9, v81, v96, s[14:15]
	v_lshlrev_b32_e32 v9, 2, v9
	v_cmp_lt_i32_e64 s[14:15], v95, v99
	s_waitcnt lgkmcnt(1)
	v_max_f32_e32 v3, v3, v3
	s_waitcnt lgkmcnt(0)
	v_max_f32_e32 v8, v8, v8
	;; [unrolled: 11-line block ×3, first 2 shown]
	v_max_f32_e32 v2, v2, v3
	v_max_f32_e32 v1, v1, v8
	ds_bpermute_b32 v3, v9, v2
	ds_bpermute_b32 v8, v9, v1
	v_cndmask_b32_e64 v9, v81, v94, s[14:15]
	v_lshlrev_b32_e32 v9, 2, v9
	s_waitcnt lgkmcnt(1)
	v_max_f32_e32 v3, v3, v3
	s_waitcnt lgkmcnt(0)
	v_max_f32_e32 v8, v8, v8
	v_max_f32_e32 v2, v2, v3
	;; [unrolled: 1-line block ×3, first 2 shown]
	ds_bpermute_b32 v3, v9, v2
	ds_bpermute_b32 v8, v9, v1
	s_waitcnt lgkmcnt(1)
	v_max_f32_e32 v3, v3, v3
	s_waitcnt lgkmcnt(0)
	v_max_f32_e32 v8, v8, v8
	v_max_f32_e32 v74, v2, v3
	v_max_f32_e32 v75, v1, v8
	v_sub_f32_e32 v1, v5, v74
	v_sub_f32_e32 v0, v0, v75
	v_mul_f32_e32 v2, 0x3fb8aa3b, v1
	v_mul_f32_e32 v3, 0x3fb8aa3b, v0
	v_fma_f32 v5, v1, s50, -v2
	v_rndne_f32_e32 v8, v2
	v_fma_f32 v9, v0, s50, -v3
	v_rndne_f32_e32 v10, v3
	v_fmac_f32_e32 v5, 0x32a5705f, v1
	v_sub_f32_e32 v2, v2, v8
	v_fmac_f32_e32 v9, 0x32a5705f, v0
	v_sub_f32_e32 v3, v3, v10
	v_add_f32_e32 v2, v2, v5
	v_cvt_i32_f32_e32 v8, v8
	v_add_f32_e32 v3, v3, v9
	v_exp_f32_e32 v2, v2
	v_cvt_i32_f32_e32 v10, v10
	v_exp_f32_e32 v3, v3
	v_cmp_ngt_f32_e64 s[14:15], s51, v1
	v_ldexp_f32 v2, v2, v8
	v_ldexp_f32 v3, v3, v10
	v_cndmask_b32_e64 v2, 0, v2, s[14:15]
	v_cmp_ngt_f32_e64 s[14:15], s51, v0
	s_nop 1
	v_cndmask_b32_e64 v3, 0, v3, s[14:15]
	v_cmp_nlt_f32_e64 s[14:15], s52, v1
	s_nop 1
	v_cndmask_b32_e64 v76, v93, v2, s[14:15]
	v_cmp_nlt_f32_e64 s[14:15], s52, v0
	s_nop 1
	v_cndmask_b32_e64 v77, v93, v3, s[14:15]
	v_cvt_pk_f16_f32 v0, v76, v77
	ds_write_b32 v4, v0
	s_and_saveexec_b64 s[14:15], s[8:9]
	s_cbranch_execnz .LBB9_46
; %bb.33:                               ;   in Loop: Header=BB9_24 Depth=1
	s_or_b64 exec, exec, s[14:15]
	s_and_saveexec_b64 s[14:15], s[10:11]
	s_cbranch_execnz .LBB9_47
.LBB9_34:                               ;   in Loop: Header=BB9_24 Depth=1
	s_or_b64 exec, exec, s[14:15]
	v_lshlrev_b32_e32 v78, 2, v68
	s_and_saveexec_b64 s[14:15], s[12:13]
	s_cbranch_execz .LBB9_36
.LBB9_35:                               ;   in Loop: Header=BB9_24 Depth=1
	v_lshl_add_u64 v[0:1], v[70:71], 2, s[16:17]
	v_mov_b32_e32 v79, v59
	v_lshl_add_u64 v[0:1], v[0:1], 0, v[78:79]
	global_load_dwordx4 v[0:3], v[0:1], off
	s_waitcnt vmcnt(0)
	ds_write_b128 v92, v[0:3]
.LBB9_36:                               ;   in Loop: Header=BB9_24 Depth=1
	s_or_b64 exec, exec, s[14:15]
	s_waitcnt lgkmcnt(0)
	s_barrier
	ds_read2_b64 v[28:31], v69 offset1:28
	ds_read_b128 v[44:47], v89
	ds_read_b128 v[40:43], v89 offset:16
	ds_read_b128 v[36:39], v89 offset:32
	;; [unrolled: 1-line block ×3, first 2 shown]
	ds_read2_b64 v[24:27], v69 offset0:56 offset1:84
	ds_read2_b64 v[20:23], v69 offset0:112 offset1:140
	;; [unrolled: 1-line block ×4, first 2 shown]
	v_add_u32_e32 v100, 0x800, v69
	v_sub_f32_e32 v102, v6, v74
	v_sub_f32_e32 v101, v7, v75
	ds_read2_b64 v[8:11], v100 offset0:24 offset1:52
	ds_read2_b64 v[4:7], v100 offset0:80 offset1:108
	;; [unrolled: 1-line block ×3, first 2 shown]
	s_or_b32 s36, s2, 16
	s_mul_hi_i32 s37, s36, s44
	s_mul_i32 s36, s36, s44
	s_lshl_b64 s[36:37], s[36:37], 2
	s_add_u32 s36, s48, s36
	v_cmp_ngt_f32_e64 s[18:19], s51, v102
	v_cmp_nlt_f32_e64 s[20:21], s52, v102
	v_cmp_ngt_f32_e64 s[14:15], s51, v101
	v_cmp_nlt_f32_e64 s[16:17], s52, v101
	s_addc_u32 s37, s49, s37
	s_waitcnt lgkmcnt(0)
	s_barrier
	s_and_saveexec_b64 s[42:43], s[8:9]
	s_cbranch_execnz .LBB9_48
; %bb.37:                               ;   in Loop: Header=BB9_24 Depth=1
	s_or_b64 exec, exec, s[42:43]
	s_and_saveexec_b64 s[42:43], s[10:11]
	s_cbranch_execnz .LBB9_49
.LBB9_38:                               ;   in Loop: Header=BB9_24 Depth=1
	s_or_b64 exec, exec, s[42:43]
	s_and_saveexec_b64 s[42:43], s[12:13]
	s_cbranch_execz .LBB9_40
.LBB9_39:                               ;   in Loop: Header=BB9_24 Depth=1
	v_lshl_add_u64 v[104:105], v[70:71], 2, s[36:37]
	v_mov_b32_e32 v79, v59
	v_lshl_add_u64 v[78:79], v[104:105], 0, v[78:79]
	global_load_dwordx4 v[104:107], v[78:79], off
	s_waitcnt vmcnt(0)
	ds_write_b128 v92, v[104:107]
.LBB9_40:                               ;   in Loop: Header=BB9_24 Depth=1
	s_or_b64 exec, exec, s[42:43]
	v_mul_f32_e32 v73, 0x3fb8aa3b, v102
	v_fma_f32 v78, v102, s50, -v73
	v_rndne_f32_e32 v79, v73
	v_fmac_f32_e32 v78, 0x32a5705f, v102
	v_sub_f32_e32 v73, v73, v79
	v_add_f32_e32 v73, v73, v78
	v_cvt_i32_f32_e32 v78, v79
	v_exp_f32_e32 v73, v73
	v_mul_u32_u24_sdwa v102, v44, s53 dst_sel:DWORD dst_unused:UNUSED_PAD src0_sel:WORD_0 src1_sel:DWORD
	v_mul_u32_u24_sdwa v44, v44, s53 dst_sel:DWORD dst_unused:UNUSED_PAD src0_sel:WORD_1 src1_sel:DWORD
	v_pk_mul_f16 v118, v28, v102
	v_ldexp_f32 v73, v73, v78
	v_mul_f32_e32 v78, 0x3fb8aa3b, v101
	v_fma_f32 v79, v101, s50, -v78
	v_fmac_f32_e32 v79, 0x32a5705f, v101
	v_rndne_f32_e32 v101, v78
	v_sub_f32_e32 v78, v78, v101
	v_add_f32_e32 v78, v78, v79
	v_exp_f32_e32 v79, v78
	v_cvt_i32_f32_e32 v101, v101
	v_cndmask_b32_e64 v73, 0, v73, s[18:19]
	v_cndmask_b32_e64 v78, v93, v73, s[20:21]
	v_cvt_f16_f32_e32 v73, v78
	v_ldexp_f32 v79, v79, v101
	v_cndmask_b32_e64 v79, 0, v79, s[14:15]
	v_cndmask_b32_e64 v79, v93, v79, s[16:17]
	v_cvt_f16_f32_e32 v101, v79
	v_mul_u32_u24_e32 v73, 0x10001, v73
	v_pk_mul_f16 v83, v83, v73
	v_pk_mul_f16 v28, v28, v44
	v_mul_u32_u24_e32 v101, 0x10001, v101
	v_pk_mul_f16 v80, v80, v101
	v_mul_u32_u24_sdwa v103, v45, s53 dst_sel:DWORD dst_unused:UNUSED_PAD src0_sel:WORD_0 src1_sel:DWORD
	v_mul_u32_u24_sdwa v45, v45, s53 dst_sel:DWORD dst_unused:UNUSED_PAD src0_sel:WORD_1 src1_sel:DWORD
	v_pk_fma_f16 v73, v82, v73, v118
	v_pk_fma_f16 v28, v63, v101, v28
	v_pk_fma_f16 v63, v29, v102, v83
	v_pk_fma_f16 v29, v29, v44, v80
	v_mul_u32_u24_sdwa v104, v46, s53 dst_sel:DWORD dst_unused:UNUSED_PAD src0_sel:WORD_0 src1_sel:DWORD
	v_mul_u32_u24_sdwa v46, v46, s53 dst_sel:DWORD dst_unused:UNUSED_PAD src0_sel:WORD_1 src1_sel:DWORD
	v_pk_fma_f16 v44, v30, v103, v73
	v_pk_fma_f16 v28, v30, v45, v28
	v_pk_fma_f16 v30, v31, v103, v63
	v_pk_fma_f16 v29, v31, v45, v29
	;; [unrolled: 6-line block ×15, first 2 shown]
	v_pk_fma_f16 v20, v2, v117, v7
	v_pk_fma_f16 v21, v2, v35, v0
	v_pk_fma_f16 v22, v3, v117, v4
	v_pk_fma_f16 v23, v3, v35, v1
	s_waitcnt lgkmcnt(0)
	s_barrier
	ds_read_b128 v[0:3], v89 offset:64
	ds_read2_b64 v[4:7], v69 offset1:28
	ds_read_b128 v[8:11], v89 offset:80
	ds_read_b128 v[12:15], v89 offset:96
	;; [unrolled: 1-line block ×3, first 2 shown]
	s_waitcnt lgkmcnt(4)
	v_mul_u32_u24_sdwa v24, v0, s53 dst_sel:DWORD dst_unused:UNUSED_PAD src0_sel:WORD_0 src1_sel:DWORD
	v_mul_u32_u24_sdwa v0, v0, s53 dst_sel:DWORD dst_unused:UNUSED_PAD src0_sel:WORD_1 src1_sel:DWORD
	s_waitcnt lgkmcnt(3)
	v_pk_fma_f16 v20, v4, v24, v20
	v_pk_fma_f16 v4, v4, v0, v21
	;; [unrolled: 1-line block ×4, first 2 shown]
	v_mul_u32_u24_sdwa v5, v1, s53 dst_sel:DWORD dst_unused:UNUSED_PAD src0_sel:WORD_0 src1_sel:DWORD
	v_pk_fma_f16 v25, v6, v5, v20
	ds_read2_b64 v[20:23], v69 offset0:56 offset1:84
	v_mul_u32_u24_sdwa v1, v1, s53 dst_sel:DWORD dst_unused:UNUSED_PAD src0_sel:WORD_1 src1_sel:DWORD
	v_pk_fma_f16 v4, v6, v1, v4
	v_pk_fma_f16 v5, v7, v5, v24
	;; [unrolled: 1-line block ×3, first 2 shown]
	v_mul_u32_u24_sdwa v1, v2, s53 dst_sel:DWORD dst_unused:UNUSED_PAD src0_sel:WORD_0 src1_sel:DWORD
	v_mul_u32_u24_sdwa v2, v2, s53 dst_sel:DWORD dst_unused:UNUSED_PAD src0_sel:WORD_1 src1_sel:DWORD
	s_waitcnt lgkmcnt(0)
	v_pk_fma_f16 v6, v20, v1, v25
	v_pk_fma_f16 v4, v20, v2, v4
	;; [unrolled: 1-line block ×4, first 2 shown]
	v_mul_u32_u24_sdwa v20, v3, s53 dst_sel:DWORD dst_unused:UNUSED_PAD src0_sel:WORD_0 src1_sel:DWORD
	v_mul_u32_u24_sdwa v21, v3, s53 dst_sel:DWORD dst_unused:UNUSED_PAD src0_sel:WORD_1 src1_sel:DWORD
	ds_read2_b64 v[0:3], v69 offset0:112 offset1:140
	v_pk_fma_f16 v6, v22, v20, v6
	v_pk_fma_f16 v4, v22, v21, v4
	;; [unrolled: 1-line block ×4, first 2 shown]
	v_mul_u32_u24_sdwa v20, v8, s53 dst_sel:DWORD dst_unused:UNUSED_PAD src0_sel:WORD_0 src1_sel:DWORD
	v_mul_u32_u24_sdwa v8, v8, s53 dst_sel:DWORD dst_unused:UNUSED_PAD src0_sel:WORD_1 src1_sel:DWORD
	s_waitcnt lgkmcnt(0)
	v_pk_fma_f16 v6, v0, v20, v6
	v_pk_fma_f16 v0, v0, v8, v4
	;; [unrolled: 1-line block ×4, first 2 shown]
	v_mul_u32_u24_sdwa v8, v9, s53 dst_sel:DWORD dst_unused:UNUSED_PAD src0_sel:WORD_0 src1_sel:DWORD
	v_pk_fma_f16 v21, v2, v8, v6
	ds_read2_b64 v[4:7], v69 offset0:168 offset1:196
	v_mul_u32_u24_sdwa v9, v9, s53 dst_sel:DWORD dst_unused:UNUSED_PAD src0_sel:WORD_1 src1_sel:DWORD
	v_pk_fma_f16 v0, v2, v9, v0
	v_pk_fma_f16 v2, v3, v8, v20
	;; [unrolled: 1-line block ×3, first 2 shown]
	v_mul_u32_u24_sdwa v3, v10, s53 dst_sel:DWORD dst_unused:UNUSED_PAD src0_sel:WORD_0 src1_sel:DWORD
	v_mul_u32_u24_sdwa v8, v10, s53 dst_sel:DWORD dst_unused:UNUSED_PAD src0_sel:WORD_1 src1_sel:DWORD
	s_waitcnt lgkmcnt(0)
	v_pk_fma_f16 v9, v4, v3, v21
	v_pk_fma_f16 v0, v4, v8, v0
	;; [unrolled: 1-line block ×4, first 2 shown]
	v_mul_u32_u24_sdwa v8, v11, s53 dst_sel:DWORD dst_unused:UNUSED_PAD src0_sel:WORD_0 src1_sel:DWORD
	v_mul_u32_u24_sdwa v10, v11, s53 dst_sel:DWORD dst_unused:UNUSED_PAD src0_sel:WORD_1 src1_sel:DWORD
	v_pk_fma_f16 v9, v6, v8, v9
	v_pk_fma_f16 v6, v6, v10, v0
	ds_read2_b64 v[0:3], v69 offset0:224 offset1:252
	v_pk_fma_f16 v4, v7, v8, v4
	v_pk_fma_f16 v5, v7, v10, v5
	v_mul_u32_u24_sdwa v7, v12, s53 dst_sel:DWORD dst_unused:UNUSED_PAD src0_sel:WORD_0 src1_sel:DWORD
	v_mul_u32_u24_sdwa v8, v12, s53 dst_sel:DWORD dst_unused:UNUSED_PAD src0_sel:WORD_1 src1_sel:DWORD
	s_waitcnt lgkmcnt(0)
	v_pk_fma_f16 v9, v0, v7, v9
	v_pk_fma_f16 v0, v0, v8, v6
	;; [unrolled: 1-line block ×4, first 2 shown]
	ds_read2_b64 v[4:7], v100 offset0:24 offset1:52
	v_mul_u32_u24_sdwa v8, v13, s53 dst_sel:DWORD dst_unused:UNUSED_PAD src0_sel:WORD_0 src1_sel:DWORD
	v_mul_u32_u24_sdwa v11, v13, s53 dst_sel:DWORD dst_unused:UNUSED_PAD src0_sel:WORD_1 src1_sel:DWORD
	v_pk_fma_f16 v9, v2, v8, v9
	v_pk_fma_f16 v0, v2, v11, v0
	;; [unrolled: 1-line block ×4, first 2 shown]
	v_mul_u32_u24_sdwa v3, v14, s53 dst_sel:DWORD dst_unused:UNUSED_PAD src0_sel:WORD_0 src1_sel:DWORD
	v_mul_u32_u24_sdwa v8, v14, s53 dst_sel:DWORD dst_unused:UNUSED_PAD src0_sel:WORD_1 src1_sel:DWORD
	s_waitcnt lgkmcnt(0)
	v_pk_fma_f16 v9, v4, v3, v9
	v_pk_fma_f16 v0, v4, v8, v0
	;; [unrolled: 1-line block ×4, first 2 shown]
	v_mul_u32_u24_sdwa v8, v15, s53 dst_sel:DWORD dst_unused:UNUSED_PAD src0_sel:WORD_0 src1_sel:DWORD
	v_mul_u32_u24_sdwa v10, v15, s53 dst_sel:DWORD dst_unused:UNUSED_PAD src0_sel:WORD_1 src1_sel:DWORD
	v_pk_fma_f16 v9, v6, v8, v9
	v_pk_fma_f16 v6, v6, v10, v0
	ds_read2_b64 v[0:3], v100 offset0:80 offset1:108
	v_pk_fma_f16 v4, v7, v8, v4
	v_pk_fma_f16 v5, v7, v10, v5
	v_mul_u32_u24_sdwa v7, v16, s53 dst_sel:DWORD dst_unused:UNUSED_PAD src0_sel:WORD_0 src1_sel:DWORD
	v_mul_u32_u24_sdwa v8, v16, s53 dst_sel:DWORD dst_unused:UNUSED_PAD src0_sel:WORD_1 src1_sel:DWORD
	s_waitcnt lgkmcnt(0)
	v_pk_fma_f16 v9, v0, v7, v9
	v_pk_fma_f16 v0, v0, v8, v6
	;; [unrolled: 1-line block ×4, first 2 shown]
	ds_read2_b64 v[4:7], v100 offset0:136 offset1:164
	s_waitcnt lgkmcnt(0)
	s_barrier
	s_load_dword s14, s[26:27], 0x4
	v_mul_u32_u24_sdwa v8, v17, s53 dst_sel:DWORD dst_unused:UNUSED_PAD src0_sel:WORD_0 src1_sel:DWORD
	v_mul_u32_u24_sdwa v11, v17, s53 dst_sel:DWORD dst_unused:UNUSED_PAD src0_sel:WORD_1 src1_sel:DWORD
	v_pk_fma_f16 v9, v2, v8, v9
	v_pk_fma_f16 v0, v2, v11, v0
	;; [unrolled: 1-line block ×4, first 2 shown]
	v_mul_u32_u24_sdwa v3, v18, s53 dst_sel:DWORD dst_unused:UNUSED_PAD src0_sel:WORD_0 src1_sel:DWORD
	v_mul_u32_u24_sdwa v8, v18, s53 dst_sel:DWORD dst_unused:UNUSED_PAD src0_sel:WORD_1 src1_sel:DWORD
	s_waitcnt lgkmcnt(0)
	s_lshl_b32 s14, s14, 5
	v_pk_fma_f16 v9, v4, v3, v9
	v_pk_fma_f16 v0, v4, v8, v0
	;; [unrolled: 1-line block ×4, first 2 shown]
	v_mul_u32_u24_sdwa v3, v19, s53 dst_sel:DWORD dst_unused:UNUSED_PAD src0_sel:WORD_0 src1_sel:DWORD
	v_mul_u32_u24_sdwa v4, v19, s53 dst_sel:DWORD dst_unused:UNUSED_PAD src0_sel:WORD_1 src1_sel:DWORD
	s_add_i32 s2, s14, s2
	v_pk_fma_f32 v[52:53], v[52:53], v[78:79], v[76:77]
	v_pk_fma_f16 v82, v6, v3, v9
	v_pk_fma_f16 v63, v6, v4, v0
	;; [unrolled: 1-line block ×3, first 2 shown]
	s_cmp_ge_i32 s2, s34
	v_pk_fma_f16 v80, v7, v4, v1
	s_cbranch_scc1 .LBB9_9
; %bb.41:                               ;   in Loop: Header=BB9_24 Depth=1
	v_mov_b32_e32 v6, v74
	v_mov_b32_e32 v7, v75
	s_branch .LBB9_24
.LBB9_42:                               ;   in Loop: Header=BB9_24 Depth=1
	global_load_dwordx4 v[0:3], v[4:5], off offset:96
	s_waitcnt vmcnt(0)
	ds_write_b128 v85, v[0:3]
	s_or_b64 exec, exec, s[16:17]
	v_lshl_add_u64 v[0:1], v[56:57], 2, s[14:15]
	s_and_saveexec_b64 s[16:17], s[4:5]
	s_cbranch_execz .LBB9_26
.LBB9_43:                               ;   in Loop: Header=BB9_24 Depth=1
	v_lshl_add_u64 v[2:3], v[0:1], 0, v[58:59]
	global_load_dwordx4 v[8:11], v[2:3], off offset:64
	s_waitcnt vmcnt(0)
	ds_write_b128 v86, v[8:11]
	s_or_b64 exec, exec, s[16:17]
	v_lshl_add_u64 v[2:3], v[60:61], 2, s[14:15]
	s_and_saveexec_b64 s[14:15], s[6:7]
	s_cbranch_execnz .LBB9_27
	s_branch .LBB9_28
.LBB9_44:                               ;   in Loop: Header=BB9_24 Depth=1
	global_load_dwordx4 v[10:13], v[4:5], off offset:208
	s_waitcnt vmcnt(0)
	ds_write_b128 v85, v[10:13]
	s_or_b64 exec, exec, s[14:15]
	s_and_saveexec_b64 s[14:15], s[4:5]
	s_cbranch_execz .LBB9_30
.LBB9_45:                               ;   in Loop: Header=BB9_24 Depth=1
	v_lshl_add_u64 v[0:1], v[0:1], 0, v[58:59]
	global_load_dwordx4 v[10:13], v[0:1], off offset:176
	s_waitcnt vmcnt(0)
	ds_write_b128 v86, v[10:13]
	s_or_b64 exec, exec, s[14:15]
	s_and_saveexec_b64 s[14:15], s[6:7]
	s_cbranch_execnz .LBB9_31
	s_branch .LBB9_32
.LBB9_46:                               ;   in Loop: Header=BB9_24 Depth=1
	v_lshl_add_u64 v[0:1], v[64:65], 2, s[16:17]
	v_lshl_add_u64 v[0:1], v[0:1], 0, v[58:59]
	global_load_dwordx4 v[0:3], v[0:1], off offset:192
	s_waitcnt vmcnt(0)
	ds_write_b128 v90, v[0:3]
	s_or_b64 exec, exec, s[14:15]
	s_and_saveexec_b64 s[14:15], s[10:11]
	s_cbranch_execz .LBB9_34
.LBB9_47:                               ;   in Loop: Header=BB9_24 Depth=1
	v_lshl_add_u64 v[0:1], v[66:67], 2, s[16:17]
	v_mov_b32_e32 v73, v59
	v_lshl_add_u64 v[0:1], v[0:1], 0, v[72:73]
	global_load_dwordx4 v[0:3], v[0:1], off offset:128
	s_waitcnt vmcnt(0)
	ds_write_b128 v91, v[0:3]
	s_or_b64 exec, exec, s[14:15]
	v_lshlrev_b32_e32 v78, 2, v68
	s_and_saveexec_b64 s[14:15], s[12:13]
	s_cbranch_execnz .LBB9_35
	s_branch .LBB9_36
.LBB9_48:                               ;   in Loop: Header=BB9_24 Depth=1
	v_lshl_add_u64 v[104:105], v[64:65], 2, s[36:37]
	v_lshl_add_u64 v[104:105], v[104:105], 0, v[58:59]
	global_load_dwordx4 v[104:107], v[104:105], off offset:192
	s_waitcnt vmcnt(0)
	ds_write_b128 v90, v[104:107]
	s_or_b64 exec, exec, s[42:43]
	s_and_saveexec_b64 s[42:43], s[10:11]
	s_cbranch_execz .LBB9_38
.LBB9_49:                               ;   in Loop: Header=BB9_24 Depth=1
	v_lshl_add_u64 v[104:105], v[66:67], 2, s[36:37]
	v_mov_b32_e32 v73, v59
	v_lshl_add_u64 v[104:105], v[104:105], 0, v[72:73]
	global_load_dwordx4 v[104:107], v[104:105], off offset:128
	s_waitcnt vmcnt(0)
	ds_write_b128 v91, v[104:107]
	s_or_b64 exec, exec, s[42:43]
	s_and_saveexec_b64 s[42:43], s[12:13]
	s_cbranch_execnz .LBB9_39
	s_branch .LBB9_40
.LBB9_50:
	v_ashrrev_i32_e32 v5, 31, v4
	v_lshl_add_u64 v[4:5], v[4:5], 3, s[30:31]
	v_mov_b32_e32 v6, v74
	v_mov_b32_e32 v7, v0
	global_store_dwordx2 v[4:5], v[6:7], off
	s_or_b64 exec, exec, s[6:7]
	s_andn2_b64 vcc, exec, s[0:1]
	v_mov_b32_e32 v0, 1.0
	s_cbranch_vccnz .LBB9_18
.LBB9_51:
	v_div_scale_f32 v0, s[0:1], v1, v1, 1.0
	v_rcp_f32_e32 v2, v0
	v_div_scale_f32 v4, vcc, 1.0, v1, 1.0
	v_fma_f32 v5, -v0, v2, 1.0
	v_fmac_f32_e32 v2, v5, v2
	v_mul_f32_e32 v5, v4, v2
	v_fma_f32 v6, -v0, v5, v4
	v_fmac_f32_e32 v5, v6, v2
	v_fma_f32 v0, -v0, v5, v4
	v_div_fmas_f32 v0, v0, v2, v5
	v_div_fixup_f32 v0, v0, v1, 1.0
	s_add_i32 s3, s3, s2
	v_add_u32_e32 v2, s3, v3
	s_and_saveexec_b64 s[0:1], s[22:23]
	s_cbranch_execz .LBB9_19
.LBB9_52:
	v_cvt_f32_f16_sdwa v7, v63 dst_sel:DWORD dst_unused:UNUSED_PAD src0_sel:WORD_1
	v_cvt_f32_f16_e32 v6, v63
	v_cvt_f32_f16_sdwa v9, v80 dst_sel:DWORD dst_unused:UNUSED_PAD src0_sel:WORD_1
	v_cvt_f32_f16_e32 v8, v80
	s_movk_i32 s2, 0x70
	v_mad_u64_u32 v[4:5], s[2:3], v2, s2, v[48:49]
	v_mov_b32_e32 v5, 0
	v_lshl_add_u64 v[10:11], v[4:5], 2, s[28:29]
	v_pk_mul_f32 v[4:5], v[0:1], v[6:7] op_sel_hi:[0,1]
	v_pk_mul_f32 v[6:7], v[0:1], v[8:9] op_sel_hi:[0,1]
	global_store_dwordx4 v[10:11], v[4:7], off
	s_or_b64 exec, exec, s[0:1]
	s_and_b64 exec, exec, s[4:5]
	s_cbranch_execnz .LBB9_20
	s_branch .LBB9_21
	.section	.rodata,"a",@progbits
	.p2align	6, 0x0
	.amdhsa_kernel _ZL15flash_attn_tileILi112ELi112ELi2ELi8ELb0EEvPKcS1_S1_S1_S1_PKiPfP15HIP_vector_typeIfLj2EEffffjfiS5_IjLj3EEiiiiiiiiiiiliiliiiiil
		.amdhsa_group_segment_fixed_size 8768
		.amdhsa_private_segment_fixed_size 0
		.amdhsa_kernarg_size 464
		.amdhsa_user_sgpr_count 2
		.amdhsa_user_sgpr_dispatch_ptr 0
		.amdhsa_user_sgpr_queue_ptr 0
		.amdhsa_user_sgpr_kernarg_segment_ptr 1
		.amdhsa_user_sgpr_dispatch_id 0
		.amdhsa_user_sgpr_kernarg_preload_length 0
		.amdhsa_user_sgpr_kernarg_preload_offset 0
		.amdhsa_user_sgpr_private_segment_size 0
		.amdhsa_uses_dynamic_stack 0
		.amdhsa_enable_private_segment 0
		.amdhsa_system_sgpr_workgroup_id_x 1
		.amdhsa_system_sgpr_workgroup_id_y 1
		.amdhsa_system_sgpr_workgroup_id_z 1
		.amdhsa_system_sgpr_workgroup_info 0
		.amdhsa_system_vgpr_workitem_id 1
		.amdhsa_next_free_vgpr 119
		.amdhsa_next_free_sgpr 54
		.amdhsa_accum_offset 120
		.amdhsa_reserve_vcc 1
		.amdhsa_float_round_mode_32 0
		.amdhsa_float_round_mode_16_64 0
		.amdhsa_float_denorm_mode_32 3
		.amdhsa_float_denorm_mode_16_64 3
		.amdhsa_dx10_clamp 1
		.amdhsa_ieee_mode 1
		.amdhsa_fp16_overflow 0
		.amdhsa_tg_split 0
		.amdhsa_exception_fp_ieee_invalid_op 0
		.amdhsa_exception_fp_denorm_src 0
		.amdhsa_exception_fp_ieee_div_zero 0
		.amdhsa_exception_fp_ieee_overflow 0
		.amdhsa_exception_fp_ieee_underflow 0
		.amdhsa_exception_fp_ieee_inexact 0
		.amdhsa_exception_int_div_zero 0
	.end_amdhsa_kernel
	.section	.text._ZL15flash_attn_tileILi112ELi112ELi2ELi8ELb0EEvPKcS1_S1_S1_S1_PKiPfP15HIP_vector_typeIfLj2EEffffjfiS5_IjLj3EEiiiiiiiiiiiliiliiiiil,"axG",@progbits,_ZL15flash_attn_tileILi112ELi112ELi2ELi8ELb0EEvPKcS1_S1_S1_S1_PKiPfP15HIP_vector_typeIfLj2EEffffjfiS5_IjLj3EEiiiiiiiiiiiliiliiiiil,comdat
.Lfunc_end9:
	.size	_ZL15flash_attn_tileILi112ELi112ELi2ELi8ELb0EEvPKcS1_S1_S1_S1_PKiPfP15HIP_vector_typeIfLj2EEffffjfiS5_IjLj3EEiiiiiiiiiiiliiliiiiil, .Lfunc_end9-_ZL15flash_attn_tileILi112ELi112ELi2ELi8ELb0EEvPKcS1_S1_S1_S1_PKiPfP15HIP_vector_typeIfLj2EEffffjfiS5_IjLj3EEiiiiiiiiiiiliiliiiiil
                                        ; -- End function
	.set _ZL15flash_attn_tileILi112ELi112ELi2ELi8ELb0EEvPKcS1_S1_S1_S1_PKiPfP15HIP_vector_typeIfLj2EEffffjfiS5_IjLj3EEiiiiiiiiiiiliiliiiiil.num_vgpr, 119
	.set _ZL15flash_attn_tileILi112ELi112ELi2ELi8ELb0EEvPKcS1_S1_S1_S1_PKiPfP15HIP_vector_typeIfLj2EEffffjfiS5_IjLj3EEiiiiiiiiiiiliiliiiiil.num_agpr, 0
	.set _ZL15flash_attn_tileILi112ELi112ELi2ELi8ELb0EEvPKcS1_S1_S1_S1_PKiPfP15HIP_vector_typeIfLj2EEffffjfiS5_IjLj3EEiiiiiiiiiiiliiliiiiil.numbered_sgpr, 54
	.set _ZL15flash_attn_tileILi112ELi112ELi2ELi8ELb0EEvPKcS1_S1_S1_S1_PKiPfP15HIP_vector_typeIfLj2EEffffjfiS5_IjLj3EEiiiiiiiiiiiliiliiiiil.num_named_barrier, 0
	.set _ZL15flash_attn_tileILi112ELi112ELi2ELi8ELb0EEvPKcS1_S1_S1_S1_PKiPfP15HIP_vector_typeIfLj2EEffffjfiS5_IjLj3EEiiiiiiiiiiiliiliiiiil.private_seg_size, 0
	.set _ZL15flash_attn_tileILi112ELi112ELi2ELi8ELb0EEvPKcS1_S1_S1_S1_PKiPfP15HIP_vector_typeIfLj2EEffffjfiS5_IjLj3EEiiiiiiiiiiiliiliiiiil.uses_vcc, 1
	.set _ZL15flash_attn_tileILi112ELi112ELi2ELi8ELb0EEvPKcS1_S1_S1_S1_PKiPfP15HIP_vector_typeIfLj2EEffffjfiS5_IjLj3EEiiiiiiiiiiiliiliiiiil.uses_flat_scratch, 0
	.set _ZL15flash_attn_tileILi112ELi112ELi2ELi8ELb0EEvPKcS1_S1_S1_S1_PKiPfP15HIP_vector_typeIfLj2EEffffjfiS5_IjLj3EEiiiiiiiiiiiliiliiiiil.has_dyn_sized_stack, 0
	.set _ZL15flash_attn_tileILi112ELi112ELi2ELi8ELb0EEvPKcS1_S1_S1_S1_PKiPfP15HIP_vector_typeIfLj2EEffffjfiS5_IjLj3EEiiiiiiiiiiiliiliiiiil.has_recursion, 0
	.set _ZL15flash_attn_tileILi112ELi112ELi2ELi8ELb0EEvPKcS1_S1_S1_S1_PKiPfP15HIP_vector_typeIfLj2EEffffjfiS5_IjLj3EEiiiiiiiiiiiliiliiiiil.has_indirect_call, 0
	.section	.AMDGPU.csdata,"",@progbits
; Kernel info:
; codeLenInByte = 9060
; TotalNumSgprs: 60
; NumVgprs: 119
; NumAgprs: 0
; TotalNumVgprs: 119
; ScratchSize: 0
; MemoryBound: 0
; FloatMode: 240
; IeeeMode: 1
; LDSByteSize: 8768 bytes/workgroup (compile time only)
; SGPRBlocks: 7
; VGPRBlocks: 14
; NumSGPRsForWavesPerEU: 60
; NumVGPRsForWavesPerEU: 119
; AccumOffset: 120
; Occupancy: 4
; WaveLimiterHint : 1
; COMPUTE_PGM_RSRC2:SCRATCH_EN: 0
; COMPUTE_PGM_RSRC2:USER_SGPR: 2
; COMPUTE_PGM_RSRC2:TRAP_HANDLER: 0
; COMPUTE_PGM_RSRC2:TGID_X_EN: 1
; COMPUTE_PGM_RSRC2:TGID_Y_EN: 1
; COMPUTE_PGM_RSRC2:TGID_Z_EN: 1
; COMPUTE_PGM_RSRC2:TIDIG_COMP_CNT: 1
; COMPUTE_PGM_RSRC3_GFX90A:ACCUM_OFFSET: 29
; COMPUTE_PGM_RSRC3_GFX90A:TG_SPLIT: 0
	.section	.text._ZL25flash_attn_mask_to_KV_maxILi2EEvPK7__half2Piiii,"axG",@progbits,_ZL25flash_attn_mask_to_KV_maxILi2EEvPK7__half2Piiii,comdat
	.globl	_ZL25flash_attn_mask_to_KV_maxILi2EEvPK7__half2Piiii ; -- Begin function _ZL25flash_attn_mask_to_KV_maxILi2EEvPK7__half2Piiii
	.p2align	8
	.type	_ZL25flash_attn_mask_to_KV_maxILi2EEvPK7__half2Piiii,@function
_ZL25flash_attn_mask_to_KV_maxILi2EEvPK7__half2Piiii: ; @_ZL25flash_attn_mask_to_KV_maxILi2EEvPK7__half2Piiii
; %bb.0:
	s_load_dwordx4 s[4:7], s[0:1], 0x0
	v_cmp_gt_u32_e32 vcc, 32, v0
	s_and_saveexec_b64 s[8:9], vcc
; %bb.1:
	v_lshlrev_b32_e32 v1, 2, v0
	v_mov_b32_e32 v2, 1
	ds_write_b32 v1, v2
; %bb.2:
	s_or_b64 exec, exec, s[8:9]
	s_load_dwordx4 s[8:11], s[0:1], 0x10
	s_load_dword s16, s[0:1], 0x20
	v_and_b32_e32 v2, 31, v0
	v_lshlrev_b32_e32 v4, 2, v2
	v_lshrrev_b32_e32 v1, 3, v0
	s_waitcnt lgkmcnt(0)
	s_mul_i32 s1, s2, s9
	s_mul_i32 s0, s10, s3
	s_lshl_b32 s1, s1, 1
	s_add_i32 s0, s0, s1
	s_ashr_i32 s1, s0, 31
	s_lshl_b64 s[0:1], s[0:1], 2
	s_add_u32 s10, s4, s0
	s_addc_u32 s11, s5, s1
	v_cmp_eq_u32_e64 s[0:1], 0, v2
	v_mbcnt_lo_u32_b32 v2, -1, 0
	v_mbcnt_hi_u32_b32 v5, -1, v2
	v_and_b32_e32 v2, 0x60, v5
	s_lshl_b32 s8, s8, 8
	s_mov_b64 s[12:13], 0
	v_mov_b32_e32 v3, 0
	s_movk_i32 s17, 0x204
	v_add_u32_e32 v6, 32, v2
	v_xor_b32_e32 v7, 16, v5
	v_xor_b32_e32 v8, 8, v5
	;; [unrolled: 1-line block ×5, first 2 shown]
	s_barrier
                                        ; implicit-def: $sgpr4_sgpr5
	s_branch .LBB10_5
.LBB10_3:                               ;   in Loop: Header=BB10_5 Depth=1
	s_or_b64 exec, exec, s[14:15]
	s_waitcnt lgkmcnt(0)
	s_barrier
	ds_read_b32 v16, v4
	s_waitcnt lgkmcnt(0)
	s_barrier
	ds_bpermute_b32 v2, v2, v16
	v_cmp_ne_u32_e32 vcc, 0, v16
	s_waitcnt lgkmcnt(0)
	v_cmp_ne_u32_e64 s[4:5], 0, v2
	s_and_b64 s[4:5], vcc, s[4:5]
	s_nop 0
	v_cndmask_b32_e64 v2, 0, 1, s[4:5]
	ds_bpermute_b32 v2, v12, v2
	s_waitcnt lgkmcnt(0)
	v_cmp_ne_u32_e32 vcc, 0, v2
	s_and_b64 s[4:5], vcc, s[4:5]
	v_cndmask_b32_e64 v2, 0, 1, s[4:5]
	ds_bpermute_b32 v2, v13, v2
	s_waitcnt lgkmcnt(0)
	v_cmp_ne_u32_e32 vcc, 0, v2
	s_and_b64 s[4:5], vcc, s[4:5]
	;; [unrolled: 5-line block ×3, first 2 shown]
	v_cndmask_b32_e64 v2, 0, 1, s[4:5]
	ds_bpermute_b32 v2, v15, v2
	s_xor_b64 s[4:5], s[4:5], -1
	s_waitcnt lgkmcnt(0)
	v_cmp_eq_u32_e32 vcc, 0, v2
	s_or_b64 s[4:5], vcc, s[4:5]
.LBB10_4:                               ;   in Loop: Header=BB10_5 Depth=1
	s_and_b64 s[14:15], exec, s[4:5]
	s_or_b64 s[12:13], s[14:15], s[12:13]
	v_mov_b32_e32 v2, s8
	s_mov_b32 s8, s18
	s_andn2_b64 exec, exec, s[12:13]
	s_cbranch_execz .LBB10_12
.LBB10_5:                               ; =>This Inner Loop Header: Depth=1
	s_add_i32 s18, s8, 0xffffff00
	s_or_b64 s[4:5], s[4:5], exec
	s_cmp_lt_i32 s18, 0
	s_cbranch_scc1 .LBB10_4
; %bb.6:                                ;   in Loop: Header=BB10_5 Depth=1
	s_lshr_b32 s4, s18, 1
	v_add_u32_e32 v2, s4, v0
	v_lshl_add_u64 v[12:13], v[2:3], 2, s[10:11]
	global_load_dword v12, v[12:13], off
	s_waitcnt vmcnt(0)
	v_cmp_class_f16_e64 s[4:5], v12, s17
	v_cmp_class_f16_sdwa s[14:15], v12, s17 src0_sel:WORD_1 src1_sel:DWORD
	s_and_b64 s[14:15], s[4:5], s[14:15]
	v_mov_b32_e32 v12, 0
	s_and_saveexec_b64 s[4:5], s[14:15]
	s_cbranch_execz .LBB10_10
; %bb.7:                                ;   in Loop: Header=BB10_5 Depth=1
	v_add_u32_e32 v12, s9, v2
	v_ashrrev_i32_e32 v13, 31, v12
	v_lshl_add_u64 v[12:13], v[12:13], 2, s[10:11]
	global_load_dword v2, v[12:13], off
	v_mov_b32_e32 v12, 0
	s_waitcnt vmcnt(0)
	v_cmp_class_f16_e64 s[20:21], v2, s17
	s_and_saveexec_b64 s[14:15], s[20:21]
; %bb.8:                                ;   in Loop: Header=BB10_5 Depth=1
	v_cmp_class_f16_sdwa s[20:21], v2, s17 src0_sel:WORD_1 src1_sel:DWORD
	s_nop 1
	v_cndmask_b32_e64 v12, 0, 1, s[20:21]
; %bb.9:                                ;   in Loop: Header=BB10_5 Depth=1
	s_or_b64 exec, exec, s[14:15]
.LBB10_10:                              ;   in Loop: Header=BB10_5 Depth=1
	s_or_b64 exec, exec, s[4:5]
	v_cmp_lt_i32_e32 vcc, v7, v6
	s_nop 1
	v_cndmask_b32_e32 v2, v5, v7, vcc
	v_lshlrev_b32_e32 v2, 2, v2
	ds_bpermute_b32 v13, v2, v12
	v_cmp_ne_u32_e32 vcc, 0, v12
	s_waitcnt lgkmcnt(0)
	v_cmp_ne_u32_e64 s[4:5], 0, v13
	s_and_b64 s[4:5], vcc, s[4:5]
	v_cmp_lt_i32_e32 vcc, v8, v6
	v_cndmask_b32_e64 v13, 0, 1, s[4:5]
	s_nop 0
	v_cndmask_b32_e32 v12, v5, v8, vcc
	v_lshlrev_b32_e32 v12, 2, v12
	ds_bpermute_b32 v13, v12, v13
	s_waitcnt lgkmcnt(0)
	v_cmp_ne_u32_e32 vcc, 0, v13
	s_and_b64 s[4:5], vcc, s[4:5]
	v_cmp_lt_i32_e32 vcc, v9, v6
	v_cndmask_b32_e64 v14, 0, 1, s[4:5]
	s_nop 0
	v_cndmask_b32_e32 v13, v5, v9, vcc
	v_lshlrev_b32_e32 v13, 2, v13
	ds_bpermute_b32 v14, v13, v14
	s_waitcnt lgkmcnt(0)
	v_cmp_ne_u32_e32 vcc, 0, v14
	;; [unrolled: 9-line block ×3, first 2 shown]
	s_and_b64 s[4:5], vcc, s[4:5]
	v_cmp_lt_i32_e32 vcc, v11, v6
	v_cndmask_b32_e64 v16, 0, 1, s[4:5]
	s_nop 0
	v_cndmask_b32_e32 v15, v5, v11, vcc
	v_lshlrev_b32_e32 v15, 2, v15
	ds_bpermute_b32 v16, v15, v16
	s_and_saveexec_b64 s[14:15], s[0:1]
	s_cbranch_execz .LBB10_3
; %bb.11:                               ;   in Loop: Header=BB10_5 Depth=1
	s_waitcnt lgkmcnt(0)
	v_cmp_ne_u32_e32 vcc, 0, v16
	s_and_b64 s[4:5], vcc, s[4:5]
	v_cndmask_b32_e64 v16, 0, 1, s[4:5]
	ds_write_b32 v1, v16
	s_branch .LBB10_3
.LBB10_12:
	s_or_b64 exec, exec, s[12:13]
	v_cmp_eq_u32_e32 vcc, 0, v0
	s_and_saveexec_b64 s[0:1], vcc
	s_cbranch_execz .LBB10_14
; %bb.13:
	s_mul_i32 s0, s16, s3
	s_add_i32 s0, s0, s2
	s_ashr_i32 s1, s0, 31
	s_lshl_b64 s[0:1], s[0:1], 2
	s_add_u32 s0, s6, s0
	s_addc_u32 s1, s7, s1
	v_mov_b32_e32 v0, 0
	global_store_dword v0, v2, s[0:1]
.LBB10_14:
	s_endpgm
	.section	.rodata,"a",@progbits
	.p2align	6, 0x0
	.amdhsa_kernel _ZL25flash_attn_mask_to_KV_maxILi2EEvPK7__half2Piiii
		.amdhsa_group_segment_fixed_size 128
		.amdhsa_private_segment_fixed_size 0
		.amdhsa_kernarg_size 288
		.amdhsa_user_sgpr_count 2
		.amdhsa_user_sgpr_dispatch_ptr 0
		.amdhsa_user_sgpr_queue_ptr 0
		.amdhsa_user_sgpr_kernarg_segment_ptr 1
		.amdhsa_user_sgpr_dispatch_id 0
		.amdhsa_user_sgpr_kernarg_preload_length 0
		.amdhsa_user_sgpr_kernarg_preload_offset 0
		.amdhsa_user_sgpr_private_segment_size 0
		.amdhsa_uses_dynamic_stack 0
		.amdhsa_enable_private_segment 0
		.amdhsa_system_sgpr_workgroup_id_x 1
		.amdhsa_system_sgpr_workgroup_id_y 1
		.amdhsa_system_sgpr_workgroup_id_z 0
		.amdhsa_system_sgpr_workgroup_info 0
		.amdhsa_system_vgpr_workitem_id 0
		.amdhsa_next_free_vgpr 17
		.amdhsa_next_free_sgpr 22
		.amdhsa_accum_offset 20
		.amdhsa_reserve_vcc 1
		.amdhsa_float_round_mode_32 0
		.amdhsa_float_round_mode_16_64 0
		.amdhsa_float_denorm_mode_32 3
		.amdhsa_float_denorm_mode_16_64 3
		.amdhsa_dx10_clamp 1
		.amdhsa_ieee_mode 1
		.amdhsa_fp16_overflow 0
		.amdhsa_tg_split 0
		.amdhsa_exception_fp_ieee_invalid_op 0
		.amdhsa_exception_fp_denorm_src 0
		.amdhsa_exception_fp_ieee_div_zero 0
		.amdhsa_exception_fp_ieee_overflow 0
		.amdhsa_exception_fp_ieee_underflow 0
		.amdhsa_exception_fp_ieee_inexact 0
		.amdhsa_exception_int_div_zero 0
	.end_amdhsa_kernel
	.section	.text._ZL25flash_attn_mask_to_KV_maxILi2EEvPK7__half2Piiii,"axG",@progbits,_ZL25flash_attn_mask_to_KV_maxILi2EEvPK7__half2Piiii,comdat
.Lfunc_end10:
	.size	_ZL25flash_attn_mask_to_KV_maxILi2EEvPK7__half2Piiii, .Lfunc_end10-_ZL25flash_attn_mask_to_KV_maxILi2EEvPK7__half2Piiii
                                        ; -- End function
	.set _ZL25flash_attn_mask_to_KV_maxILi2EEvPK7__half2Piiii.num_vgpr, 17
	.set _ZL25flash_attn_mask_to_KV_maxILi2EEvPK7__half2Piiii.num_agpr, 0
	.set _ZL25flash_attn_mask_to_KV_maxILi2EEvPK7__half2Piiii.numbered_sgpr, 22
	.set _ZL25flash_attn_mask_to_KV_maxILi2EEvPK7__half2Piiii.num_named_barrier, 0
	.set _ZL25flash_attn_mask_to_KV_maxILi2EEvPK7__half2Piiii.private_seg_size, 0
	.set _ZL25flash_attn_mask_to_KV_maxILi2EEvPK7__half2Piiii.uses_vcc, 1
	.set _ZL25flash_attn_mask_to_KV_maxILi2EEvPK7__half2Piiii.uses_flat_scratch, 0
	.set _ZL25flash_attn_mask_to_KV_maxILi2EEvPK7__half2Piiii.has_dyn_sized_stack, 0
	.set _ZL25flash_attn_mask_to_KV_maxILi2EEvPK7__half2Piiii.has_recursion, 0
	.set _ZL25flash_attn_mask_to_KV_maxILi2EEvPK7__half2Piiii.has_indirect_call, 0
	.section	.AMDGPU.csdata,"",@progbits
; Kernel info:
; codeLenInByte = 836
; TotalNumSgprs: 28
; NumVgprs: 17
; NumAgprs: 0
; TotalNumVgprs: 17
; ScratchSize: 0
; MemoryBound: 0
; FloatMode: 240
; IeeeMode: 1
; LDSByteSize: 128 bytes/workgroup (compile time only)
; SGPRBlocks: 3
; VGPRBlocks: 2
; NumSGPRsForWavesPerEU: 28
; NumVGPRsForWavesPerEU: 17
; AccumOffset: 20
; Occupancy: 8
; WaveLimiterHint : 0
; COMPUTE_PGM_RSRC2:SCRATCH_EN: 0
; COMPUTE_PGM_RSRC2:USER_SGPR: 2
; COMPUTE_PGM_RSRC2:TRAP_HANDLER: 0
; COMPUTE_PGM_RSRC2:TGID_X_EN: 1
; COMPUTE_PGM_RSRC2:TGID_Y_EN: 1
; COMPUTE_PGM_RSRC2:TGID_Z_EN: 0
; COMPUTE_PGM_RSRC2:TIDIG_COMP_CNT: 0
; COMPUTE_PGM_RSRC3_GFX90A:ACCUM_OFFSET: 4
; COMPUTE_PGM_RSRC3_GFX90A:TG_SPLIT: 0
	.section	.text._ZL33flash_attn_stream_k_fixup_uniformILi112ELi2ELi8EEvPfPK15HIP_vector_typeIfLj2EEiiiiiiS1_IjLj3EES5_S5_,"axG",@progbits,_ZL33flash_attn_stream_k_fixup_uniformILi112ELi2ELi8EEvPfPK15HIP_vector_typeIfLj2EEiiiiiiS1_IjLj3EES5_S5_,comdat
	.globl	_ZL33flash_attn_stream_k_fixup_uniformILi112ELi2ELi8EEvPfPK15HIP_vector_typeIfLj2EEiiiiiiS1_IjLj3EES5_S5_ ; -- Begin function _ZL33flash_attn_stream_k_fixup_uniformILi112ELi2ELi8EEvPfPK15HIP_vector_typeIfLj2EEiiiiiiS1_IjLj3EES5_S5_
	.p2align	8
	.type	_ZL33flash_attn_stream_k_fixup_uniformILi112ELi2ELi8EEvPfPK15HIP_vector_typeIfLj2EEiiiiiiS1_IjLj3EES5_S5_,@function
_ZL33flash_attn_stream_k_fixup_uniformILi112ELi2ELi8EEvPfPK15HIP_vector_typeIfLj2EEiiiiiiS1_IjLj3EES5_S5_: ; @_ZL33flash_attn_stream_k_fixup_uniformILi112ELi2ELi8EEvPfPK15HIP_vector_typeIfLj2EEiiiiiiS1_IjLj3EES5_S5_
; %bb.0:
	s_load_dwordx8 s[8:15], s[0:1], 0x1c
	s_load_dwordx2 s[6:7], s[0:1], 0x10
	s_load_dwordx4 s[16:19], s[0:1], 0x3c
	s_waitcnt lgkmcnt(0)
	s_mul_hi_u32 s5, s11, s2
	s_add_i32 s5, s2, s5
	s_lshr_b32 s5, s5, s12
	s_mul_i32 s11, s5, s13
	s_sub_i32 s12, s2, s11
	s_mul_hi_u32 s11, s12, s14
	s_add_i32 s11, s12, s11
	s_lshr_b32 s11, s11, s15
	s_mul_i32 s13, s11, s16
	s_sub_i32 s12, s12, s13
	;; [unrolled: 5-line block ×3, first 2 shown]
	s_lshl_b32 s12, s16, 1
	s_lshl_b32 s17, s13, 3
	s_add_i32 s12, s12, s3
	s_cmp_lt_i32 s12, s6
	s_cselect_b64 s[12:13], -1, 0
	s_add_i32 s17, s17, s4
	s_cmp_lt_i32 s17, s9
	s_cselect_b64 s[14:15], -1, 0
	s_and_b64 s[12:13], s[12:13], s[14:15]
	s_andn2_b64 vcc, exec, s[12:13]
	s_cbranch_vccnz .LBB11_6
; %bb.1:
	s_load_dwordx4 s[12:15], s[0:1], 0x0
	s_mul_i32 s0, s5, s6
	s_mul_i32 s11, s11, s9
	s_add_i32 s0, s0, s3
	s_mul_i32 s0, s0, s7
	s_add_i32 s5, s17, s11
	;; [unrolled: 2-line block ×3, first 2 shown]
	s_mulk_i32 s1, 0xe0
	s_mulk_i32 s0, 0x70
	s_add_i32 s0, s0, s1
	v_add_u32_e32 v4, s0, v0
	s_waitcnt lgkmcnt(0)
	v_mov_b32_e32 v2, s12
	v_mov_b32_e32 v3, s13
	v_ashrrev_i32_e32 v5, 31, v4
	v_lshl_add_u64 v[2:3], v[4:5], 2, v[2:3]
	global_load_dword v5, v[2:3], off
	s_mul_i32 s5, s10, s2
	s_lshl_b32 s11, s3, 3
	s_add_i32 s9, s5, s10
	s_add_i32 s0, s11, s4
	s_lshl_b32 s1, s9, 4
	s_add_i32 s0, s0, s1
	s_add_i32 s0, s0, -16
	s_ashr_i32 s1, s0, 31
	s_lshl_b64 s[0:1], s[0:1], 3
	s_add_u32 s0, s14, s0
	s_addc_u32 s1, s15, s1
	s_load_dword s12, s[0:1], 0x4
	s_add_i32 s6, s9, -2
	s_cmp_lt_i32 s6, s5
	s_cbranch_scc1 .LBB11_4
; %bb.2:
	s_lshl_b32 s6, s8, 6
	s_ashr_i32 s7, s6, 31
	s_lshl_b64 s[6:7], s[6:7], 2
	s_add_u32 s6, s14, s6
	s_addc_u32 s7, s15, s7
	s_add_i32 s2, s2, 1
	s_load_dword s0, s[0:1], 0x0
	s_mul_i32 s1, s10, s2
	s_lshl_b32 s2, s1, 4
	s_add_i32 s2, s4, s2
	s_mulk_i32 s3, 0x380
	s_mulk_i32 s4, 0x70
	s_lshl_b32 s8, s8, 4
	s_mulk_i32 s1, 0x700
	s_add_i32 s3, s4, s3
	s_add_i32 s2, s2, s8
	;; [unrolled: 1-line block ×4, first 2 shown]
	v_add_u32_e32 v0, s3, v0
	s_add_i32 s9, s9, -1
	s_sub_i32 s2, s2, 32
	v_add_u32_e32 v0, 0xfffff200, v0
	s_waitcnt lgkmcnt(0)
	v_mov_b32_e32 v7, s0
	v_mov_b32_e32 v4, s12
	s_mov_b32 s4, 0x3fb8aa3b
	s_mov_b32 s8, 0xc2ce8ed0
	;; [unrolled: 1-line block ×3, first 2 shown]
	v_mov_b32_e32 v6, 0x7f800000
	s_mov_b32 s11, 0xc1a00000
.LBB11_3:                               ; =>This Inner Loop Header: Depth=1
	v_ashrrev_i32_e32 v1, 31, v0
	v_lshl_add_u64 v[8:9], v[0:1], 2, s[6:7]
	global_load_dword v9, v[8:9], off
	s_ashr_i32 s3, s2, 31
	s_lshl_b64 s[0:1], s[2:3], 3
	s_add_u32 s0, s14, s0
	s_addc_u32 s1, s15, s1
	s_load_dwordx2 s[0:1], s[0:1], 0x0
	v_max_f32_e32 v1, v7, v7
	s_add_i32 s9, s9, -1
	s_add_i32 s2, s2, -16
	v_add_u32_e32 v0, 0xfffff900, v0
	s_waitcnt lgkmcnt(0)
	v_max_f32_e64 v10, s0, s0
	v_max_f32_e32 v1, v1, v10
	v_sub_f32_e32 v11, s0, v1
	v_sub_f32_e32 v10, v7, v1
	v_mul_f32_e32 v12, 0x3fb8aa3b, v11
	v_mov_b32_e32 v7, v1
	v_mul_f32_e32 v1, 0x3fb8aa3b, v10
	v_fma_f32 v15, v11, s4, -v12
	v_rndne_f32_e32 v16, v12
	v_fma_f32 v13, v10, s4, -v1
	v_rndne_f32_e32 v14, v1
	v_fmac_f32_e32 v15, 0x32a5705f, v11
	v_sub_f32_e32 v12, v12, v16
	v_fmac_f32_e32 v13, 0x32a5705f, v10
	v_sub_f32_e32 v1, v1, v14
	v_add_f32_e32 v12, v12, v15
	v_cvt_i32_f32_e32 v16, v16
	v_add_f32_e32 v1, v1, v13
	v_exp_f32_e32 v12, v12
	v_cvt_i32_f32_e32 v14, v14
	v_exp_f32_e32 v1, v1
	v_cmp_ngt_f32_e32 vcc, s8, v11
	v_ldexp_f32 v12, v12, v16
	v_mov_b32_e32 v8, s1
	v_ldexp_f32 v1, v1, v14
	v_cmp_ngt_f32_e64 s[0:1], s8, v10
	v_cndmask_b32_e32 v12, 0, v12, vcc
	v_cmp_nlt_f32_e32 vcc, s10, v11
	v_cndmask_b32_e64 v1, 0, v1, s[0:1]
	v_cmp_nlt_f32_e64 s[0:1], s10, v10
	v_cndmask_b32_e32 v12, v6, v12, vcc
	v_cmp_le_f32_e32 vcc, s11, v11
	v_cndmask_b32_e64 v1, v6, v1, s[0:1]
	v_cmp_le_f32_e64 s[0:1], s11, v10
	v_cndmask_b32_e32 v12, 0, v12, vcc
	s_cmp_le_i32 s9, s5
	v_cndmask_b32_e64 v10, 0, v1, s[0:1]
	s_waitcnt vmcnt(0)
	v_pk_mul_f32 v[8:9], v[8:9], v[12:13] op_sel_hi:[1,0]
	s_nop 0
	v_pk_fma_f32 v[4:5], v[4:5], v[10:11], v[8:9] op_sel_hi:[1,0,1]
	s_cbranch_scc0 .LBB11_3
	s_branch .LBB11_5
.LBB11_4:
	s_waitcnt lgkmcnt(0)
	v_mov_b32_e32 v4, s12
.LBB11_5:
	s_waitcnt vmcnt(0)
	v_div_scale_f32 v0, s[0:1], v4, v4, v5
	v_rcp_f32_e32 v1, v0
	v_div_scale_f32 v6, vcc, v5, v4, v5
	v_fma_f32 v7, -v0, v1, 1.0
	v_fmac_f32_e32 v1, v7, v1
	v_mul_f32_e32 v7, v6, v1
	v_fma_f32 v8, -v0, v7, v6
	v_fmac_f32_e32 v7, v8, v1
	v_fma_f32 v0, -v0, v7, v6
	v_div_fmas_f32 v0, v0, v1, v7
	v_div_fixup_f32 v0, v0, v4, v5
	global_store_dword v[2:3], v0, off
.LBB11_6:
	s_endpgm
	.section	.rodata,"a",@progbits
	.p2align	6, 0x0
	.amdhsa_kernel _ZL33flash_attn_stream_k_fixup_uniformILi112ELi2ELi8EEvPfPK15HIP_vector_typeIfLj2EEiiiiiiS1_IjLj3EES5_S5_
		.amdhsa_group_segment_fixed_size 0
		.amdhsa_private_segment_fixed_size 0
		.amdhsa_kernarg_size 76
		.amdhsa_user_sgpr_count 2
		.amdhsa_user_sgpr_dispatch_ptr 0
		.amdhsa_user_sgpr_queue_ptr 0
		.amdhsa_user_sgpr_kernarg_segment_ptr 1
		.amdhsa_user_sgpr_dispatch_id 0
		.amdhsa_user_sgpr_kernarg_preload_length 0
		.amdhsa_user_sgpr_kernarg_preload_offset 0
		.amdhsa_user_sgpr_private_segment_size 0
		.amdhsa_uses_dynamic_stack 0
		.amdhsa_enable_private_segment 0
		.amdhsa_system_sgpr_workgroup_id_x 1
		.amdhsa_system_sgpr_workgroup_id_y 1
		.amdhsa_system_sgpr_workgroup_id_z 1
		.amdhsa_system_sgpr_workgroup_info 0
		.amdhsa_system_vgpr_workitem_id 0
		.amdhsa_next_free_vgpr 17
		.amdhsa_next_free_sgpr 20
		.amdhsa_accum_offset 20
		.amdhsa_reserve_vcc 1
		.amdhsa_float_round_mode_32 0
		.amdhsa_float_round_mode_16_64 0
		.amdhsa_float_denorm_mode_32 3
		.amdhsa_float_denorm_mode_16_64 3
		.amdhsa_dx10_clamp 1
		.amdhsa_ieee_mode 1
		.amdhsa_fp16_overflow 0
		.amdhsa_tg_split 0
		.amdhsa_exception_fp_ieee_invalid_op 0
		.amdhsa_exception_fp_denorm_src 0
		.amdhsa_exception_fp_ieee_div_zero 0
		.amdhsa_exception_fp_ieee_overflow 0
		.amdhsa_exception_fp_ieee_underflow 0
		.amdhsa_exception_fp_ieee_inexact 0
		.amdhsa_exception_int_div_zero 0
	.end_amdhsa_kernel
	.section	.text._ZL33flash_attn_stream_k_fixup_uniformILi112ELi2ELi8EEvPfPK15HIP_vector_typeIfLj2EEiiiiiiS1_IjLj3EES5_S5_,"axG",@progbits,_ZL33flash_attn_stream_k_fixup_uniformILi112ELi2ELi8EEvPfPK15HIP_vector_typeIfLj2EEiiiiiiS1_IjLj3EES5_S5_,comdat
.Lfunc_end11:
	.size	_ZL33flash_attn_stream_k_fixup_uniformILi112ELi2ELi8EEvPfPK15HIP_vector_typeIfLj2EEiiiiiiS1_IjLj3EES5_S5_, .Lfunc_end11-_ZL33flash_attn_stream_k_fixup_uniformILi112ELi2ELi8EEvPfPK15HIP_vector_typeIfLj2EEiiiiiiS1_IjLj3EES5_S5_
                                        ; -- End function
	.set _ZL33flash_attn_stream_k_fixup_uniformILi112ELi2ELi8EEvPfPK15HIP_vector_typeIfLj2EEiiiiiiS1_IjLj3EES5_S5_.num_vgpr, 17
	.set _ZL33flash_attn_stream_k_fixup_uniformILi112ELi2ELi8EEvPfPK15HIP_vector_typeIfLj2EEiiiiiiS1_IjLj3EES5_S5_.num_agpr, 0
	.set _ZL33flash_attn_stream_k_fixup_uniformILi112ELi2ELi8EEvPfPK15HIP_vector_typeIfLj2EEiiiiiiS1_IjLj3EES5_S5_.numbered_sgpr, 20
	.set _ZL33flash_attn_stream_k_fixup_uniformILi112ELi2ELi8EEvPfPK15HIP_vector_typeIfLj2EEiiiiiiS1_IjLj3EES5_S5_.num_named_barrier, 0
	.set _ZL33flash_attn_stream_k_fixup_uniformILi112ELi2ELi8EEvPfPK15HIP_vector_typeIfLj2EEiiiiiiS1_IjLj3EES5_S5_.private_seg_size, 0
	.set _ZL33flash_attn_stream_k_fixup_uniformILi112ELi2ELi8EEvPfPK15HIP_vector_typeIfLj2EEiiiiiiS1_IjLj3EES5_S5_.uses_vcc, 1
	.set _ZL33flash_attn_stream_k_fixup_uniformILi112ELi2ELi8EEvPfPK15HIP_vector_typeIfLj2EEiiiiiiS1_IjLj3EES5_S5_.uses_flat_scratch, 0
	.set _ZL33flash_attn_stream_k_fixup_uniformILi112ELi2ELi8EEvPfPK15HIP_vector_typeIfLj2EEiiiiiiS1_IjLj3EES5_S5_.has_dyn_sized_stack, 0
	.set _ZL33flash_attn_stream_k_fixup_uniformILi112ELi2ELi8EEvPfPK15HIP_vector_typeIfLj2EEiiiiiiS1_IjLj3EES5_S5_.has_recursion, 0
	.set _ZL33flash_attn_stream_k_fixup_uniformILi112ELi2ELi8EEvPfPK15HIP_vector_typeIfLj2EEiiiiiiS1_IjLj3EES5_S5_.has_indirect_call, 0
	.section	.AMDGPU.csdata,"",@progbits
; Kernel info:
; codeLenInByte = 832
; TotalNumSgprs: 26
; NumVgprs: 17
; NumAgprs: 0
; TotalNumVgprs: 17
; ScratchSize: 0
; MemoryBound: 0
; FloatMode: 240
; IeeeMode: 1
; LDSByteSize: 0 bytes/workgroup (compile time only)
; SGPRBlocks: 3
; VGPRBlocks: 2
; NumSGPRsForWavesPerEU: 26
; NumVGPRsForWavesPerEU: 17
; AccumOffset: 20
; Occupancy: 8
; WaveLimiterHint : 0
; COMPUTE_PGM_RSRC2:SCRATCH_EN: 0
; COMPUTE_PGM_RSRC2:USER_SGPR: 2
; COMPUTE_PGM_RSRC2:TRAP_HANDLER: 0
; COMPUTE_PGM_RSRC2:TGID_X_EN: 1
; COMPUTE_PGM_RSRC2:TGID_Y_EN: 1
; COMPUTE_PGM_RSRC2:TGID_Z_EN: 1
; COMPUTE_PGM_RSRC2:TIDIG_COMP_CNT: 0
; COMPUTE_PGM_RSRC3_GFX90A:ACCUM_OFFSET: 4
; COMPUTE_PGM_RSRC3_GFX90A:TG_SPLIT: 0
	.section	.text._ZL33flash_attn_stream_k_fixup_generalILi112ELi2ELi8EEvPfPK15HIP_vector_typeIfLj2EEiiiiS1_IjLj3EES5_S5_S5_,"axG",@progbits,_ZL33flash_attn_stream_k_fixup_generalILi112ELi2ELi8EEvPfPK15HIP_vector_typeIfLj2EEiiiiS1_IjLj3EES5_S5_S5_,comdat
	.globl	_ZL33flash_attn_stream_k_fixup_generalILi112ELi2ELi8EEvPfPK15HIP_vector_typeIfLj2EEiiiiS1_IjLj3EES5_S5_S5_ ; -- Begin function _ZL33flash_attn_stream_k_fixup_generalILi112ELi2ELi8EEvPfPK15HIP_vector_typeIfLj2EEiiiiS1_IjLj3EES5_S5_S5_
	.p2align	8
	.type	_ZL33flash_attn_stream_k_fixup_generalILi112ELi2ELi8EEvPfPK15HIP_vector_typeIfLj2EEiiiiS1_IjLj3EES5_S5_S5_,@function
_ZL33flash_attn_stream_k_fixup_generalILi112ELi2ELi8EEvPfPK15HIP_vector_typeIfLj2EEiiiiS1_IjLj3EES5_S5_S5_: ; @_ZL33flash_attn_stream_k_fixup_generalILi112ELi2ELi8EEvPfPK15HIP_vector_typeIfLj2EEiiiiS1_IjLj3EES5_S5_S5_
; %bb.0:
	s_load_dwordx4 s[8:11], s[0:1], 0x10
	s_load_dword s22, s[0:1], 0x50
	s_mov_b32 s12, 0
	s_waitcnt lgkmcnt(0)
	s_mul_hi_i32 s13, s11, s2
	s_cmp_lg_u64 s[12:13], 0
	s_mul_i32 s5, s11, s2
	s_cbranch_scc0 .LBB12_20
; %bb.1:
	s_add_u32 s6, s22, 0
	s_addc_u32 s7, 0, 0
	s_xor_b64 s[6:7], s[6:7], 0
	v_cvt_f32_u32_e32 v1, s6
	v_cvt_f32_u32_e32 v2, s7
	s_sub_u32 s12, 0, s6
	s_subb_u32 s18, 0, s7
	v_fmamk_f32 v1, v2, 0x4f800000, v1
	v_rcp_f32_e32 v1, v1
	s_nop 0
	v_mul_f32_e32 v1, 0x5f7ffffc, v1
	v_mul_f32_e32 v2, 0x2f800000, v1
	v_trunc_f32_e32 v2, v2
	v_fmamk_f32 v1, v2, 0xcf800000, v1
	v_cvt_u32_f32_e32 v2, v2
	v_cvt_u32_f32_e32 v1, v1
	v_readfirstlane_b32 s19, v2
	v_readfirstlane_b32 s14, v1
	s_mul_i32 s15, s12, s19
	s_mul_hi_u32 s21, s12, s14
	s_mul_i32 s20, s18, s14
	s_add_i32 s15, s21, s15
	s_add_i32 s15, s15, s20
	s_mul_i32 s23, s12, s14
	s_mul_i32 s21, s14, s15
	s_mul_hi_u32 s24, s14, s23
	s_mul_hi_u32 s20, s14, s15
	s_add_u32 s21, s24, s21
	s_addc_u32 s20, 0, s20
	s_mul_hi_u32 s25, s19, s23
	s_mul_i32 s23, s19, s23
	s_add_u32 s21, s21, s23
	s_mul_hi_u32 s24, s19, s15
	s_addc_u32 s20, s20, s25
	s_addc_u32 s21, s24, 0
	s_mul_i32 s15, s19, s15
	s_add_u32 s15, s20, s15
	s_addc_u32 s20, 0, s21
	s_add_u32 s21, s14, s15
	s_cselect_b64 s[14:15], -1, 0
	s_cmp_lg_u64 s[14:15], 0
	s_addc_u32 s19, s19, s20
	s_mul_i32 s14, s12, s19
	s_mul_hi_u32 s15, s12, s21
	s_add_i32 s14, s15, s14
	s_mul_i32 s18, s18, s21
	s_add_i32 s14, s14, s18
	s_mul_i32 s12, s12, s21
	s_mul_hi_u32 s18, s19, s12
	s_mul_i32 s20, s19, s12
	s_mul_i32 s24, s21, s14
	s_mul_hi_u32 s12, s21, s12
	s_mul_hi_u32 s23, s21, s14
	s_add_u32 s12, s12, s24
	s_addc_u32 s23, 0, s23
	s_add_u32 s12, s12, s20
	s_mul_hi_u32 s15, s19, s14
	s_addc_u32 s12, s23, s18
	s_addc_u32 s15, s15, 0
	s_mul_i32 s14, s19, s14
	s_add_u32 s12, s12, s14
	s_addc_u32 s18, 0, s15
	s_add_u32 s20, s21, s12
	s_cselect_b64 s[14:15], -1, 0
	s_cmp_lg_u64 s[14:15], 0
	s_addc_u32 s18, s19, s18
	s_ashr_i32 s14, s13, 31
	s_add_u32 s12, s5, s14
	s_mov_b32 s15, s14
	s_addc_u32 s13, s13, s14
	s_xor_b64 s[12:13], s[12:13], s[14:15]
	s_mul_i32 s21, s12, s18
	s_mul_hi_u32 s23, s12, s20
	s_mul_hi_u32 s19, s12, s18
	s_add_u32 s21, s23, s21
	s_addc_u32 s19, 0, s19
	s_mul_hi_u32 s24, s13, s20
	s_mul_i32 s20, s13, s20
	s_add_u32 s20, s21, s20
	s_mul_hi_u32 s23, s13, s18
	s_addc_u32 s19, s19, s24
	s_addc_u32 s20, s23, 0
	s_mul_i32 s18, s13, s18
	s_add_u32 s23, s19, s18
	s_addc_u32 s24, 0, s20
	s_mul_i32 s18, s6, s24
	s_mul_hi_u32 s19, s6, s23
	s_add_i32 s18, s19, s18
	s_mul_i32 s19, s7, s23
	s_add_i32 s25, s18, s19
	s_sub_i32 s20, s13, s25
	s_mul_i32 s18, s6, s23
	s_sub_u32 s12, s12, s18
	s_cselect_b64 s[18:19], -1, 0
	s_cmp_lg_u64 s[18:19], 0
	s_subb_u32 s26, s20, s7
	s_sub_u32 s27, s12, s6
	s_cselect_b64 s[20:21], -1, 0
	s_cmp_lg_u64 s[20:21], 0
	s_subb_u32 s20, s26, 0
	s_cmp_ge_u32 s20, s7
	s_cselect_b32 s21, -1, 0
	s_cmp_ge_u32 s27, s6
	s_cselect_b32 s26, -1, 0
	s_cmp_eq_u32 s20, s7
	s_cselect_b32 s20, s26, s21
	s_add_u32 s21, s23, 1
	s_addc_u32 s26, s24, 0
	s_add_u32 s27, s23, 2
	s_addc_u32 s28, s24, 0
	s_cmp_lg_u32 s20, 0
	s_cselect_b32 s20, s27, s21
	s_cselect_b32 s21, s28, s26
	s_cmp_lg_u64 s[18:19], 0
	s_subb_u32 s13, s13, s25
	s_cmp_ge_u32 s13, s7
	s_cselect_b32 s18, -1, 0
	s_cmp_ge_u32 s12, s6
	s_cselect_b32 s6, -1, 0
	s_cmp_eq_u32 s13, s7
	s_cselect_b32 s6, s6, s18
	s_cmp_lg_u32 s6, 0
	s_cselect_b32 s7, s21, s24
	s_cselect_b32 s6, s20, s23
	s_xor_b64 s[12:13], s[14:15], 0
	s_xor_b64 s[6:7], s[6:7], s[12:13]
	s_sub_u32 s6, s6, s12
	s_load_dwordx4 s[12:15], s[0:1], 0x44
	s_cbranch_execnz .LBB12_3
.LBB12_2:
	v_cvt_f32_u32_e32 v1, s22
	s_sub_i32 s6, 0, s22
	v_rcp_iflag_f32_e32 v1, v1
	s_nop 0
	v_mul_f32_e32 v1, 0x4f7ffffe, v1
	v_cvt_u32_f32_e32 v1, v1
	s_nop 0
	v_readfirstlane_b32 s7, v1
	s_mul_i32 s6, s6, s7
	s_mul_hi_u32 s6, s7, s6
	s_add_i32 s7, s7, s6
	s_mul_hi_u32 s6, s5, s7
	s_waitcnt lgkmcnt(0)
	s_mul_i32 s15, s6, s22
	s_sub_i32 s5, s5, s15
	s_add_i32 s7, s6, 1
	s_sub_i32 s15, s5, s22
	s_cmp_ge_u32 s5, s22
	s_cselect_b32 s6, s7, s6
	s_cselect_b32 s5, s15, s5
	s_add_i32 s7, s6, 1
	s_cmp_ge_u32 s5, s22
	s_cselect_b32 s6, s7, s6
.LBB12_3:
	s_add_i32 s5, s2, 1
	s_mul_hi_i32 s21, s11, s5
	s_mov_b32 s20, 0
	s_cmp_lg_u64 s[20:21], 0
	s_mul_i32 s5, s11, s5
	s_cbranch_scc0 .LBB12_21
; %bb.4:
	s_add_u32 s16, s22, 0
	s_addc_u32 s17, 0, 0
	s_xor_b64 s[18:19], s[16:17], 0
	v_cvt_f32_u32_e32 v1, s18
	v_cvt_f32_u32_e32 v2, s19
	s_sub_u32 s7, 0, s18
	s_waitcnt lgkmcnt(0)
	s_subb_u32 s15, 0, s19
	v_fmamk_f32 v1, v2, 0x4f800000, v1
	v_rcp_f32_e32 v1, v1
	s_nop 0
	v_mul_f32_e32 v1, 0x5f7ffffc, v1
	v_mul_f32_e32 v2, 0x2f800000, v1
	v_trunc_f32_e32 v2, v2
	v_fmamk_f32 v1, v2, 0xcf800000, v1
	v_cvt_u32_f32_e32 v2, v2
	v_cvt_u32_f32_e32 v1, v1
	v_readfirstlane_b32 s20, v2
	v_readfirstlane_b32 s23, v1
	s_mul_i32 s24, s7, s20
	s_mul_hi_u32 s26, s7, s23
	s_mul_i32 s25, s15, s23
	s_add_i32 s24, s26, s24
	s_add_i32 s24, s24, s25
	s_mul_i32 s27, s7, s23
	s_mul_i32 s26, s23, s24
	s_mul_hi_u32 s28, s23, s27
	s_mul_hi_u32 s25, s23, s24
	s_add_u32 s26, s28, s26
	s_addc_u32 s25, 0, s25
	s_mul_hi_u32 s29, s20, s27
	s_mul_i32 s27, s20, s27
	s_add_u32 s26, s26, s27
	s_mul_hi_u32 s28, s20, s24
	s_addc_u32 s25, s25, s29
	s_addc_u32 s26, s28, 0
	s_mul_i32 s24, s20, s24
	s_add_u32 s24, s25, s24
	s_addc_u32 s26, 0, s26
	s_add_u32 s23, s23, s24
	s_cselect_b64 s[24:25], -1, 0
	s_cmp_lg_u64 s[24:25], 0
	s_addc_u32 s20, s20, s26
	s_mul_i32 s24, s7, s20
	s_mul_hi_u32 s25, s7, s23
	s_add_i32 s24, s25, s24
	s_mul_i32 s15, s15, s23
	s_add_i32 s24, s24, s15
	s_mul_i32 s7, s7, s23
	s_mul_hi_u32 s25, s20, s7
	s_mul_i32 s26, s20, s7
	s_mul_i32 s28, s23, s24
	s_mul_hi_u32 s7, s23, s7
	s_mul_hi_u32 s27, s23, s24
	s_add_u32 s7, s7, s28
	s_addc_u32 s27, 0, s27
	s_add_u32 s7, s7, s26
	s_mul_hi_u32 s15, s20, s24
	s_addc_u32 s7, s27, s25
	s_addc_u32 s15, s15, 0
	s_mul_i32 s24, s20, s24
	s_add_u32 s7, s7, s24
	s_addc_u32 s15, 0, s15
	s_add_u32 s7, s23, s7
	s_cselect_b64 s[24:25], -1, 0
	s_cmp_lg_u64 s[24:25], 0
	s_addc_u32 s15, s20, s15
	s_ashr_i32 s24, s21, 31
	s_add_u32 s20, s5, s24
	s_mov_b32 s25, s24
	s_addc_u32 s21, s21, s24
	s_xor_b64 s[20:21], s[20:21], s[24:25]
	s_mul_i32 s26, s20, s15
	s_mul_hi_u32 s27, s20, s7
	s_mul_hi_u32 s23, s20, s15
	s_add_u32 s26, s27, s26
	s_addc_u32 s23, 0, s23
	s_mul_hi_u32 s28, s21, s7
	s_mul_i32 s7, s21, s7
	s_add_u32 s7, s26, s7
	s_mul_hi_u32 s27, s21, s15
	s_addc_u32 s7, s23, s28
	s_addc_u32 s23, s27, 0
	s_mul_i32 s15, s21, s15
	s_add_u32 s7, s7, s15
	s_addc_u32 s15, 0, s23
	s_mul_i32 s23, s18, s15
	s_mul_hi_u32 s26, s18, s7
	s_add_i32 s23, s26, s23
	s_mul_i32 s26, s19, s7
	s_add_i32 s23, s23, s26
	s_sub_i32 s28, s21, s23
	s_mul_i32 s26, s18, s7
	s_sub_u32 s20, s20, s26
	s_cselect_b64 s[26:27], -1, 0
	s_cmp_lg_u64 s[26:27], 0
	s_subb_u32 s30, s28, s19
	s_sub_u32 s31, s20, s18
	s_cselect_b64 s[28:29], -1, 0
	s_cmp_lg_u64 s[28:29], 0
	s_subb_u32 s28, s30, 0
	s_cmp_ge_u32 s28, s19
	s_cselect_b32 s29, -1, 0
	s_cmp_ge_u32 s31, s18
	s_cselect_b32 s30, -1, 0
	s_cmp_eq_u32 s28, s19
	s_cselect_b32 s28, s30, s29
	s_add_u32 s29, s7, 1
	s_addc_u32 s30, s15, 0
	s_add_u32 s31, s7, 2
	s_addc_u32 s33, s15, 0
	s_cmp_lg_u32 s28, 0
	s_cselect_b32 s28, s31, s29
	s_cselect_b32 s29, s33, s30
	s_cmp_lg_u64 s[26:27], 0
	s_subb_u32 s21, s21, s23
	s_cmp_ge_u32 s21, s19
	s_cselect_b32 s23, -1, 0
	s_cmp_ge_u32 s20, s18
	s_cselect_b32 s18, -1, 0
	s_cmp_eq_u32 s21, s19
	s_cselect_b32 s18, s18, s23
	s_cmp_lg_u32 s18, 0
	s_cselect_b32 s19, s29, s15
	s_cselect_b32 s18, s28, s7
	s_xor_b64 s[20:21], s[24:25], 0
	s_xor_b64 s[18:19], s[18:19], s[20:21]
	s_sub_u32 s18, s18, s20
	s_cbranch_execnz .LBB12_6
.LBB12_5:
	v_cvt_f32_u32_e32 v1, s22
	s_sub_i32 s7, 0, s22
	v_rcp_iflag_f32_e32 v1, v1
	s_nop 0
	v_mul_f32_e32 v1, 0x4f7ffffe, v1
	v_cvt_u32_f32_e32 v1, v1
	s_waitcnt lgkmcnt(0)
	v_readfirstlane_b32 s15, v1
	s_mul_i32 s7, s7, s15
	s_mul_hi_u32 s7, s15, s7
	s_add_i32 s15, s15, s7
	s_mul_hi_u32 s7, s5, s15
	s_mul_i32 s16, s7, s22
	s_sub_i32 s5, s5, s16
	s_add_i32 s15, s7, 1
	s_sub_i32 s16, s5, s22
	s_cmp_ge_u32 s5, s22
	s_cselect_b32 s7, s15, s7
	s_cselect_b32 s5, s16, s5
	s_add_i32 s15, s7, 1
	s_cmp_ge_u32 s5, s22
	s_cselect_b32 s18, s15, s7
.LBB12_6:
	s_cmp_eq_u32 s6, s18
	s_waitcnt lgkmcnt(0)
	s_mul_hi_u32 s5, s6, s12
	s_cselect_b64 s[16:17], -1, 0
	s_add_i32 s5, s5, s6
	s_lshr_b32 s7, s5, s13
	s_mul_i32 s5, s7, s14
	s_cmp_eq_u32 s5, s6
	s_mul_hi_u32 s5, s18, s12
	s_cselect_b64 s[20:21], -1, 0
	s_add_i32 s5, s5, s18
	s_lshr_b32 s5, s5, s13
	s_cmp_eq_u32 s7, s5
	s_mul_i32 s5, s5, s14
	s_cselect_b64 s[24:25], -1, 0
	s_cmp_lg_u32 s5, s18
	s_cselect_b64 s[18:19], -1, 0
	s_and_b64 s[18:19], s[24:25], s[18:19]
	s_or_b64 s[16:17], s[16:17], s[20:21]
	s_or_b64 s[16:17], s[16:17], s[18:19]
	s_and_b64 vcc, exec, s[16:17]
	s_cbranch_vccnz .LBB12_23
; %bb.7:
	s_load_dwordx8 s[24:31], s[0:1], 0x20
	s_load_dword s5, s[0:1], 0x40
	s_waitcnt lgkmcnt(0)
	s_mul_hi_u32 s15, s6, s24
	s_add_i32 s15, s15, s6
	s_lshr_b32 s20, s15, s25
	s_mul_i32 s15, s20, s26
	s_sub_i32 s15, s6, s15
	s_mul_hi_u32 s16, s15, s27
	s_add_i32 s16, s15, s16
	s_lshr_b32 s21, s16, s28
	s_mul_i32 s16, s21, s29
	s_sub_i32 s15, s15, s16
	;; [unrolled: 5-line block ×3, first 2 shown]
	s_mul_hi_u32 s15, s5, s12
	s_add_i32 s5, s5, s15
	s_lshr_b32 s23, s5, s13
	s_lshl_b32 s5, s23, 1
	s_lshl_b32 s24, s16, 3
	s_add_i32 s5, s5, s3
	s_cmp_lt_i32 s5, s8
	s_cselect_b64 s[16:17], -1, 0
	s_add_i32 s24, s24, s4
	s_cmp_lt_i32 s24, s10
	s_cselect_b64 s[18:19], -1, 0
	s_and_b64 s[16:17], s[16:17], s[18:19]
	s_andn2_b64 vcc, exec, s[16:17]
	s_cbranch_vccnz .LBB12_23
; %bb.8:
	s_load_dwordx4 s[16:19], s[0:1], 0x0
	s_mov_b32 s0, 0
	s_lshl_b32 s15, s3, 3
	s_lshl_b32 s26, s22, 6
	s_mov_b32 s27, s0
	s_add_i32 s15, s15, s4
	s_lshl_b64 s[4:5], s[26:27], 2
	s_waitcnt lgkmcnt(0)
	s_add_u32 s4, s18, s4
	s_mul_i32 s1, s20, s8
	s_addc_u32 s5, s19, s5
	s_mul_i32 s21, s21, s10
	s_add_i32 s1, s1, s3
	s_mul_i32 s1, s1, s9
	s_add_i32 s3, s24, s21
	;; [unrolled: 2-line block ×3, first 2 shown]
	s_mulk_i32 s8, 0xe0
	s_mulk_i32 s1, 0x70
	s_add_i32 s8, s8, s1
	v_add_u32_e32 v4, s8, v0
	v_mov_b32_e32 v2, s16
	v_mov_b32_e32 v3, s17
	v_ashrrev_i32_e32 v5, 31, v4
	v_lshl_add_u64 v[2:3], v[4:5], 2, v[2:3]
	global_load_dword v1, v[2:3], off
	v_cvt_f32_u32_e32 v4, s22
	s_lshl_b32 s1, s2, 4
	s_add_i32 s8, s15, s1
	s_ashr_i32 s9, s8, 31
	s_lshl_b64 s[8:9], s[8:9], 3
	v_rcp_iflag_f32_e32 v4, v4
	s_add_u32 s8, s18, s8
	s_addc_u32 s9, s19, s9
	s_load_dwordx2 s[8:9], s[8:9], 0x0
	v_mul_f32_e32 v4, 0x4f7ffffe, v4
	v_cvt_u32_f32_e32 v7, v4
	s_mul_i32 s1, s15, 0x70
	s_add_i32 s21, s2, -1
	v_add_u32_e32 v6, s1, v0
	s_waitcnt lgkmcnt(0)
	v_mov_b32_e32 v0, s9
	v_mov_b32_e32 v9, s8
	s_mov_b32 s10, 0x3fb8aa3b
	s_mov_b32 s20, 0xc2ce8ed0
	;; [unrolled: 1-line block ×4, first 2 shown]
	v_mov_b32_e32 v8, 0x7f800000
	s_mul_hi_i32 s1, s21, s11
	s_cmp_lg_u64 s[0:1], 0
	s_mul_i32 s16, s21, s11
	s_cbranch_scc0 .LBB12_19
.LBB12_9:
	s_add_u32 s2, s22, 0
	s_addc_u32 s3, 0, 0
	s_xor_b64 s[2:3], s[2:3], 0
	v_cvt_f32_u32_e32 v4, s2
	v_cvt_f32_u32_e32 v5, s3
	s_sub_u32 s17, 0, s2
	s_subb_u32 s25, 0, s3
	v_fmac_f32_e32 v4, 0x4f800000, v5
	v_rcp_f32_e32 v4, v4
	s_nop 0
	v_mul_f32_e32 v4, 0x5f7ffffc, v4
	v_mul_f32_e32 v5, 0x2f800000, v4
	v_trunc_f32_e32 v5, v5
	v_fmac_f32_e32 v4, 0xcf800000, v5
	v_cvt_u32_f32_e32 v5, v5
	v_cvt_u32_f32_e32 v4, v4
	v_readfirstlane_b32 s26, v5
	v_readfirstlane_b32 s8, v4
	s_mul_i32 s9, s17, s26
	s_mul_hi_u32 s28, s17, s8
	s_mul_i32 s27, s25, s8
	s_add_i32 s9, s28, s9
	s_mul_i32 s29, s17, s8
	s_add_i32 s9, s9, s27
	s_mul_i32 s28, s8, s9
	s_mul_hi_u32 s30, s8, s29
	s_mul_hi_u32 s27, s8, s9
	s_add_u32 s28, s30, s28
	s_addc_u32 s27, 0, s27
	s_mul_hi_u32 s31, s26, s29
	s_mul_i32 s29, s26, s29
	s_add_u32 s28, s28, s29
	s_mul_hi_u32 s30, s26, s9
	s_addc_u32 s27, s27, s31
	s_addc_u32 s28, s30, 0
	s_mul_i32 s9, s26, s9
	s_add_u32 s9, s27, s9
	s_addc_u32 s27, 0, s28
	s_add_u32 s28, s8, s9
	s_cselect_b64 s[8:9], -1, 0
	s_cmp_lg_u64 s[8:9], 0
	s_addc_u32 s26, s26, s27
	s_mul_i32 s8, s17, s26
	s_mul_hi_u32 s9, s17, s28
	s_add_i32 s8, s9, s8
	s_mul_i32 s25, s25, s28
	s_add_i32 s8, s8, s25
	s_mul_i32 s17, s17, s28
	s_mul_hi_u32 s25, s26, s17
	s_mul_i32 s27, s26, s17
	s_mul_i32 s30, s28, s8
	s_mul_hi_u32 s17, s28, s17
	s_mul_hi_u32 s29, s28, s8
	s_add_u32 s17, s17, s30
	s_addc_u32 s29, 0, s29
	s_add_u32 s17, s17, s27
	s_mul_hi_u32 s9, s26, s8
	s_addc_u32 s17, s29, s25
	s_addc_u32 s9, s9, 0
	s_mul_i32 s8, s26, s8
	s_add_u32 s8, s17, s8
	s_addc_u32 s17, 0, s9
	s_add_u32 s25, s28, s8
	s_cselect_b64 s[8:9], -1, 0
	s_cmp_lg_u64 s[8:9], 0
	s_addc_u32 s17, s26, s17
	s_ashr_i32 s8, s1, 31
	s_add_u32 s26, s16, s8
	s_mov_b32 s9, s8
	s_addc_u32 s27, s1, s8
	s_xor_b64 s[26:27], s[26:27], s[8:9]
	s_mul_i32 s28, s26, s17
	s_mul_hi_u32 s29, s26, s25
	s_mul_hi_u32 s1, s26, s17
	s_add_u32 s28, s29, s28
	s_addc_u32 s1, 0, s1
	s_mul_hi_u32 s30, s27, s25
	s_mul_i32 s25, s27, s25
	s_add_u32 s25, s28, s25
	s_mul_hi_u32 s29, s27, s17
	s_addc_u32 s1, s1, s30
	s_addc_u32 s25, s29, 0
	s_mul_i32 s17, s27, s17
	s_add_u32 s1, s1, s17
	s_addc_u32 s17, 0, s25
	s_mul_i32 s25, s2, s17
	s_mul_hi_u32 s28, s2, s1
	s_add_i32 s25, s28, s25
	s_mul_i32 s28, s3, s1
	s_add_i32 s25, s25, s28
	s_sub_i32 s30, s27, s25
	s_mul_i32 s28, s2, s1
	s_sub_u32 s26, s26, s28
	s_cselect_b64 s[28:29], -1, 0
	s_cmp_lg_u64 s[28:29], 0
	s_subb_u32 s33, s30, s3
	s_sub_u32 s34, s26, s2
	s_cselect_b64 s[30:31], -1, 0
	s_cmp_lg_u64 s[30:31], 0
	s_subb_u32 s30, s33, 0
	s_cmp_ge_u32 s30, s3
	s_cselect_b32 s31, -1, 0
	s_cmp_ge_u32 s34, s2
	s_cselect_b32 s33, -1, 0
	s_cmp_eq_u32 s30, s3
	s_cselect_b32 s30, s33, s31
	s_add_u32 s31, s1, 1
	s_addc_u32 s33, s17, 0
	s_add_u32 s34, s1, 2
	s_addc_u32 s35, s17, 0
	s_cmp_lg_u32 s30, 0
	s_cselect_b32 s30, s34, s31
	s_cselect_b32 s31, s35, s33
	s_cmp_lg_u64 s[28:29], 0
	s_subb_u32 s25, s27, s25
	s_cmp_ge_u32 s25, s3
	s_cselect_b32 s27, -1, 0
	s_cmp_ge_u32 s26, s2
	s_cselect_b32 s2, -1, 0
	s_cmp_eq_u32 s25, s3
	s_cselect_b32 s2, s2, s27
	s_cmp_lg_u32 s2, 0
	s_cselect_b32 s3, s31, s17
	s_cselect_b32 s2, s30, s1
	s_xor_b64 s[8:9], s[8:9], 0
	s_xor_b64 s[2:3], s[2:3], s[8:9]
	s_sub_u32 s8, s2, s8
	s_cbranch_execnz .LBB12_11
.LBB12_10:
	s_sub_i32 s1, 0, s22
	v_readfirstlane_b32 s2, v7
	s_mul_i32 s1, s1, s2
	s_mul_hi_u32 s1, s2, s1
	s_add_i32 s2, s2, s1
	s_mul_hi_u32 s1, s16, s2
	s_mul_i32 s3, s1, s22
	s_sub_i32 s3, s16, s3
	s_add_i32 s2, s1, 1
	s_sub_i32 s8, s3, s22
	s_cmp_ge_u32 s3, s22
	s_cselect_b32 s1, s2, s1
	s_cselect_b32 s3, s8, s3
	s_add_i32 s2, s1, 1
	s_cmp_ge_u32 s3, s22
	s_cselect_b32 s8, s2, s1
.LBB12_11:
	s_cmp_lg_u32 s6, s8
	s_cbranch_scc0 .LBB12_15
; %bb.12:
	s_add_i32 s1, s21, s22
	s_lshl_b32 s1, s1, 4
	s_add_i32 s2, s1, s15
	s_mov_b32 s3, s0
	s_lshl_b64 s[2:3], s[2:3], 3
	s_add_u32 s16, s18, s2
	s_mul_hi_u32 s1, s8, s12
	s_addc_u32 s17, s19, s3
	s_add_i32 s1, s1, s8
	s_lshr_b32 s1, s1, s13
	s_mul_i32 s2, s1, s14
	s_cmp_eq_u32 s2, s8
	s_cselect_b64 s[2:3], -1, 0
	s_cmp_lt_u32 s1, s7
	s_cselect_b64 s[26:27], -1, 0
	s_or_b64 s[26:27], s[26:27], s[2:3]
	s_mov_b64 s[2:3], -1
	s_and_b64 vcc, exec, s[26:27]
	s_mov_b32 s1, s21
	s_mov_b32 s25, s6
	s_cbranch_vccnz .LBB12_14
; %bb.13:
	s_add_i32 s1, s21, -1
	s_mov_b64 s[2:3], 0
	s_mov_b32 s25, s8
.LBB12_14:
	s_mul_i32 s8, s21, 0x700
	v_add_u32_e32 v4, s8, v6
	v_ashrrev_i32_e32 v5, 31, v4
	v_lshl_add_u64 v[4:5], v[4:5], 2, s[4:5]
	global_load_dword v5, v[4:5], off
	s_load_dwordx2 s[8:9], s[16:17], 0x0
	v_max_f32_e32 v4, v9, v9
	s_waitcnt lgkmcnt(0)
	v_max_f32_e64 v10, s8, s8
	v_max_f32_e32 v10, v4, v10
	v_sub_f32_e32 v11, v9, v10
	v_sub_f32_e32 v13, s8, v10
	v_mul_f32_e32 v4, 0x3fb8aa3b, v11
	v_mul_f32_e32 v12, 0x3fb8aa3b, v13
	v_fma_f32 v14, v11, s10, -v4
	v_rndne_f32_e32 v15, v4
	v_fma_f32 v16, v13, s10, -v12
	v_rndne_f32_e32 v17, v12
	v_fmac_f32_e32 v14, 0x32a5705f, v11
	v_sub_f32_e32 v4, v4, v15
	v_fmac_f32_e32 v16, 0x32a5705f, v13
	v_sub_f32_e32 v12, v12, v17
	v_add_f32_e32 v4, v4, v14
	v_cvt_i32_f32_e32 v15, v15
	v_add_f32_e32 v12, v12, v16
	v_exp_f32_e32 v14, v4
	v_cvt_i32_f32_e32 v17, v17
	v_exp_f32_e32 v12, v12
	v_cmp_ngt_f32_e32 vcc, s20, v11
	v_ldexp_f32 v14, v14, v15
	v_mov_b32_e32 v4, s9
	v_ldexp_f32 v12, v12, v17
	v_cndmask_b32_e32 v14, 0, v14, vcc
	v_cmp_ngt_f32_e32 vcc, s20, v13
	s_nop 1
	v_cndmask_b32_e32 v12, 0, v12, vcc
	v_cmp_nlt_f32_e32 vcc, s23, v11
	s_nop 1
	v_cndmask_b32_e32 v14, v8, v14, vcc
	v_cmp_nlt_f32_e32 vcc, s23, v13
	s_nop 1
	v_cndmask_b32_e32 v15, v8, v12, vcc
	v_cmp_le_f32_e32 vcc, s24, v11
	s_nop 1
	v_cndmask_b32_e32 v12, 0, v14, vcc
	v_cmp_le_f32_e32 vcc, s24, v13
	s_nop 1
	v_cndmask_b32_e32 v14, 0, v15, vcc
	s_waitcnt vmcnt(0)
	v_pk_mul_f32 v[4:5], v[4:5], v[14:15] op_sel_hi:[1,0]
	s_nop 0
	v_pk_fma_f32 v[4:5], v[0:1], v[12:13], v[4:5] op_sel_hi:[1,0,1]
	s_cbranch_execz .LBB12_16
	s_branch .LBB12_17
.LBB12_15:
                                        ; implicit-def: $vgpr4_vgpr5
                                        ; implicit-def: $sgpr2_sgpr3
                                        ; implicit-def: $vgpr10
                                        ; implicit-def: $sgpr1
                                        ; implicit-def: $sgpr25
.LBB12_16:
	s_add_i32 s1, s21, -1
	s_mov_b64 s[2:3], 0
	s_mov_b32 s25, s6
	v_mov_b32_e32 v10, v9
	s_waitcnt vmcnt(0)
	v_mov_b64_e32 v[4:5], v[0:1]
.LBB12_17:
	s_andn2_b64 vcc, exec, s[2:3]
	s_cbranch_vccz .LBB12_22
; %bb.18:
	s_mov_b32 s6, s25
	s_mov_b32 s21, s1
	v_mov_b32_e32 v9, v10
	s_waitcnt vmcnt(0)
	v_mov_b64_e32 v[0:1], v[4:5]
	s_mul_hi_i32 s1, s21, s11
	s_cmp_lg_u64 s[0:1], 0
	s_mul_i32 s16, s21, s11
	s_cbranch_scc1 .LBB12_9
.LBB12_19:
                                        ; implicit-def: $sgpr8_sgpr9
	s_branch .LBB12_10
.LBB12_20:
                                        ; implicit-def: $sgpr6_sgpr7
	s_load_dwordx4 s[12:15], s[0:1], 0x44
	s_branch .LBB12_2
.LBB12_21:
                                        ; implicit-def: $sgpr18_sgpr19
	s_branch .LBB12_5
.LBB12_22:
	v_div_scale_f32 v0, s[0:1], v4, v4, v5
	s_waitcnt vmcnt(0)
	v_rcp_f32_e32 v1, v0
	v_div_scale_f32 v6, vcc, v5, v4, v5
	v_fma_f32 v7, -v0, v1, 1.0
	v_fmac_f32_e32 v1, v7, v1
	v_mul_f32_e32 v7, v6, v1
	v_fma_f32 v8, -v0, v7, v6
	v_fmac_f32_e32 v7, v8, v1
	v_fma_f32 v0, -v0, v7, v6
	v_div_fmas_f32 v0, v0, v1, v7
	v_div_fixup_f32 v0, v0, v4, v5
	global_store_dword v[2:3], v0, off
.LBB12_23:
	s_endpgm
	.section	.rodata,"a",@progbits
	.p2align	6, 0x0
	.amdhsa_kernel _ZL33flash_attn_stream_k_fixup_generalILi112ELi2ELi8EEvPfPK15HIP_vector_typeIfLj2EEiiiiS1_IjLj3EES5_S5_S5_
		.amdhsa_group_segment_fixed_size 0
		.amdhsa_private_segment_fixed_size 0
		.amdhsa_kernarg_size 336
		.amdhsa_user_sgpr_count 2
		.amdhsa_user_sgpr_dispatch_ptr 0
		.amdhsa_user_sgpr_queue_ptr 0
		.amdhsa_user_sgpr_kernarg_segment_ptr 1
		.amdhsa_user_sgpr_dispatch_id 0
		.amdhsa_user_sgpr_kernarg_preload_length 0
		.amdhsa_user_sgpr_kernarg_preload_offset 0
		.amdhsa_user_sgpr_private_segment_size 0
		.amdhsa_uses_dynamic_stack 0
		.amdhsa_enable_private_segment 0
		.amdhsa_system_sgpr_workgroup_id_x 1
		.amdhsa_system_sgpr_workgroup_id_y 1
		.amdhsa_system_sgpr_workgroup_id_z 1
		.amdhsa_system_sgpr_workgroup_info 0
		.amdhsa_system_vgpr_workitem_id 0
		.amdhsa_next_free_vgpr 18
		.amdhsa_next_free_sgpr 36
		.amdhsa_accum_offset 20
		.amdhsa_reserve_vcc 1
		.amdhsa_float_round_mode_32 0
		.amdhsa_float_round_mode_16_64 0
		.amdhsa_float_denorm_mode_32 3
		.amdhsa_float_denorm_mode_16_64 3
		.amdhsa_dx10_clamp 1
		.amdhsa_ieee_mode 1
		.amdhsa_fp16_overflow 0
		.amdhsa_tg_split 0
		.amdhsa_exception_fp_ieee_invalid_op 0
		.amdhsa_exception_fp_denorm_src 0
		.amdhsa_exception_fp_ieee_div_zero 0
		.amdhsa_exception_fp_ieee_overflow 0
		.amdhsa_exception_fp_ieee_underflow 0
		.amdhsa_exception_fp_ieee_inexact 0
		.amdhsa_exception_int_div_zero 0
	.end_amdhsa_kernel
	.section	.text._ZL33flash_attn_stream_k_fixup_generalILi112ELi2ELi8EEvPfPK15HIP_vector_typeIfLj2EEiiiiS1_IjLj3EES5_S5_S5_,"axG",@progbits,_ZL33flash_attn_stream_k_fixup_generalILi112ELi2ELi8EEvPfPK15HIP_vector_typeIfLj2EEiiiiS1_IjLj3EES5_S5_S5_,comdat
.Lfunc_end12:
	.size	_ZL33flash_attn_stream_k_fixup_generalILi112ELi2ELi8EEvPfPK15HIP_vector_typeIfLj2EEiiiiS1_IjLj3EES5_S5_S5_, .Lfunc_end12-_ZL33flash_attn_stream_k_fixup_generalILi112ELi2ELi8EEvPfPK15HIP_vector_typeIfLj2EEiiiiS1_IjLj3EES5_S5_S5_
                                        ; -- End function
	.set _ZL33flash_attn_stream_k_fixup_generalILi112ELi2ELi8EEvPfPK15HIP_vector_typeIfLj2EEiiiiS1_IjLj3EES5_S5_S5_.num_vgpr, 18
	.set _ZL33flash_attn_stream_k_fixup_generalILi112ELi2ELi8EEvPfPK15HIP_vector_typeIfLj2EEiiiiS1_IjLj3EES5_S5_S5_.num_agpr, 0
	.set _ZL33flash_attn_stream_k_fixup_generalILi112ELi2ELi8EEvPfPK15HIP_vector_typeIfLj2EEiiiiS1_IjLj3EES5_S5_S5_.numbered_sgpr, 36
	.set _ZL33flash_attn_stream_k_fixup_generalILi112ELi2ELi8EEvPfPK15HIP_vector_typeIfLj2EEiiiiS1_IjLj3EES5_S5_S5_.num_named_barrier, 0
	.set _ZL33flash_attn_stream_k_fixup_generalILi112ELi2ELi8EEvPfPK15HIP_vector_typeIfLj2EEiiiiS1_IjLj3EES5_S5_S5_.private_seg_size, 0
	.set _ZL33flash_attn_stream_k_fixup_generalILi112ELi2ELi8EEvPfPK15HIP_vector_typeIfLj2EEiiiiS1_IjLj3EES5_S5_S5_.uses_vcc, 1
	.set _ZL33flash_attn_stream_k_fixup_generalILi112ELi2ELi8EEvPfPK15HIP_vector_typeIfLj2EEiiiiS1_IjLj3EES5_S5_S5_.uses_flat_scratch, 0
	.set _ZL33flash_attn_stream_k_fixup_generalILi112ELi2ELi8EEvPfPK15HIP_vector_typeIfLj2EEiiiiS1_IjLj3EES5_S5_S5_.has_dyn_sized_stack, 0
	.set _ZL33flash_attn_stream_k_fixup_generalILi112ELi2ELi8EEvPfPK15HIP_vector_typeIfLj2EEiiiiS1_IjLj3EES5_S5_S5_.has_recursion, 0
	.set _ZL33flash_attn_stream_k_fixup_generalILi112ELi2ELi8EEvPfPK15HIP_vector_typeIfLj2EEiiiiS1_IjLj3EES5_S5_S5_.has_indirect_call, 0
	.section	.AMDGPU.csdata,"",@progbits
; Kernel info:
; codeLenInByte = 2944
; TotalNumSgprs: 42
; NumVgprs: 18
; NumAgprs: 0
; TotalNumVgprs: 18
; ScratchSize: 0
; MemoryBound: 0
; FloatMode: 240
; IeeeMode: 1
; LDSByteSize: 0 bytes/workgroup (compile time only)
; SGPRBlocks: 5
; VGPRBlocks: 2
; NumSGPRsForWavesPerEU: 42
; NumVGPRsForWavesPerEU: 18
; AccumOffset: 20
; Occupancy: 8
; WaveLimiterHint : 0
; COMPUTE_PGM_RSRC2:SCRATCH_EN: 0
; COMPUTE_PGM_RSRC2:USER_SGPR: 2
; COMPUTE_PGM_RSRC2:TRAP_HANDLER: 0
; COMPUTE_PGM_RSRC2:TGID_X_EN: 1
; COMPUTE_PGM_RSRC2:TGID_Y_EN: 1
; COMPUTE_PGM_RSRC2:TGID_Z_EN: 1
; COMPUTE_PGM_RSRC2:TIDIG_COMP_CNT: 0
; COMPUTE_PGM_RSRC3_GFX90A:ACCUM_OFFSET: 4
; COMPUTE_PGM_RSRC3_GFX90A:TG_SPLIT: 0
	.section	.text._ZL15flash_attn_tileILi112ELi112ELi1ELi8ELb0EEvPKcS1_S1_S1_S1_PKiPfP15HIP_vector_typeIfLj2EEffffjfiS5_IjLj3EEiiiiiiiiiiiliiliiiiil,"axG",@progbits,_ZL15flash_attn_tileILi112ELi112ELi1ELi8ELb0EEvPKcS1_S1_S1_S1_PKiPfP15HIP_vector_typeIfLj2EEffffjfiS5_IjLj3EEiiiiiiiiiiiliiliiiiil,comdat
	.globl	_ZL15flash_attn_tileILi112ELi112ELi1ELi8ELb0EEvPKcS1_S1_S1_S1_PKiPfP15HIP_vector_typeIfLj2EEffffjfiS5_IjLj3EEiiiiiiiiiiiliiliiiiil ; -- Begin function _ZL15flash_attn_tileILi112ELi112ELi1ELi8ELb0EEvPKcS1_S1_S1_S1_PKiPfP15HIP_vector_typeIfLj2EEffffjfiS5_IjLj3EEiiiiiiiiiiiliiliiiiil
	.p2align	8
	.type	_ZL15flash_attn_tileILi112ELi112ELi1ELi8ELb0EEvPKcS1_S1_S1_S1_PKiPfP15HIP_vector_typeIfLj2EEffffjfiS5_IjLj3EEiiiiiiiiiiiliiliiiiil,@function
_ZL15flash_attn_tileILi112ELi112ELi1ELi8ELb0EEvPKcS1_S1_S1_S1_PKiPfP15HIP_vector_typeIfLj2EEffffjfiS5_IjLj3EEiiiiiiiiiiiliiliiiiil: ; @_ZL15flash_attn_tileILi112ELi112ELi1ELi8ELb0EEvPKcS1_S1_S1_S1_PKiPfP15HIP_vector_typeIfLj2EEffffjfiS5_IjLj3EEiiiiiiiiiiiliiliiiiil
; %bb.0:
	s_load_dwordx4 s[28:31], s[0:1], 0x5c
	s_load_dwordx2 s[34:35], s[0:1], 0x80
	s_load_dwordx16 s[12:27], s[0:1], 0x0
	s_mov_b64 s[36:37], 0
	s_waitcnt lgkmcnt(0)
	s_ashr_i32 s5, s31, 31
	s_lshr_b32 s5, s5, 29
	s_add_i32 s5, s31, s5
	s_ashr_i32 s5, s5, 3
	v_cvt_f32_u32_e32 v1, s5
	s_sub_i32 s6, 0, s5
	v_rcp_iflag_f32_e32 v1, v1
	s_nop 0
	v_mul_f32_e32 v1, 0x4f7ffffe, v1
	v_cvt_u32_f32_e32 v1, v1
	s_nop 0
	v_readfirstlane_b32 s7, v1
	s_mul_i32 s6, s6, s7
	s_mul_hi_u32 s6, s7, s6
	s_add_i32 s7, s7, s6
	s_mul_hi_u32 s6, s4, s7
	s_mul_i32 s7, s6, s5
	s_sub_i32 s7, s4, s7
	s_add_i32 s8, s6, 1
	s_sub_i32 s9, s7, s5
	s_cmp_ge_u32 s7, s5
	s_cselect_b32 s6, s8, s6
	s_cselect_b32 s7, s9, s7
	s_add_i32 s8, s6, 1
	s_cmp_ge_u32 s7, s5
	s_cselect_b32 s33, s8, s6
	s_abs_i32 s5, s35
	v_cvt_f32_u32_e32 v1, s5
	s_sub_i32 s8, 0, s5
	s_abs_i32 s7, s31
	s_lshl_b32 s6, s4, 3
	v_rcp_iflag_f32_e32 v1, v1
	s_xor_b32 s4, s31, s35
	s_ashr_i32 s4, s4, 31
	v_mul_f32_e32 v1, 0x4f7ffffe, v1
	v_cvt_u32_f32_e32 v1, v1
	s_nop 0
	v_readfirstlane_b32 s9, v1
	s_mul_i32 s8, s8, s9
	s_mul_hi_u32 s8, s9, s8
	s_add_i32 s9, s9, s8
	s_mul_hi_u32 s8, s7, s9
	s_mul_i32 s9, s8, s5
	s_sub_i32 s7, s7, s9
	s_add_i32 s10, s8, 1
	s_sub_i32 s9, s7, s5
	s_cmp_ge_u32 s7, s5
	s_cselect_b32 s8, s10, s8
	s_cselect_b32 s7, s9, s7
	s_add_i32 s9, s8, 1
	s_cmp_ge_u32 s7, s5
	s_cselect_b32 s5, s9, s8
	s_xor_b32 s5, s5, s4
	s_sub_i32 s9, s5, s4
	s_abs_i32 s8, s9
	v_cvt_f32_u32_e32 v1, s8
	s_load_dwordx2 s[4:5], s[0:1], 0xb8
	s_mul_i32 s7, s33, s31
	s_cmp_eq_u64 s[18:19], 0
	v_rcp_iflag_f32_e32 v1, v1
	s_nop 0
	v_mul_f32_e32 v1, 0x4f7ffffe, v1
	v_cvt_u32_f32_e32 v1, v1
	s_nop 0
	v_readfirstlane_b32 s10, v1
	s_cbranch_scc1 .LBB13_2
; %bb.1:
	s_waitcnt lgkmcnt(0)
	s_abs_i32 s4, s4
	v_cvt_f32_u32_e32 v1, s4
	s_sub_i32 s38, 0, s4
	s_abs_i32 s35, s33
	s_ashr_i32 s11, s33, 31
	v_rcp_iflag_f32_e32 v1, v1
	s_load_dwordx2 s[36:37], s[0:1], 0xc8
	v_mul_f32_e32 v1, 0x4f7ffffe, v1
	v_cvt_u32_f32_e32 v1, v1
	s_nop 0
	v_readfirstlane_b32 s39, v1
	s_mul_i32 s38, s38, s39
	s_mul_hi_u32 s38, s39, s38
	s_add_i32 s39, s39, s38
	s_mul_hi_u32 s38, s35, s39
	s_mul_i32 s38, s38, s4
	s_sub_i32 s35, s35, s38
	s_sub_i32 s38, s35, s4
	s_cmp_ge_u32 s35, s4
	s_cselect_b32 s35, s38, s35
	s_sub_i32 s38, s35, s4
	s_cmp_ge_u32 s35, s4
	s_cselect_b32 s4, s38, s35
	s_xor_b32 s4, s4, s11
	s_sub_i32 s4, s4, s11
	s_ashr_i32 s11, s4, 31
	s_waitcnt lgkmcnt(0)
	s_mul_hi_u32 s35, s36, s4
	s_mul_i32 s11, s36, s11
	s_mul_i32 s37, s37, s4
	s_add_i32 s11, s35, s11
	s_add_i32 s11, s11, s37
	s_mul_i32 s4, s36, s4
	s_add_u32 s36, s18, s4
	s_addc_u32 s37, s19, s11
.LBB13_2:
	v_bfe_u32 v1, v0, 10, 10
	v_and_b32_e32 v40, 0x3ff, v0
	s_waitcnt lgkmcnt(0)
	s_movk_i32 s4, 0xe0
	v_mov_b32_e32 v0, 0x1040
	s_sub_i32 s35, s6, s7
	v_cmp_gt_u32_e64 s[18:19], 28, v40
	v_mad_u32_u24 v63, v1, s4, v0
	v_lshlrev_b32_e32 v66, 3, v40
	v_and_b32_e32 v57, 7, v1
	v_lshrrev_b32_e32 v41, 3, v1
	s_and_saveexec_b64 s[6:7], s[18:19]
	s_cbranch_execz .LBB13_4
; %bb.3:
	s_load_dwordx4 s[40:43], s[0:1], 0x70
	s_waitcnt lgkmcnt(0)
	s_mul_i32 s4, s33, s42
	s_ashr_i32 s39, s4, 31
	s_mul_i32 s11, s35, s41
	s_add_u32 s4, s12, s4
	s_addc_u32 s13, s13, s39
	s_ashr_i32 s39, s11, 31
	s_add_u32 s12, s4, s11
	s_mov_b32 s38, s41
	s_addc_u32 s13, s13, s39
	s_ashr_i32 s39, s41, 31
	s_lshr_b64 s[42:43], s[38:39], 2
	v_mad_u64_u32 v[2:3], s[42:43], s42, v57, 0
	v_mov_b32_e32 v0, v3
	s_lshr_b32 s4, s39, 2
	v_mad_u64_u32 v[4:5], s[38:39], s4, v57, v[0:1]
	v_add_u32_e32 v0, s2, v41
	v_mov_b32_e32 v3, v4
	v_mul_hi_u32 v4, s28, v0
	v_add_u32_e32 v4, v0, v4
	v_lshrrev_b32_e32 v4, s29, v4
	s_ashr_i32 s41, s40, 31
	v_mul_lo_u32 v4, v4, s30
	v_lshl_add_u64 v[2:3], v[2:3], 2, s[12:13]
	s_lshr_b64 s[12:13], s[40:41], 2
	v_sub_u32_e32 v6, v0, v4
	v_mad_u64_u32 v[4:5], s[12:13], s12, v6, 0
	v_mov_b32_e32 v0, v5
	s_lshr_b32 s4, s41, 2
	v_mad_u64_u32 v[6:7], s[12:13], s4, v6, v[0:1]
	v_mov_b32_e32 v5, v6
	v_lshl_add_u64 v[2:3], v[4:5], 2, v[2:3]
	v_lshlrev_b32_e32 v4, 4, v40
	v_mov_b32_e32 v5, 0
	v_lshl_add_u64 v[2:3], v[2:3], 0, v[4:5]
	global_load_dwordx4 v[2:5], v[2:3], off
	s_load_dword s4, s[0:1], 0x40
	v_add_u32_e32 v0, v63, v66
	s_waitcnt vmcnt(0) lgkmcnt(0)
	v_fma_mixlo_f16 v6, s4, v2, 0
	v_mov_b32_e32 v2, v5
	v_pk_mul_f32 v[2:3], s[4:5], v[2:3] op_sel_hi:[0,1]
	v_cvt_pk_f16_f32 v2, v2, v3
	v_fma_mixlo_f16 v4, s4, v4, 0
	v_and_b32_e32 v5, 0xffff, v6
	v_lshlrev_b32_e32 v3, 16, v2
	v_and_b32_e32 v2, 0xffff0000, v2
	v_and_b32_e32 v4, 0xffff, v4
	v_or_b32_e32 v2, v2, v5
	v_or3_b32 v3, v3, v4, 0
	v_or3_b32 v2, 0, 0, v2
	ds_write_b64 v0, v[2:3]
.LBB13_4:
	s_or_b64 exec, exec, s[6:7]
	s_cmp_eq_u64 s[22:23], 0
	s_waitcnt lgkmcnt(0)
	s_barrier
	s_cbranch_scc1 .LBB13_6
; %bb.5:
	s_load_dword s4, s[0:1], 0xd0
	s_mov_b32 s7, 0
	s_waitcnt lgkmcnt(0)
	s_mul_i32 s4, s4, s33
	s_add_i32 s6, s4, s2
	s_lshl_b64 s[6:7], s[6:7], 2
	s_add_u32 s6, s22, s6
	s_addc_u32 s7, s23, s7
	s_load_dword s34, s[6:7], 0x0
.LBB13_6:
	s_lshl_b32 s40, s3, 5
	s_waitcnt lgkmcnt(0)
	s_cmp_lt_i32 s40, s34
	v_mbcnt_lo_u32_b32 v0, -1, 0
	s_cbranch_scc1 .LBB13_11
; %bb.7:
	v_mbcnt_hi_u32_b32 v51, -1, v0
	v_and_b32_e32 v2, 0x60, v51
	v_add_u32_e32 v80, 32, v2
	v_xor_b32_e32 v81, 16, v51
	v_xor_b32_e32 v82, 8, v51
	;; [unrolled: 1-line block ×5, first 2 shown]
	s_cbranch_execz .LBB13_12
; %bb.8:
	v_mov_b32_e32 v67, 0
	v_mov_b32_e32 v86, 0
	;; [unrolled: 1-line block ×4, first 2 shown]
.LBB13_9:
	v_cmp_lt_i32_e32 vcc, v81, v80
	s_cmp_lg_u64 s[20:21], 0
	s_cselect_b64 s[4:5], -1, 0
	v_cndmask_b32_e32 v0, v51, v81, vcc
	v_lshlrev_b32_e32 v0, 2, v0
	ds_bpermute_b32 v0, v0, v86
	v_cmp_lt_i32_e32 vcc, v82, v80
	s_cmp_eq_u32 s3, 0
	s_cselect_b64 s[6:7], -1, 0
	v_cndmask_b32_e32 v1, v51, v82, vcc
	v_lshlrev_b32_e32 v1, 2, v1
	s_waitcnt lgkmcnt(0)
	v_add_f32_e32 v0, v86, v0
	ds_bpermute_b32 v1, v1, v0
	v_cmp_lt_i32_e32 vcc, v83, v80
	s_and_b64 s[4:5], s[6:7], s[4:5]
	s_waitcnt lgkmcnt(0)
	v_add_f32_e32 v0, v0, v1
	v_cndmask_b32_e32 v2, v51, v83, vcc
	v_lshlrev_b32_e32 v2, 2, v2
	ds_bpermute_b32 v1, v2, v0
	v_cmp_lt_i32_e32 vcc, v84, v80
	s_waitcnt lgkmcnt(0)
	v_add_f32_e32 v0, v0, v1
	v_cndmask_b32_e32 v2, v51, v84, vcc
	v_lshlrev_b32_e32 v2, 2, v2
	ds_bpermute_b32 v1, v2, v0
	v_cmp_lt_i32_e32 vcc, v85, v80
	v_add_u32_e32 v2, s35, v57
	s_waitcnt lgkmcnt(0)
	v_add_f32_e32 v0, v0, v1
	v_cndmask_b32_e32 v3, v51, v85, vcc
	v_lshlrev_b32_e32 v3, 2, v3
	ds_bpermute_b32 v1, v3, v0
	s_and_b64 vcc, exec, s[4:5]
	s_waitcnt lgkmcnt(0)
	v_add_f32_e32 v63, v0, v1
	s_cbranch_vccz .LBB13_39
; %bb.10:
	v_ashrrev_i32_e32 v3, 31, v2
	v_lshl_add_u64 v[0:1], v[2:3], 2, s[20:21]
	global_load_dword v1, v[0:1], off
	v_max_f32_e32 v0, v62, v62
	s_mov_b32 s4, 0x3fb8aa3b
	s_mov_b32 s5, 0xc2ce8ed0
	s_waitcnt vmcnt(0)
	v_max_f32_e32 v3, v1, v1
	v_max_f32_e32 v0, v0, v3
	v_sub_f32_e32 v3, v62, v0
	v_sub_f32_e32 v1, v1, v0
	v_mul_f32_e32 v4, 0x3fb8aa3b, v3
	v_mul_f32_e32 v5, 0x3fb8aa3b, v1
	v_fma_f32 v6, v3, s4, -v4
	v_rndne_f32_e32 v7, v4
	v_fma_f32 v8, v1, s4, -v5
	v_rndne_f32_e32 v9, v5
	v_fmac_f32_e32 v6, 0x32a5705f, v3
	v_sub_f32_e32 v4, v4, v7
	v_fmac_f32_e32 v8, 0x32a5705f, v1
	v_sub_f32_e32 v5, v5, v9
	v_add_f32_e32 v4, v4, v6
	v_cvt_i32_f32_e32 v7, v7
	v_add_f32_e32 v5, v5, v8
	v_exp_f32_e32 v4, v4
	v_cvt_i32_f32_e32 v9, v9
	v_exp_f32_e32 v5, v5
	v_cmp_ngt_f32_e32 vcc, s5, v3
	v_ldexp_f32 v4, v4, v7
	s_mov_b32 s4, 0x42b17218
	v_ldexp_f32 v5, v5, v9
	v_cndmask_b32_e32 v4, 0, v4, vcc
	v_cmp_ngt_f32_e32 vcc, s5, v1
	v_mov_b32_e32 v6, 0x7f800000
	s_nop 0
	v_cndmask_b32_e32 v5, 0, v5, vcc
	v_cmp_nlt_f32_e32 vcc, s4, v3
	s_nop 1
	v_cndmask_b32_e32 v3, v6, v4, vcc
	v_cvt_f16_f32_e32 v4, v3
	v_cmp_nlt_f32_e32 vcc, s4, v1
	s_nop 1
	v_cndmask_b32_e32 v1, v6, v5, vcc
	v_fmac_f32_e32 v1, v63, v3
	v_mul_u32_u24_e32 v3, 0x10001, v4
	v_pk_mul_f16 v68, v68, v3
	v_pk_mul_f16 v67, v67, v3
	v_mov_b64_e32 v[62:63], v[0:1]
	s_branch .LBB13_40
.LBB13_11:
                                        ; implicit-def: $vgpr51
                                        ; implicit-def: $vgpr80
                                        ; implicit-def: $vgpr81
                                        ; implicit-def: $vgpr82
                                        ; implicit-def: $vgpr83
                                        ; implicit-def: $vgpr84
                                        ; implicit-def: $vgpr85
.LBB13_12:
	s_load_dwordx2 s[6:7], s[0:1], 0x8c
	s_load_dwordx4 s[44:47], s[0:1], 0x98
	s_sub_i32 s4, 0, s8
	s_ashr_i32 s22, s5, 1
	s_ashr_i32 s5, s33, 31
	s_mul_i32 s4, s4, s10
	s_waitcnt lgkmcnt(0)
	s_ashr_i32 s42, s6, 2
	s_mul_hi_u32 s6, s44, s33
	s_mul_i32 s23, s44, s5
	s_mul_hi_u32 s4, s10, s4
	s_add_i32 s6, s6, s23
	s_mul_i32 s23, s45, s33
	s_abs_i32 s12, s35
	s_add_i32 s10, s10, s4
	s_ashr_i32 s13, s35, 31
	s_ashr_i32 s9, s9, 31
	;; [unrolled: 1-line block ×3, first 2 shown]
	s_add_i32 s6, s6, s23
	s_mul_i32 s23, s44, s33
	s_mul_hi_u32 s4, s12, s10
	s_add_u32 s14, s14, s23
	s_addc_u32 s6, s15, s6
	s_xor_b32 s9, s13, s9
	s_mul_i32 s13, s4, s8
	s_sub_i32 s12, s12, s13
	s_add_i32 s13, s4, 1
	s_sub_i32 s15, s12, s8
	s_cmp_ge_u32 s12, s8
	s_cselect_b32 s4, s13, s4
	s_cselect_b32 s12, s15, s12
	s_add_i32 s13, s4, 1
	s_cmp_ge_u32 s12, s8
	s_cselect_b32 s4, s13, s4
	s_load_dwordx2 s[10:11], s[0:1], 0xa8
	s_xor_b32 s4, s4, s9
	s_sub_i32 s4, s4, s9
	s_mul_i32 s7, s4, s7
	s_ashr_i32 s8, s7, 31
	v_add_u32_e32 v9, s2, v41
	s_add_u32 s43, s14, s7
	v_mul_hi_u32 v10, s28, v9
	s_addc_u32 s44, s6, s8
	s_waitcnt lgkmcnt(0)
	s_mul_hi_u32 s6, s10, s33
	s_mul_i32 s5, s10, s5
	v_add_u32_e32 v10, v9, v10
	s_add_i32 s5, s6, s5
	s_mul_i32 s6, s11, s33
	v_lshrrev_b32_e32 v10, s29, v10
	s_add_i32 s5, s5, s6
	s_mul_i32 s6, s10, s33
	v_lshl_add_u32 v2, v1, 5, v40
	v_lshrrev_b32_e32 v3, 1, v40
	v_lshlrev_b32_e32 v6, 2, v40
	v_mul_lo_u32 v10, v10, s30
	s_add_u32 s6, s16, s6
	s_mul_i32 s4, s4, s47
	v_cmp_gt_u32_e32 vcc, 32, v2
	v_lshl_add_u32 v3, v1, 4, v3
	v_lshrrev_b32_e32 v4, 2, v40
	v_mul_lo_u32 v42, s42, v2
	v_and_b32_e32 v2, 4, v6
	v_sub_u32_e32 v9, v9, v10
	s_addc_u32 s5, s17, s5
	s_ashr_i32 s7, s4, 31
	v_lshl_add_u32 v5, v1, 3, v4
	v_lshlrev_b32_e32 v4, 7, v3
	v_lshlrev_b32_e32 v7, 2, v2
	v_mad_u64_u32 v[50:51], s[8:9], v9, s22, v[40:41]
	v_mov_b32_e32 v9, 0x1740
	s_add_u32 s45, s6, s4
	v_or3_b32 v71, v4, v7, 64
	v_and_b32_e32 v4, 12, v6
	v_lshl_add_u32 v73, v1, 6, v9
	v_lshrrev_b32_e32 v9, 3, v40
	s_addc_u32 s46, s5, s7
	v_cmp_gt_u32_e64 s[4:5], 32, v3
	v_mul_lo_u32 v44, s42, v3
	v_lshlrev_b32_e32 v8, 2, v4
	v_cmp_gt_u32_e64 s[8:9], 16, v3
	v_lshl_add_u32 v1, v1, 2, v9
	v_mul_u32_u24_e32 v9, 0xe0, v3
	v_mul_lo_u32 v52, s41, v3
	v_mul_u32_u24_e32 v3, 0xe0, v5
	s_movk_i32 s15, 0x80
	v_and_b32_e32 v56, 28, v6
	v_lshlrev_b32_e32 v69, 7, v40
	v_mov_b32_e32 v47, 0
	v_mul_lo_u32 v48, s42, v5
	s_movk_i32 s14, 0xe0
	v_or_b32_e32 v7, v9, v7
	v_add3_u32 v76, v3, v8, s15
	v_mul_lo_u32 v54, s41, v5
	v_lshlrev_b32_e32 v3, 2, v56
	v_mul_lo_u32 v58, s41, v1
	s_add_u32 s22, s0, 0xd0
	v_cmp_gt_u32_e64 s[6:7], 32, v5
	v_or_b32_e32 v70, 0x60, v69
	v_ashrrev_i32_e32 v43, 31, v42
	v_ashrrev_i32_e32 v45, 31, v44
	v_lshl_or_b32 v72, v5, 7, v8
	v_ashrrev_i32_e32 v49, 31, v48
	v_lshl_add_u32 v74, v40, 1, v73
	v_cmp_gt_u32_e64 s[10:11], 16, v5
	v_cmp_gt_u32_e64 s[12:13], 16, v1
	v_add_u32_e32 v75, 0xc0, v7
	v_ashrrev_i32_e32 v53, 31, v52
	v_ashrrev_i32_e32 v55, 31, v54
	v_mad_u32_u24 v77, v1, s14, v3
	v_ashrrev_i32_e32 v59, 31, v58
	s_addc_u32 s23, s1, 0
	v_mov_b32_e32 v6, 0xfeffffff
	s_mov_b32 s47, 0x3fb8aa3b
	s_mov_b32 s48, 0xc2ce8ed0
	;; [unrolled: 1-line block ×4, first 2 shown]
	v_lshlrev_b32_e32 v46, 2, v2
	v_lshlrev_b32_e32 v60, 2, v4
	v_mbcnt_hi_u32_b32 v51, -1, v0
	v_mov_b32_e32 v78, 0x7f800000
	v_mov_b32_e32 v68, v47
	;; [unrolled: 1-line block ×4, first 2 shown]
.LBB13_13:                              ; =>This Inner Loop Header: Depth=1
	s_mul_hi_i32 s15, s40, s42
	s_mul_i32 s14, s40, s42
	s_lshl_b64 s[14:15], s[14:15], 2
	s_add_u32 s14, s43, s14
	s_addc_u32 s15, s44, s15
	v_lshl_add_u64 v[4:5], v[42:43], 2, s[14:15]
	s_and_saveexec_b64 s[16:17], vcc
	s_cbranch_execnz .LBB13_31
; %bb.14:                               ;   in Loop: Header=BB13_13 Depth=1
	s_or_b64 exec, exec, s[16:17]
	v_lshl_add_u64 v[0:1], v[44:45], 2, s[14:15]
	s_and_saveexec_b64 s[16:17], s[4:5]
	s_cbranch_execnz .LBB13_32
.LBB13_15:                              ;   in Loop: Header=BB13_13 Depth=1
	s_or_b64 exec, exec, s[16:17]
	v_lshl_add_u64 v[2:3], v[48:49], 2, s[14:15]
	s_and_saveexec_b64 s[14:15], s[6:7]
	s_cbranch_execz .LBB13_17
.LBB13_16:                              ;   in Loop: Header=BB13_13 Depth=1
	v_mov_b32_e32 v61, v47
	v_lshl_add_u64 v[8:9], v[2:3], 0, v[60:61]
	global_load_dwordx4 v[8:11], v[8:9], off
	s_waitcnt vmcnt(0)
	ds_write_b128 v72, v[8:11]
.LBB13_17:                              ;   in Loop: Header=BB13_13 Depth=1
	s_or_b64 exec, exec, s[14:15]
	s_waitcnt lgkmcnt(0)
	s_barrier
	ds_read_b128 v[8:11], v69
	ds_read_b128 v[12:15], v63
	v_mov_b32_e32 v7, 0
	s_waitcnt lgkmcnt(0)
	;;#ASMSTART
	v_dot2_f32_f16 v7, v8, v12, v7
	;;#ASMEND
	s_nop 0
	;;#ASMSTART
	v_dot2_f32_f16 v7, v9, v13, v7
	;;#ASMEND
	s_nop 0
	;;#ASMSTART
	v_dot2_f32_f16 v7, v10, v14, v7
	;;#ASMEND
	s_nop 0
	;;#ASMSTART
	v_dot2_f32_f16 v7, v11, v15, v7
	;;#ASMEND
	ds_read_b128 v[8:11], v69 offset:16
	ds_read_b128 v[12:15], v63 offset:16
	s_waitcnt lgkmcnt(0)
	;;#ASMSTART
	v_dot2_f32_f16 v7, v8, v12, v7
	;;#ASMEND
	s_nop 0
	;;#ASMSTART
	v_dot2_f32_f16 v7, v9, v13, v7
	;;#ASMEND
	s_nop 0
	;;#ASMSTART
	v_dot2_f32_f16 v7, v10, v14, v7
	;;#ASMEND
	s_nop 0
	;;#ASMSTART
	v_dot2_f32_f16 v7, v11, v15, v7
	;;#ASMEND
	ds_read_b128 v[8:11], v69 offset:32
	ds_read_b128 v[12:15], v63 offset:32
	;; [unrolled: 18-line block ×6, first 2 shown]
	s_waitcnt lgkmcnt(0)
	;;#ASMSTART
	v_dot2_f32_f16 v7, v8, v12, v7
	;;#ASMEND
	s_nop 0
	;;#ASMSTART
	v_dot2_f32_f16 v7, v9, v13, v7
	;;#ASMEND
	s_nop 0
	;; [unrolled: 4-line block ×3, first 2 shown]
	;;#ASMSTART
	v_dot2_f32_f16 v7, v11, v15, v7
	;;#ASMEND
	s_barrier
	s_and_saveexec_b64 s[14:15], vcc
	s_cbranch_execnz .LBB13_33
; %bb.18:                               ;   in Loop: Header=BB13_13 Depth=1
	s_or_b64 exec, exec, s[14:15]
	s_and_saveexec_b64 s[14:15], s[4:5]
	s_cbranch_execnz .LBB13_34
.LBB13_19:                              ;   in Loop: Header=BB13_13 Depth=1
	s_or_b64 exec, exec, s[14:15]
	s_and_saveexec_b64 s[14:15], s[6:7]
	s_cbranch_execz .LBB13_21
.LBB13_20:                              ;   in Loop: Header=BB13_13 Depth=1
	v_mov_b32_e32 v61, v47
	v_lshl_add_u64 v[0:1], v[2:3], 0, v[60:61]
	global_load_dwordx4 v[0:3], v[0:1], off offset:112
	s_waitcnt vmcnt(0)
	ds_write_b128 v72, v[0:3]
.LBB13_21:                              ;   in Loop: Header=BB13_13 Depth=1
	s_or_b64 exec, exec, s[14:15]
	s_waitcnt lgkmcnt(0)
	s_barrier
	ds_read_b128 v[0:3], v69
	ds_read_b128 v[8:11], v63 offset:112
	v_add_u32_e32 v4, s40, v50
	s_waitcnt lgkmcnt(0)
	;;#ASMSTART
	v_dot2_f32_f16 v7, v0, v8, v7
	;;#ASMEND
	s_nop 0
	;;#ASMSTART
	v_dot2_f32_f16 v7, v1, v9, v7
	;;#ASMEND
	v_ashrrev_i32_e32 v5, 31, v4
	;;#ASMSTART
	v_dot2_f32_f16 v7, v2, v10, v7
	;;#ASMEND
	v_lshl_add_u64 v[4:5], v[4:5], 1, s[36:37]
	;;#ASMSTART
	v_dot2_f32_f16 v7, v3, v11, v7
	;;#ASMEND
	ds_read_b128 v[0:3], v69 offset:16
	ds_read_b128 v[8:11], v63 offset:128
	s_waitcnt lgkmcnt(0)
	;;#ASMSTART
	v_dot2_f32_f16 v7, v0, v8, v7
	;;#ASMEND
	s_nop 0
	;;#ASMSTART
	v_dot2_f32_f16 v7, v1, v9, v7
	;;#ASMEND
	v_xor_b32_e32 v81, 16, v51
	;;#ASMSTART
	v_dot2_f32_f16 v7, v2, v10, v7
	;;#ASMEND
	v_xor_b32_e32 v82, 8, v51
	;;#ASMSTART
	v_dot2_f32_f16 v7, v3, v11, v7
	;;#ASMEND
	ds_read_b128 v[0:3], v69 offset:32
	ds_read_b128 v[8:11], v63 offset:144
	s_waitcnt lgkmcnt(0)
	;;#ASMSTART
	v_dot2_f32_f16 v7, v0, v8, v7
	;;#ASMEND
	s_nop 0
	;;#ASMSTART
	v_dot2_f32_f16 v7, v1, v9, v7
	;;#ASMEND
	v_xor_b32_e32 v83, 4, v51
	;;#ASMSTART
	v_dot2_f32_f16 v7, v2, v10, v7
	;;#ASMEND
	v_xor_b32_e32 v84, 2, v51
	;;#ASMSTART
	v_dot2_f32_f16 v7, v3, v11, v7
	;;#ASMEND
	ds_read_b128 v[0:3], v69 offset:48
	ds_read_b128 v[8:11], v63 offset:160
	s_waitcnt lgkmcnt(0)
	;;#ASMSTART
	v_dot2_f32_f16 v7, v0, v8, v7
	;;#ASMEND
	s_nop 0
	;;#ASMSTART
	v_dot2_f32_f16 v7, v1, v9, v7
	;;#ASMEND
	v_xor_b32_e32 v85, 1, v51
	;;#ASMSTART
	v_dot2_f32_f16 v7, v2, v10, v7
	;;#ASMEND
	s_nop 0
	;;#ASMSTART
	v_dot2_f32_f16 v7, v3, v11, v7
	;;#ASMEND
	ds_read_b128 v[0:3], v69 offset:64
	ds_read_b128 v[8:11], v63 offset:176
	s_waitcnt lgkmcnt(0)
	;;#ASMSTART
	v_dot2_f32_f16 v7, v0, v8, v7
	;;#ASMEND
	s_nop 0
	;;#ASMSTART
	v_dot2_f32_f16 v7, v1, v9, v7
	;;#ASMEND
	s_nop 0
	;; [unrolled: 4-line block ×3, first 2 shown]
	;;#ASMSTART
	v_dot2_f32_f16 v7, v3, v11, v7
	;;#ASMEND
	ds_read_b128 v[0:3], v69 offset:80
	ds_read_b128 v[8:11], v63 offset:192
	s_waitcnt lgkmcnt(0)
	;;#ASMSTART
	v_dot2_f32_f16 v7, v0, v8, v7
	;;#ASMEND
	s_nop 0
	;;#ASMSTART
	v_dot2_f32_f16 v7, v1, v9, v7
	;;#ASMEND
	s_nop 0
	;; [unrolled: 4-line block ×3, first 2 shown]
	;;#ASMSTART
	v_dot2_f32_f16 v7, v3, v11, v7
	;;#ASMEND
	ds_read_b128 v[0:3], v69 offset:96
	ds_read_b128 v[8:11], v63 offset:208
	s_waitcnt lgkmcnt(0)
	;;#ASMSTART
	v_dot2_f32_f16 v7, v0, v8, v7
	;;#ASMEND
	s_nop 0
	;;#ASMSTART
	v_dot2_f32_f16 v7, v1, v9, v7
	;;#ASMEND
	v_and_b32_e32 v1, 0x60, v51
	;;#ASMSTART
	v_dot2_f32_f16 v7, v2, v10, v7
	;;#ASMEND
	v_add_u32_e32 v80, 32, v1
	;;#ASMSTART
	v_dot2_f32_f16 v7, v3, v11, v7
	;;#ASMEND
	global_load_ushort v0, v[4:5], off
	v_cmp_lt_i32_e64 s[14:15], v81, v80
	v_max_f32_e32 v2, v6, v6
	s_nop 0
	v_cndmask_b32_e64 v1, v51, v81, s[14:15]
	v_lshlrev_b32_e32 v1, 2, v1
	v_cmp_lt_i32_e64 s[14:15], v82, v80
	s_barrier
	s_waitcnt vmcnt(0)
	v_cvt_f32_f16_e32 v0, v0
	v_add_f32_e32 v0, v7, v0
	v_add_f32_e32 v3, 0x40051340, v0
	v_max_f32_e32 v2, v2, v3
	ds_bpermute_b32 v1, v1, v2
	v_cndmask_b32_e64 v3, v51, v82, s[14:15]
	v_lshlrev_b32_e32 v3, 2, v3
	v_cmp_lt_i32_e64 s[14:15], v83, v80
	s_waitcnt lgkmcnt(0)
	v_max_f32_e32 v1, v1, v1
	v_max_f32_e32 v1, v2, v1
	ds_bpermute_b32 v2, v3, v1
	v_cndmask_b32_e64 v3, v51, v83, s[14:15]
	v_lshlrev_b32_e32 v3, 2, v3
	v_cmp_lt_i32_e64 s[14:15], v84, v80
	s_waitcnt lgkmcnt(0)
	v_max_f32_e32 v2, v2, v2
	;; [unrolled: 7-line block ×3, first 2 shown]
	v_max_f32_e32 v1, v1, v2
	ds_bpermute_b32 v2, v3, v1
	v_cndmask_b32_e64 v3, v51, v85, s[14:15]
	v_lshlrev_b32_e32 v3, 2, v3
	s_mul_hi_i32 s15, s40, s41
	s_mul_i32 s14, s40, s41
	s_waitcnt lgkmcnt(0)
	v_max_f32_e32 v2, v2, v2
	v_max_f32_e32 v1, v1, v2
	ds_bpermute_b32 v2, v3, v1
	s_lshl_b64 s[16:17], s[14:15], 2
	s_add_u32 s16, s45, s16
	s_addc_u32 s17, s46, s17
	s_waitcnt lgkmcnt(0)
	v_max_f32_e32 v2, v2, v2
	v_max_f32_e32 v62, v1, v2
	v_sub_f32_e32 v0, v0, v62
	v_mul_f32_e32 v1, 0x3fb8aa3b, v0
	v_fma_f32 v2, v0, s47, -v1
	v_rndne_f32_e32 v3, v1
	v_fmac_f32_e32 v2, 0x32a5705f, v0
	v_sub_f32_e32 v1, v1, v3
	v_add_f32_e32 v1, v1, v2
	v_cvt_i32_f32_e32 v3, v3
	v_exp_f32_e32 v1, v1
	v_cmp_ngt_f32_e64 s[14:15], s48, v0
	v_ldexp_f32 v1, v1, v3
	s_nop 0
	v_cndmask_b32_e64 v1, 0, v1, s[14:15]
	v_cmp_nlt_f32_e64 s[14:15], s49, v0
	s_nop 1
	v_cndmask_b32_e64 v86, v78, v1, s[14:15]
	v_cvt_f16_f32_e32 v0, v86
	ds_write_b16 v74, v0
	s_and_saveexec_b64 s[14:15], s[8:9]
	s_cbranch_execnz .LBB13_35
; %bb.22:                               ;   in Loop: Header=BB13_13 Depth=1
	s_or_b64 exec, exec, s[14:15]
	s_and_saveexec_b64 s[14:15], s[10:11]
	s_cbranch_execnz .LBB13_36
.LBB13_23:                              ;   in Loop: Header=BB13_13 Depth=1
	s_or_b64 exec, exec, s[14:15]
	v_lshlrev_b32_e32 v64, 2, v56
	s_and_saveexec_b64 s[14:15], s[12:13]
	s_cbranch_execz .LBB13_25
.LBB13_24:                              ;   in Loop: Header=BB13_13 Depth=1
	v_lshl_add_u64 v[0:1], v[58:59], 2, s[16:17]
	v_mov_b32_e32 v65, v47
	v_lshl_add_u64 v[0:1], v[0:1], 0, v[64:65]
	global_load_dwordx4 v[0:3], v[0:1], off
	s_waitcnt vmcnt(0)
	ds_write_b128 v77, v[0:3]
.LBB13_25:                              ;   in Loop: Header=BB13_13 Depth=1
	s_or_b64 exec, exec, s[14:15]
	s_waitcnt lgkmcnt(0)
	s_barrier
	ds_read2_b64 v[20:23], v66 offset1:28
	ds_read_b128 v[36:39], v73
	ds_read_b128 v[32:35], v73 offset:16
	ds_read2_b64 v[28:31], v66 offset0:56 offset1:84
	ds_read2_b64 v[24:27], v66 offset0:112 offset1:140
	ds_read2_b64 v[16:19], v66 offset0:168 offset1:196
	ds_read2_b64 v[8:11], v66 offset0:224 offset1:252
	v_add_u32_e32 v87, 0x800, v66
	v_sub_f32_e32 v88, v6, v62
	ds_read2_b64 v[12:15], v87 offset0:24 offset1:52
	ds_read2_b64 v[4:7], v87 offset0:80 offset1:108
	;; [unrolled: 1-line block ×3, first 2 shown]
	s_or_b32 s28, s40, 16
	s_mul_hi_i32 s29, s28, s41
	s_mul_i32 s28, s28, s41
	s_lshl_b64 s[28:29], s[28:29], 2
	s_add_u32 s28, s45, s28
	v_cmp_ngt_f32_e64 s[14:15], s48, v88
	v_cmp_nlt_f32_e64 s[16:17], s49, v88
	s_addc_u32 s29, s46, s29
	s_waitcnt lgkmcnt(0)
	s_barrier
	s_and_saveexec_b64 s[38:39], s[8:9]
	s_cbranch_execnz .LBB13_37
; %bb.26:                               ;   in Loop: Header=BB13_13 Depth=1
	s_or_b64 exec, exec, s[38:39]
	s_and_saveexec_b64 s[38:39], s[10:11]
	s_cbranch_execnz .LBB13_38
.LBB13_27:                              ;   in Loop: Header=BB13_13 Depth=1
	s_or_b64 exec, exec, s[38:39]
	s_and_saveexec_b64 s[38:39], s[12:13]
	s_cbranch_execz .LBB13_29
.LBB13_28:                              ;   in Loop: Header=BB13_13 Depth=1
	v_lshl_add_u64 v[90:91], v[58:59], 2, s[28:29]
	v_mov_b32_e32 v65, v47
	v_lshl_add_u64 v[64:65], v[90:91], 0, v[64:65]
	global_load_dwordx4 v[90:93], v[64:65], off
	s_waitcnt vmcnt(0)
	ds_write_b128 v77, v[90:93]
.LBB13_29:                              ;   in Loop: Header=BB13_13 Depth=1
	s_or_b64 exec, exec, s[38:39]
	v_mul_f32_e32 v61, 0x3fb8aa3b, v88
	v_fma_f32 v64, v88, s47, -v61
	v_rndne_f32_e32 v65, v61
	v_fmac_f32_e32 v64, 0x32a5705f, v88
	v_sub_f32_e32 v61, v61, v65
	v_add_f32_e32 v61, v61, v64
	v_cvt_i32_f32_e32 v64, v65
	v_exp_f32_e32 v61, v61
	v_mul_u32_u24_sdwa v65, v36, s50 dst_sel:DWORD dst_unused:UNUSED_PAD src0_sel:WORD_0 src1_sel:DWORD
	v_pk_mul_f16 v20, v20, v65
	v_pk_mul_f16 v21, v21, v65
	v_ldexp_f32 v61, v61, v64
	v_cndmask_b32_e64 v61, 0, v61, s[14:15]
	v_cndmask_b32_e64 v61, v78, v61, s[16:17]
	v_cvt_f16_f32_e32 v64, v61
	v_mul_u32_u24_sdwa v36, v36, s50 dst_sel:DWORD dst_unused:UNUSED_PAD src0_sel:WORD_1 src1_sel:DWORD
	v_mul_u32_u24_sdwa v88, v37, s50 dst_sel:DWORD dst_unused:UNUSED_PAD src0_sel:WORD_0 src1_sel:DWORD
	v_mul_u32_u24_sdwa v37, v37, s50 dst_sel:DWORD dst_unused:UNUSED_PAD src0_sel:WORD_1 src1_sel:DWORD
	v_mul_u32_u24_e32 v64, 0x10001, v64
	v_pk_fma_f16 v20, v68, v64, v20
	v_pk_fma_f16 v21, v67, v64, v21
	;; [unrolled: 1-line block ×6, first 2 shown]
	v_mul_u32_u24_sdwa v89, v38, s50 dst_sel:DWORD dst_unused:UNUSED_PAD src0_sel:WORD_0 src1_sel:DWORD
	v_pk_fma_f16 v20, v30, v37, v20
	v_pk_fma_f16 v21, v31, v37, v21
	v_mul_u32_u24_sdwa v38, v38, s50 dst_sel:DWORD dst_unused:UNUSED_PAD src0_sel:WORD_1 src1_sel:DWORD
	v_pk_fma_f16 v20, v24, v89, v20
	v_pk_fma_f16 v21, v25, v89, v21
	v_mul_u32_u24_sdwa v90, v39, s50 dst_sel:DWORD dst_unused:UNUSED_PAD src0_sel:WORD_0 src1_sel:DWORD
	v_pk_fma_f16 v20, v26, v38, v20
	v_pk_fma_f16 v21, v27, v38, v21
	v_mul_u32_u24_sdwa v39, v39, s50 dst_sel:DWORD dst_unused:UNUSED_PAD src0_sel:WORD_1 src1_sel:DWORD
	v_pk_fma_f16 v16, v16, v90, v20
	v_pk_fma_f16 v17, v17, v90, v21
	;; [unrolled: 6-line block ×5, first 2 shown]
	v_mul_u32_u24_sdwa v94, v35, s50 dst_sel:DWORD dst_unused:UNUSED_PAD src0_sel:WORD_0 src1_sel:DWORD
	v_pk_fma_f16 v4, v6, v34, v4
	v_pk_fma_f16 v5, v7, v34, v5
	;; [unrolled: 1-line block ×4, first 2 shown]
	s_waitcnt lgkmcnt(0)
	s_barrier
	ds_read_b128 v[4:7], v73 offset:32
	ds_read2_b64 v[8:11], v66 offset1:28
	v_mul_u32_u24_sdwa v35, v35, s50 dst_sel:DWORD dst_unused:UNUSED_PAD src0_sel:WORD_1 src1_sel:DWORD
	v_pk_fma_f16 v12, v2, v35, v0
	v_pk_fma_f16 v13, v3, v35, v1
	s_waitcnt lgkmcnt(1)
	v_mul_u32_u24_sdwa v14, v4, s50 dst_sel:DWORD dst_unused:UNUSED_PAD src0_sel:WORD_0 src1_sel:DWORD
	s_waitcnt lgkmcnt(0)
	v_pk_fma_f16 v8, v8, v14, v12
	v_pk_fma_f16 v9, v9, v14, v13
	ds_read2_b64 v[12:15], v66 offset0:56 offset1:84
	v_mul_u32_u24_sdwa v4, v4, s50 dst_sel:DWORD dst_unused:UNUSED_PAD src0_sel:WORD_1 src1_sel:DWORD
	v_pk_fma_f16 v8, v10, v4, v8
	v_pk_fma_f16 v4, v11, v4, v9
	v_mul_u32_u24_sdwa v9, v5, s50 dst_sel:DWORD dst_unused:UNUSED_PAD src0_sel:WORD_0 src1_sel:DWORD
	s_waitcnt lgkmcnt(0)
	v_pk_fma_f16 v12, v12, v9, v8
	v_pk_fma_f16 v4, v13, v9, v4
	ds_read2_b64 v[8:11], v66 offset0:112 offset1:140
	v_mul_u32_u24_sdwa v5, v5, s50 dst_sel:DWORD dst_unused:UNUSED_PAD src0_sel:WORD_1 src1_sel:DWORD
	v_pk_fma_f16 v12, v14, v5, v12
	v_pk_fma_f16 v4, v15, v5, v4
	v_mul_u32_u24_sdwa v5, v6, s50 dst_sel:DWORD dst_unused:UNUSED_PAD src0_sel:WORD_0 src1_sel:DWORD
	s_waitcnt lgkmcnt(0)
	v_pk_fma_f16 v8, v8, v5, v12
	ds_read2_b64 v[12:15], v66 offset0:168 offset1:196
	ds_read_b128 v[0:3], v73 offset:48
	v_pk_fma_f16 v4, v9, v5, v4
	v_mul_u32_u24_sdwa v5, v6, s50 dst_sel:DWORD dst_unused:UNUSED_PAD src0_sel:WORD_1 src1_sel:DWORD
	v_pk_fma_f16 v6, v10, v5, v8
	v_pk_fma_f16 v4, v11, v5, v4
	ds_read2_b64 v[8:11], v66 offset0:224 offset1:252
	v_mul_u32_u24_sdwa v5, v7, s50 dst_sel:DWORD dst_unused:UNUSED_PAD src0_sel:WORD_0 src1_sel:DWORD
	s_waitcnt lgkmcnt(2)
	v_pk_fma_f16 v6, v12, v5, v6
	v_pk_fma_f16 v4, v13, v5, v4
	v_mul_u32_u24_sdwa v5, v7, s50 dst_sel:DWORD dst_unused:UNUSED_PAD src0_sel:WORD_1 src1_sel:DWORD
	v_pk_fma_f16 v6, v14, v5, v6
	v_pk_fma_f16 v4, v15, v5, v4
	s_waitcnt lgkmcnt(1)
	v_mul_u32_u24_sdwa v5, v0, s50 dst_sel:DWORD dst_unused:UNUSED_PAD src0_sel:WORD_0 src1_sel:DWORD
	s_waitcnt lgkmcnt(0)
	v_pk_fma_f16 v8, v8, v5, v6
	v_pk_fma_f16 v9, v9, v5, v4
	ds_read2_b64 v[4:7], v87 offset0:24 offset1:52
	v_mul_u32_u24_sdwa v0, v0, s50 dst_sel:DWORD dst_unused:UNUSED_PAD src0_sel:WORD_1 src1_sel:DWORD
	v_pk_fma_f16 v8, v10, v0, v8
	v_pk_fma_f16 v0, v11, v0, v9
	v_mul_u32_u24_sdwa v9, v1, s50 dst_sel:DWORD dst_unused:UNUSED_PAD src0_sel:WORD_0 src1_sel:DWORD
	s_waitcnt lgkmcnt(0)
	v_pk_fma_f16 v4, v4, v9, v8
	v_pk_fma_f16 v0, v5, v9, v0
	ds_read2_b64 v[8:11], v87 offset0:80 offset1:108
	v_mul_u32_u24_sdwa v1, v1, s50 dst_sel:DWORD dst_unused:UNUSED_PAD src0_sel:WORD_1 src1_sel:DWORD
	v_pk_fma_f16 v4, v6, v1, v4
	v_pk_fma_f16 v0, v7, v1, v0
	v_mul_u32_u24_sdwa v1, v2, s50 dst_sel:DWORD dst_unused:UNUSED_PAD src0_sel:WORD_0 src1_sel:DWORD
	s_waitcnt lgkmcnt(0)
	v_pk_fma_f16 v4, v8, v1, v4
	v_pk_fma_f16 v0, v9, v1, v0
	v_mul_u32_u24_sdwa v1, v2, s50 dst_sel:DWORD dst_unused:UNUSED_PAD src0_sel:WORD_1 src1_sel:DWORD
	v_pk_fma_f16 v2, v10, v1, v4
	ds_read2_b64 v[4:7], v87 offset0:136 offset1:164
	s_waitcnt lgkmcnt(0)
	s_barrier
	s_load_dword s14, s[22:23], 0x4
	v_pk_fma_f16 v0, v11, v1, v0
	v_mul_u32_u24_sdwa v1, v3, s50 dst_sel:DWORD dst_unused:UNUSED_PAD src0_sel:WORD_0 src1_sel:DWORD
	v_pk_fma_f16 v2, v4, v1, v2
	v_pk_fma_f16 v0, v5, v1, v0
	s_waitcnt lgkmcnt(0)
	s_lshl_b32 s14, s14, 5
	v_mul_u32_u24_sdwa v1, v3, s50 dst_sel:DWORD dst_unused:UNUSED_PAD src0_sel:WORD_1 src1_sel:DWORD
	s_add_i32 s40, s14, s40
	v_fmac_f32_e32 v86, v79, v61
	v_pk_fma_f16 v68, v6, v1, v2
	s_cmp_ge_i32 s40, s34
	v_pk_fma_f16 v67, v7, v1, v0
	s_cbranch_scc1 .LBB13_9
; %bb.30:                               ;   in Loop: Header=BB13_13 Depth=1
	v_mov_b32_e32 v6, v62
	v_mov_b32_e32 v79, v86
	s_branch .LBB13_13
.LBB13_31:                              ;   in Loop: Header=BB13_13 Depth=1
	global_load_dwordx4 v[0:3], v[4:5], off offset:96
	s_waitcnt vmcnt(0)
	ds_write_b128 v70, v[0:3]
	s_or_b64 exec, exec, s[16:17]
	v_lshl_add_u64 v[0:1], v[44:45], 2, s[14:15]
	s_and_saveexec_b64 s[16:17], s[4:5]
	s_cbranch_execz .LBB13_15
.LBB13_32:                              ;   in Loop: Header=BB13_13 Depth=1
	v_lshl_add_u64 v[2:3], v[0:1], 0, v[46:47]
	global_load_dwordx4 v[8:11], v[2:3], off offset:64
	s_waitcnt vmcnt(0)
	ds_write_b128 v71, v[8:11]
	s_or_b64 exec, exec, s[16:17]
	v_lshl_add_u64 v[2:3], v[48:49], 2, s[14:15]
	s_and_saveexec_b64 s[14:15], s[6:7]
	s_cbranch_execnz .LBB13_16
	s_branch .LBB13_17
.LBB13_33:                              ;   in Loop: Header=BB13_13 Depth=1
	global_load_dwordx4 v[8:11], v[4:5], off offset:208
	s_waitcnt vmcnt(0)
	ds_write_b128 v70, v[8:11]
	s_or_b64 exec, exec, s[14:15]
	s_and_saveexec_b64 s[14:15], s[4:5]
	s_cbranch_execz .LBB13_19
.LBB13_34:                              ;   in Loop: Header=BB13_13 Depth=1
	v_lshl_add_u64 v[0:1], v[0:1], 0, v[46:47]
	global_load_dwordx4 v[8:11], v[0:1], off offset:176
	s_waitcnt vmcnt(0)
	ds_write_b128 v71, v[8:11]
	s_or_b64 exec, exec, s[14:15]
	s_and_saveexec_b64 s[14:15], s[6:7]
	s_cbranch_execnz .LBB13_20
	s_branch .LBB13_21
.LBB13_35:                              ;   in Loop: Header=BB13_13 Depth=1
	v_lshl_add_u64 v[0:1], v[52:53], 2, s[16:17]
	v_lshl_add_u64 v[0:1], v[0:1], 0, v[46:47]
	global_load_dwordx4 v[0:3], v[0:1], off offset:192
	s_waitcnt vmcnt(0)
	ds_write_b128 v75, v[0:3]
	s_or_b64 exec, exec, s[14:15]
	s_and_saveexec_b64 s[14:15], s[10:11]
	s_cbranch_execz .LBB13_23
.LBB13_36:                              ;   in Loop: Header=BB13_13 Depth=1
	v_lshl_add_u64 v[0:1], v[54:55], 2, s[16:17]
	v_mov_b32_e32 v61, v47
	v_lshl_add_u64 v[0:1], v[0:1], 0, v[60:61]
	global_load_dwordx4 v[0:3], v[0:1], off offset:128
	s_waitcnt vmcnt(0)
	ds_write_b128 v76, v[0:3]
	s_or_b64 exec, exec, s[14:15]
	v_lshlrev_b32_e32 v64, 2, v56
	s_and_saveexec_b64 s[14:15], s[12:13]
	s_cbranch_execnz .LBB13_24
	s_branch .LBB13_25
.LBB13_37:                              ;   in Loop: Header=BB13_13 Depth=1
	v_lshl_add_u64 v[90:91], v[52:53], 2, s[28:29]
	v_lshl_add_u64 v[90:91], v[90:91], 0, v[46:47]
	global_load_dwordx4 v[90:93], v[90:91], off offset:192
	s_waitcnt vmcnt(0)
	ds_write_b128 v75, v[90:93]
	s_or_b64 exec, exec, s[38:39]
	s_and_saveexec_b64 s[38:39], s[10:11]
	s_cbranch_execz .LBB13_27
.LBB13_38:                              ;   in Loop: Header=BB13_13 Depth=1
	v_lshl_add_u64 v[90:91], v[54:55], 2, s[28:29]
	v_mov_b32_e32 v61, v47
	v_lshl_add_u64 v[90:91], v[90:91], 0, v[60:61]
	global_load_dwordx4 v[90:93], v[90:91], off offset:128
	s_waitcnt vmcnt(0)
	ds_write_b128 v76, v[90:93]
	s_or_b64 exec, exec, s[38:39]
	s_and_saveexec_b64 s[38:39], s[12:13]
	s_cbranch_execnz .LBB13_28
	s_branch .LBB13_29
.LBB13_39:
	v_mov_b32_e32 v1, v63
.LBB13_40:
	s_load_dword s6, s[0:1], 0xd4
	s_mul_i32 s4, s33, s30
	s_waitcnt lgkmcnt(0)
	s_cmp_lg_u32 s6, 1
	s_cselect_b64 s[0:1], -1, 0
	s_add_i32 s4, s4, s2
	v_add_u32_e32 v0, s4, v41
	v_mad_u64_u32 v[2:3], s[4:5], v0, s31, v[2:3]
	v_mul_lo_u32 v0, s6, v2
	v_add_u32_e32 v0, s3, v0
	s_and_saveexec_b64 s[2:3], s[18:19]
	s_cbranch_execz .LBB13_42
; %bb.41:
	s_movk_i32 s4, 0x70
	v_mul_lo_u32 v4, v0, s4
	v_div_scale_f32 v8, s[4:5], v1, v1, 1.0
	v_rcp_f32_e32 v9, v8
	v_mov_b32_e32 v2, s24
	v_mov_b32_e32 v3, s25
	v_lshl_add_u32 v4, v40, 2, v4
	v_mov_b32_e32 v5, 0
	v_lshl_add_u64 v[6:7], v[4:5], 2, v[2:3]
	v_fma_f32 v2, -v8, v9, 1.0
	v_fmac_f32_e32 v9, v2, v9
	v_div_scale_f32 v2, vcc, 1.0, v1, 1.0
	v_mul_f32_e32 v3, v2, v9
	v_fma_f32 v4, -v8, v3, v2
	v_fmac_f32_e32 v3, v4, v9
	v_fma_f32 v2, -v8, v3, v2
	v_div_fmas_f32 v8, v2, v9, v3
	v_cvt_f32_f16_sdwa v3, v68 dst_sel:DWORD dst_unused:UNUSED_PAD src0_sel:WORD_1
	v_cvt_f32_f16_e32 v2, v68
	v_cvt_f32_f16_sdwa v5, v67 dst_sel:DWORD dst_unused:UNUSED_PAD src0_sel:WORD_1
	v_cvt_f32_f16_e32 v4, v67
	v_div_fixup_f32 v1, v8, v1, 1.0
	v_cndmask_b32_e64 v8, v1, 1.0, s[0:1]
	v_pk_mul_f32 v[2:3], v[8:9], v[2:3] op_sel_hi:[0,1]
	v_pk_mul_f32 v[4:5], v[8:9], v[4:5] op_sel_hi:[0,1]
	global_store_dwordx4 v[6:7], v[2:5], off
.LBB13_42:
	s_or_b64 exec, exec, s[2:3]
	v_cmp_eq_u32_e32 vcc, 0, v40
	s_and_b64 s[0:1], vcc, s[0:1]
	s_and_saveexec_b64 s[2:3], s[0:1]
	s_cbranch_execz .LBB13_44
; %bb.43:
	v_mov_b32_e32 v2, s26
	v_mov_b32_e32 v3, s27
	v_ashrrev_i32_e32 v1, 31, v0
	v_lshl_add_u64 v[0:1], v[0:1], 3, v[2:3]
	global_store_dwordx2 v[0:1], v[62:63], off
.LBB13_44:
	s_endpgm
	.section	.rodata,"a",@progbits
	.p2align	6, 0x0
	.amdhsa_kernel _ZL15flash_attn_tileILi112ELi112ELi1ELi8ELb0EEvPKcS1_S1_S1_S1_PKiPfP15HIP_vector_typeIfLj2EEffffjfiS5_IjLj3EEiiiiiiiiiiiliiliiiiil
		.amdhsa_group_segment_fixed_size 6464
		.amdhsa_private_segment_fixed_size 0
		.amdhsa_kernarg_size 464
		.amdhsa_user_sgpr_count 2
		.amdhsa_user_sgpr_dispatch_ptr 0
		.amdhsa_user_sgpr_queue_ptr 0
		.amdhsa_user_sgpr_kernarg_segment_ptr 1
		.amdhsa_user_sgpr_dispatch_id 0
		.amdhsa_user_sgpr_kernarg_preload_length 0
		.amdhsa_user_sgpr_kernarg_preload_offset 0
		.amdhsa_user_sgpr_private_segment_size 0
		.amdhsa_uses_dynamic_stack 0
		.amdhsa_enable_private_segment 0
		.amdhsa_system_sgpr_workgroup_id_x 1
		.amdhsa_system_sgpr_workgroup_id_y 1
		.amdhsa_system_sgpr_workgroup_id_z 1
		.amdhsa_system_sgpr_workgroup_info 0
		.amdhsa_system_vgpr_workitem_id 1
		.amdhsa_next_free_vgpr 95
		.amdhsa_next_free_sgpr 51
		.amdhsa_accum_offset 96
		.amdhsa_reserve_vcc 1
		.amdhsa_float_round_mode_32 0
		.amdhsa_float_round_mode_16_64 0
		.amdhsa_float_denorm_mode_32 3
		.amdhsa_float_denorm_mode_16_64 3
		.amdhsa_dx10_clamp 1
		.amdhsa_ieee_mode 1
		.amdhsa_fp16_overflow 0
		.amdhsa_tg_split 0
		.amdhsa_exception_fp_ieee_invalid_op 0
		.amdhsa_exception_fp_denorm_src 0
		.amdhsa_exception_fp_ieee_div_zero 0
		.amdhsa_exception_fp_ieee_overflow 0
		.amdhsa_exception_fp_ieee_underflow 0
		.amdhsa_exception_fp_ieee_inexact 0
		.amdhsa_exception_int_div_zero 0
	.end_amdhsa_kernel
	.section	.text._ZL15flash_attn_tileILi112ELi112ELi1ELi8ELb0EEvPKcS1_S1_S1_S1_PKiPfP15HIP_vector_typeIfLj2EEffffjfiS5_IjLj3EEiiiiiiiiiiiliiliiiiil,"axG",@progbits,_ZL15flash_attn_tileILi112ELi112ELi1ELi8ELb0EEvPKcS1_S1_S1_S1_PKiPfP15HIP_vector_typeIfLj2EEffffjfiS5_IjLj3EEiiiiiiiiiiiliiliiiiil,comdat
.Lfunc_end13:
	.size	_ZL15flash_attn_tileILi112ELi112ELi1ELi8ELb0EEvPKcS1_S1_S1_S1_PKiPfP15HIP_vector_typeIfLj2EEffffjfiS5_IjLj3EEiiiiiiiiiiiliiliiiiil, .Lfunc_end13-_ZL15flash_attn_tileILi112ELi112ELi1ELi8ELb0EEvPKcS1_S1_S1_S1_PKiPfP15HIP_vector_typeIfLj2EEffffjfiS5_IjLj3EEiiiiiiiiiiiliiliiiiil
                                        ; -- End function
	.set _ZL15flash_attn_tileILi112ELi112ELi1ELi8ELb0EEvPKcS1_S1_S1_S1_PKiPfP15HIP_vector_typeIfLj2EEffffjfiS5_IjLj3EEiiiiiiiiiiiliiliiiiil.num_vgpr, 95
	.set _ZL15flash_attn_tileILi112ELi112ELi1ELi8ELb0EEvPKcS1_S1_S1_S1_PKiPfP15HIP_vector_typeIfLj2EEffffjfiS5_IjLj3EEiiiiiiiiiiiliiliiiiil.num_agpr, 0
	.set _ZL15flash_attn_tileILi112ELi112ELi1ELi8ELb0EEvPKcS1_S1_S1_S1_PKiPfP15HIP_vector_typeIfLj2EEffffjfiS5_IjLj3EEiiiiiiiiiiiliiliiiiil.numbered_sgpr, 51
	.set _ZL15flash_attn_tileILi112ELi112ELi1ELi8ELb0EEvPKcS1_S1_S1_S1_PKiPfP15HIP_vector_typeIfLj2EEffffjfiS5_IjLj3EEiiiiiiiiiiiliiliiiiil.num_named_barrier, 0
	.set _ZL15flash_attn_tileILi112ELi112ELi1ELi8ELb0EEvPKcS1_S1_S1_S1_PKiPfP15HIP_vector_typeIfLj2EEffffjfiS5_IjLj3EEiiiiiiiiiiiliiliiiiil.private_seg_size, 0
	.set _ZL15flash_attn_tileILi112ELi112ELi1ELi8ELb0EEvPKcS1_S1_S1_S1_PKiPfP15HIP_vector_typeIfLj2EEffffjfiS5_IjLj3EEiiiiiiiiiiiliiliiiiil.uses_vcc, 1
	.set _ZL15flash_attn_tileILi112ELi112ELi1ELi8ELb0EEvPKcS1_S1_S1_S1_PKiPfP15HIP_vector_typeIfLj2EEffffjfiS5_IjLj3EEiiiiiiiiiiiliiliiiiil.uses_flat_scratch, 0
	.set _ZL15flash_attn_tileILi112ELi112ELi1ELi8ELb0EEvPKcS1_S1_S1_S1_PKiPfP15HIP_vector_typeIfLj2EEffffjfiS5_IjLj3EEiiiiiiiiiiiliiliiiiil.has_dyn_sized_stack, 0
	.set _ZL15flash_attn_tileILi112ELi112ELi1ELi8ELb0EEvPKcS1_S1_S1_S1_PKiPfP15HIP_vector_typeIfLj2EEffffjfiS5_IjLj3EEiiiiiiiiiiiliiliiiiil.has_recursion, 0
	.set _ZL15flash_attn_tileILi112ELi112ELi1ELi8ELb0EEvPKcS1_S1_S1_S1_PKiPfP15HIP_vector_typeIfLj2EEffffjfiS5_IjLj3EEiiiiiiiiiiiliiliiiiil.has_indirect_call, 0
	.section	.AMDGPU.csdata,"",@progbits
; Kernel info:
; codeLenInByte = 6020
; TotalNumSgprs: 57
; NumVgprs: 95
; NumAgprs: 0
; TotalNumVgprs: 95
; ScratchSize: 0
; MemoryBound: 0
; FloatMode: 240
; IeeeMode: 1
; LDSByteSize: 6464 bytes/workgroup (compile time only)
; SGPRBlocks: 7
; VGPRBlocks: 11
; NumSGPRsForWavesPerEU: 57
; NumVGPRsForWavesPerEU: 95
; AccumOffset: 96
; Occupancy: 5
; WaveLimiterHint : 1
; COMPUTE_PGM_RSRC2:SCRATCH_EN: 0
; COMPUTE_PGM_RSRC2:USER_SGPR: 2
; COMPUTE_PGM_RSRC2:TRAP_HANDLER: 0
; COMPUTE_PGM_RSRC2:TGID_X_EN: 1
; COMPUTE_PGM_RSRC2:TGID_Y_EN: 1
; COMPUTE_PGM_RSRC2:TGID_Z_EN: 1
; COMPUTE_PGM_RSRC2:TIDIG_COMP_CNT: 1
; COMPUTE_PGM_RSRC3_GFX90A:ACCUM_OFFSET: 23
; COMPUTE_PGM_RSRC3_GFX90A:TG_SPLIT: 0
	.section	.text._ZL25flash_attn_mask_to_KV_maxILi1EEvPK7__half2Piiii,"axG",@progbits,_ZL25flash_attn_mask_to_KV_maxILi1EEvPK7__half2Piiii,comdat
	.globl	_ZL25flash_attn_mask_to_KV_maxILi1EEvPK7__half2Piiii ; -- Begin function _ZL25flash_attn_mask_to_KV_maxILi1EEvPK7__half2Piiii
	.p2align	8
	.type	_ZL25flash_attn_mask_to_KV_maxILi1EEvPK7__half2Piiii,@function
_ZL25flash_attn_mask_to_KV_maxILi1EEvPK7__half2Piiii: ; @_ZL25flash_attn_mask_to_KV_maxILi1EEvPK7__half2Piiii
; %bb.0:
	s_load_dwordx4 s[4:7], s[0:1], 0x0
	v_cmp_gt_u32_e32 vcc, 32, v0
	s_and_saveexec_b64 s[8:9], vcc
; %bb.1:
	v_lshlrev_b32_e32 v1, 2, v0
	v_mov_b32_e32 v2, 1
	ds_write_b32 v1, v2
; %bb.2:
	s_or_b64 exec, exec, s[8:9]
	s_load_dwordx4 s[16:19], s[0:1], 0x10
	s_load_dword s14, s[0:1], 0x20
	v_and_b32_e32 v2, 31, v0
	v_lshlrev_b32_e32 v4, 2, v2
	v_lshrrev_b32_e32 v1, 3, v0
	s_waitcnt lgkmcnt(0)
	s_mul_i32 s0, s18, s3
	s_mul_i32 s1, s17, s2
	s_add_i32 s0, s0, s1
	s_ashr_i32 s1, s0, 31
	s_lshl_b64 s[0:1], s[0:1], 2
	s_add_u32 s8, s4, s0
	s_addc_u32 s9, s5, s1
	v_cmp_eq_u32_e64 s[0:1], 0, v2
	v_mbcnt_lo_u32_b32 v2, -1, 0
	v_mbcnt_hi_u32_b32 v5, -1, v2
	v_and_b32_e32 v2, 0x60, v5
	s_lshl_b32 s15, s16, 8
	s_mov_b64 s[10:11], 0
	v_mov_b32_e32 v3, 0
	s_movk_i32 s16, 0x204
	v_add_u32_e32 v6, 32, v2
	v_xor_b32_e32 v7, 16, v5
	v_xor_b32_e32 v8, 8, v5
	;; [unrolled: 1-line block ×5, first 2 shown]
	s_barrier
                                        ; implicit-def: $sgpr4_sgpr5
	s_branch .LBB14_5
.LBB14_3:                               ;   in Loop: Header=BB14_5 Depth=1
	s_or_b64 exec, exec, s[12:13]
	s_waitcnt lgkmcnt(0)
	s_barrier
	ds_read_b32 v16, v4
	s_waitcnt lgkmcnt(0)
	s_barrier
	ds_bpermute_b32 v2, v2, v16
	v_cmp_ne_u32_e32 vcc, 0, v16
	s_waitcnt lgkmcnt(0)
	v_cmp_ne_u32_e64 s[4:5], 0, v2
	s_and_b64 s[4:5], vcc, s[4:5]
	s_nop 0
	v_cndmask_b32_e64 v2, 0, 1, s[4:5]
	ds_bpermute_b32 v2, v12, v2
	s_waitcnt lgkmcnt(0)
	v_cmp_ne_u32_e32 vcc, 0, v2
	s_and_b64 s[4:5], vcc, s[4:5]
	v_cndmask_b32_e64 v2, 0, 1, s[4:5]
	ds_bpermute_b32 v2, v13, v2
	s_waitcnt lgkmcnt(0)
	v_cmp_ne_u32_e32 vcc, 0, v2
	s_and_b64 s[4:5], vcc, s[4:5]
	;; [unrolled: 5-line block ×3, first 2 shown]
	v_cndmask_b32_e64 v2, 0, 1, s[4:5]
	ds_bpermute_b32 v2, v15, v2
	s_xor_b64 s[4:5], s[4:5], -1
	s_waitcnt lgkmcnt(0)
	v_cmp_eq_u32_e32 vcc, 0, v2
	s_or_b64 s[4:5], vcc, s[4:5]
.LBB14_4:                               ;   in Loop: Header=BB14_5 Depth=1
	s_and_b64 s[12:13], exec, s[4:5]
	s_or_b64 s[10:11], s[12:13], s[10:11]
	v_mov_b32_e32 v2, s15
	s_mov_b32 s15, s17
	s_andn2_b64 exec, exec, s[10:11]
	s_cbranch_execz .LBB14_10
.LBB14_5:                               ; =>This Inner Loop Header: Depth=1
	s_add_i32 s17, s15, 0xffffff00
	s_or_b64 s[4:5], s[4:5], exec
	s_cmp_lt_i32 s17, 0
	s_cbranch_scc1 .LBB14_4
; %bb.6:                                ;   in Loop: Header=BB14_5 Depth=1
	s_lshr_b32 s4, s17, 1
	v_add_u32_e32 v2, s4, v0
	v_lshl_add_u64 v[12:13], v[2:3], 2, s[8:9]
	global_load_dword v2, v[12:13], off
	v_mov_b32_e32 v12, 0
	s_waitcnt vmcnt(0)
	v_cmp_class_f16_e64 s[12:13], v2, s16
	s_and_saveexec_b64 s[4:5], s[12:13]
; %bb.7:                                ;   in Loop: Header=BB14_5 Depth=1
	v_cmp_class_f16_sdwa s[12:13], v2, s16 src0_sel:WORD_1 src1_sel:DWORD
	s_nop 1
	v_cndmask_b32_e64 v12, 0, 1, s[12:13]
; %bb.8:                                ;   in Loop: Header=BB14_5 Depth=1
	s_or_b64 exec, exec, s[4:5]
	v_cmp_lt_i32_e32 vcc, v7, v6
	s_nop 1
	v_cndmask_b32_e32 v2, v5, v7, vcc
	v_lshlrev_b32_e32 v2, 2, v2
	ds_bpermute_b32 v13, v2, v12
	v_cmp_ne_u32_e32 vcc, 0, v12
	s_waitcnt lgkmcnt(0)
	v_cmp_ne_u32_e64 s[4:5], 0, v13
	s_and_b64 s[4:5], vcc, s[4:5]
	v_cmp_lt_i32_e32 vcc, v8, v6
	v_cndmask_b32_e64 v13, 0, 1, s[4:5]
	s_nop 0
	v_cndmask_b32_e32 v12, v5, v8, vcc
	v_lshlrev_b32_e32 v12, 2, v12
	ds_bpermute_b32 v13, v12, v13
	s_waitcnt lgkmcnt(0)
	v_cmp_ne_u32_e32 vcc, 0, v13
	s_and_b64 s[4:5], vcc, s[4:5]
	v_cmp_lt_i32_e32 vcc, v9, v6
	v_cndmask_b32_e64 v14, 0, 1, s[4:5]
	s_nop 0
	v_cndmask_b32_e32 v13, v5, v9, vcc
	v_lshlrev_b32_e32 v13, 2, v13
	ds_bpermute_b32 v14, v13, v14
	s_waitcnt lgkmcnt(0)
	v_cmp_ne_u32_e32 vcc, 0, v14
	;; [unrolled: 9-line block ×3, first 2 shown]
	s_and_b64 s[4:5], vcc, s[4:5]
	v_cmp_lt_i32_e32 vcc, v11, v6
	v_cndmask_b32_e64 v16, 0, 1, s[4:5]
	s_nop 0
	v_cndmask_b32_e32 v15, v5, v11, vcc
	v_lshlrev_b32_e32 v15, 2, v15
	ds_bpermute_b32 v16, v15, v16
	s_and_saveexec_b64 s[12:13], s[0:1]
	s_cbranch_execz .LBB14_3
; %bb.9:                                ;   in Loop: Header=BB14_5 Depth=1
	s_waitcnt lgkmcnt(0)
	v_cmp_ne_u32_e32 vcc, 0, v16
	s_and_b64 s[4:5], vcc, s[4:5]
	v_cndmask_b32_e64 v16, 0, 1, s[4:5]
	ds_write_b32 v1, v16
	s_branch .LBB14_3
.LBB14_10:
	s_or_b64 exec, exec, s[10:11]
	v_cmp_eq_u32_e32 vcc, 0, v0
	s_and_saveexec_b64 s[0:1], vcc
	s_cbranch_execz .LBB14_12
; %bb.11:
	s_mul_i32 s0, s14, s3
	s_add_i32 s0, s0, s2
	s_ashr_i32 s1, s0, 31
	s_lshl_b64 s[0:1], s[0:1], 2
	s_add_u32 s0, s6, s0
	s_addc_u32 s1, s7, s1
	v_mov_b32_e32 v0, 0
	global_store_dword v0, v2, s[0:1]
.LBB14_12:
	s_endpgm
	.section	.rodata,"a",@progbits
	.p2align	6, 0x0
	.amdhsa_kernel _ZL25flash_attn_mask_to_KV_maxILi1EEvPK7__half2Piiii
		.amdhsa_group_segment_fixed_size 128
		.amdhsa_private_segment_fixed_size 0
		.amdhsa_kernarg_size 288
		.amdhsa_user_sgpr_count 2
		.amdhsa_user_sgpr_dispatch_ptr 0
		.amdhsa_user_sgpr_queue_ptr 0
		.amdhsa_user_sgpr_kernarg_segment_ptr 1
		.amdhsa_user_sgpr_dispatch_id 0
		.amdhsa_user_sgpr_kernarg_preload_length 0
		.amdhsa_user_sgpr_kernarg_preload_offset 0
		.amdhsa_user_sgpr_private_segment_size 0
		.amdhsa_uses_dynamic_stack 0
		.amdhsa_enable_private_segment 0
		.amdhsa_system_sgpr_workgroup_id_x 1
		.amdhsa_system_sgpr_workgroup_id_y 1
		.amdhsa_system_sgpr_workgroup_id_z 0
		.amdhsa_system_sgpr_workgroup_info 0
		.amdhsa_system_vgpr_workitem_id 0
		.amdhsa_next_free_vgpr 17
		.amdhsa_next_free_sgpr 20
		.amdhsa_accum_offset 20
		.amdhsa_reserve_vcc 1
		.amdhsa_float_round_mode_32 0
		.amdhsa_float_round_mode_16_64 0
		.amdhsa_float_denorm_mode_32 3
		.amdhsa_float_denorm_mode_16_64 3
		.amdhsa_dx10_clamp 1
		.amdhsa_ieee_mode 1
		.amdhsa_fp16_overflow 0
		.amdhsa_tg_split 0
		.amdhsa_exception_fp_ieee_invalid_op 0
		.amdhsa_exception_fp_denorm_src 0
		.amdhsa_exception_fp_ieee_div_zero 0
		.amdhsa_exception_fp_ieee_overflow 0
		.amdhsa_exception_fp_ieee_underflow 0
		.amdhsa_exception_fp_ieee_inexact 0
		.amdhsa_exception_int_div_zero 0
	.end_amdhsa_kernel
	.section	.text._ZL25flash_attn_mask_to_KV_maxILi1EEvPK7__half2Piiii,"axG",@progbits,_ZL25flash_attn_mask_to_KV_maxILi1EEvPK7__half2Piiii,comdat
.Lfunc_end14:
	.size	_ZL25flash_attn_mask_to_KV_maxILi1EEvPK7__half2Piiii, .Lfunc_end14-_ZL25flash_attn_mask_to_KV_maxILi1EEvPK7__half2Piiii
                                        ; -- End function
	.set _ZL25flash_attn_mask_to_KV_maxILi1EEvPK7__half2Piiii.num_vgpr, 17
	.set _ZL25flash_attn_mask_to_KV_maxILi1EEvPK7__half2Piiii.num_agpr, 0
	.set _ZL25flash_attn_mask_to_KV_maxILi1EEvPK7__half2Piiii.numbered_sgpr, 20
	.set _ZL25flash_attn_mask_to_KV_maxILi1EEvPK7__half2Piiii.num_named_barrier, 0
	.set _ZL25flash_attn_mask_to_KV_maxILi1EEvPK7__half2Piiii.private_seg_size, 0
	.set _ZL25flash_attn_mask_to_KV_maxILi1EEvPK7__half2Piiii.uses_vcc, 1
	.set _ZL25flash_attn_mask_to_KV_maxILi1EEvPK7__half2Piiii.uses_flat_scratch, 0
	.set _ZL25flash_attn_mask_to_KV_maxILi1EEvPK7__half2Piiii.has_dyn_sized_stack, 0
	.set _ZL25flash_attn_mask_to_KV_maxILi1EEvPK7__half2Piiii.has_recursion, 0
	.set _ZL25flash_attn_mask_to_KV_maxILi1EEvPK7__half2Piiii.has_indirect_call, 0
	.section	.AMDGPU.csdata,"",@progbits
; Kernel info:
; codeLenInByte = 768
; TotalNumSgprs: 26
; NumVgprs: 17
; NumAgprs: 0
; TotalNumVgprs: 17
; ScratchSize: 0
; MemoryBound: 0
; FloatMode: 240
; IeeeMode: 1
; LDSByteSize: 128 bytes/workgroup (compile time only)
; SGPRBlocks: 3
; VGPRBlocks: 2
; NumSGPRsForWavesPerEU: 26
; NumVGPRsForWavesPerEU: 17
; AccumOffset: 20
; Occupancy: 8
; WaveLimiterHint : 0
; COMPUTE_PGM_RSRC2:SCRATCH_EN: 0
; COMPUTE_PGM_RSRC2:USER_SGPR: 2
; COMPUTE_PGM_RSRC2:TRAP_HANDLER: 0
; COMPUTE_PGM_RSRC2:TGID_X_EN: 1
; COMPUTE_PGM_RSRC2:TGID_Y_EN: 1
; COMPUTE_PGM_RSRC2:TGID_Z_EN: 0
; COMPUTE_PGM_RSRC2:TIDIG_COMP_CNT: 0
; COMPUTE_PGM_RSRC3_GFX90A:ACCUM_OFFSET: 4
; COMPUTE_PGM_RSRC3_GFX90A:TG_SPLIT: 0
	.section	.text._ZL33flash_attn_stream_k_fixup_uniformILi112ELi1ELi8EEvPfPK15HIP_vector_typeIfLj2EEiiiiiiS1_IjLj3EES5_S5_,"axG",@progbits,_ZL33flash_attn_stream_k_fixup_uniformILi112ELi1ELi8EEvPfPK15HIP_vector_typeIfLj2EEiiiiiiS1_IjLj3EES5_S5_,comdat
	.globl	_ZL33flash_attn_stream_k_fixup_uniformILi112ELi1ELi8EEvPfPK15HIP_vector_typeIfLj2EEiiiiiiS1_IjLj3EES5_S5_ ; -- Begin function _ZL33flash_attn_stream_k_fixup_uniformILi112ELi1ELi8EEvPfPK15HIP_vector_typeIfLj2EEiiiiiiS1_IjLj3EES5_S5_
	.p2align	8
	.type	_ZL33flash_attn_stream_k_fixup_uniformILi112ELi1ELi8EEvPfPK15HIP_vector_typeIfLj2EEiiiiiiS1_IjLj3EES5_S5_,@function
_ZL33flash_attn_stream_k_fixup_uniformILi112ELi1ELi8EEvPfPK15HIP_vector_typeIfLj2EEiiiiiiS1_IjLj3EES5_S5_: ; @_ZL33flash_attn_stream_k_fixup_uniformILi112ELi1ELi8EEvPfPK15HIP_vector_typeIfLj2EEiiiiiiS1_IjLj3EES5_S5_
; %bb.0:
	s_load_dwordx8 s[8:15], s[0:1], 0x1c
	s_load_dwordx2 s[6:7], s[0:1], 0x10
	s_load_dwordx4 s[16:19], s[0:1], 0x3c
	s_waitcnt lgkmcnt(0)
	s_mul_hi_u32 s5, s11, s2
	s_add_i32 s5, s2, s5
	s_lshr_b32 s5, s5, s12
	s_mul_i32 s11, s5, s13
	s_sub_i32 s12, s2, s11
	s_mul_hi_u32 s11, s12, s14
	s_add_i32 s11, s12, s11
	s_lshr_b32 s11, s11, s15
	s_mul_i32 s13, s11, s16
	s_sub_i32 s12, s12, s13
	;; [unrolled: 5-line block ×3, first 2 shown]
	s_lshl_b32 s16, s13, 3
	s_add_i32 s17, s17, s3
	s_cmp_lt_i32 s17, s6
	s_cselect_b64 s[12:13], -1, 0
	s_add_i32 s16, s16, s4
	s_cmp_lt_i32 s16, s9
	s_cselect_b64 s[14:15], -1, 0
	s_and_b64 s[12:13], s[12:13], s[14:15]
	s_andn2_b64 vcc, exec, s[12:13]
	s_cbranch_vccnz .LBB15_6
; %bb.1:
	s_mul_i32 s5, s5, s6
	s_load_dwordx4 s[12:15], s[0:1], 0x0
	s_mul_i32 s11, s11, s9
	s_add_i32 s0, s17, s5
	s_mul_i32 s0, s0, s7
	s_add_i32 s1, s16, s11
	s_add_i32 s0, s1, s0
	s_mulk_i32 s0, 0x70
	v_add_u32_e32 v4, s0, v0
	s_waitcnt lgkmcnt(0)
	v_mov_b32_e32 v2, s12
	v_mov_b32_e32 v3, s13
	v_ashrrev_i32_e32 v5, 31, v4
	v_lshl_add_u64 v[2:3], v[4:5], 2, v[2:3]
	global_load_dword v5, v[2:3], off
	s_mul_i32 s5, s10, s2
	s_add_i32 s11, s5, s10
	s_add_i32 s0, s3, s11
	s_lshl_b32 s0, s0, 3
	s_add_i32 s0, s0, s4
	s_add_i32 s0, s0, -8
	s_ashr_i32 s1, s0, 31
	s_lshl_b64 s[0:1], s[0:1], 3
	s_add_u32 s0, s14, s0
	s_addc_u32 s1, s15, s1
	s_load_dword s12, s[0:1], 0x4
	s_add_i32 s6, s11, -2
	s_cmp_lt_i32 s6, s5
	s_cbranch_scc1 .LBB15_4
; %bb.2:
	s_lshl_b32 s6, s8, 5
	s_ashr_i32 s7, s6, 31
	s_lshl_b64 s[6:7], s[6:7], 2
	s_add_u32 s6, s14, s6
	s_addc_u32 s7, s15, s7
	s_add_i32 s2, s2, 1
	s_load_dword s0, s[0:1], 0x0
	s_mul_i32 s1, s10, s2
	s_mul_i32 s2, s3, 0x380
	;; [unrolled: 1-line block ×3, first 2 shown]
	s_mulk_i32 s1, 0x380
	s_add_i32 s2, s10, s2
	s_add_i32 s2, s2, s1
	;; [unrolled: 1-line block ×4, first 2 shown]
	s_lshl_b32 s1, s1, 3
	v_add_u32_e32 v0, s2, v0
	s_add_i32 s1, s4, s1
	s_add_i32 s9, s11, -1
	v_add_u32_e32 v0, 0xfffff900, v0
	s_add_i32 s2, s1, -16
	s_waitcnt lgkmcnt(0)
	v_mov_b32_e32 v7, s0
	v_mov_b32_e32 v4, s12
	s_mov_b32 s4, 0x3fb8aa3b
	s_mov_b32 s8, 0xc2ce8ed0
	;; [unrolled: 1-line block ×3, first 2 shown]
	v_mov_b32_e32 v6, 0x7f800000
	s_mov_b32 s11, 0xc1a00000
.LBB15_3:                               ; =>This Inner Loop Header: Depth=1
	v_ashrrev_i32_e32 v1, 31, v0
	v_lshl_add_u64 v[8:9], v[0:1], 2, s[6:7]
	global_load_dword v9, v[8:9], off
	s_ashr_i32 s3, s2, 31
	s_lshl_b64 s[0:1], s[2:3], 3
	s_add_u32 s0, s14, s0
	s_addc_u32 s1, s15, s1
	s_load_dwordx2 s[0:1], s[0:1], 0x0
	v_max_f32_e32 v1, v7, v7
	s_add_i32 s9, s9, -1
	s_add_i32 s2, s2, -8
	v_add_u32_e32 v0, 0xfffffc80, v0
	s_waitcnt lgkmcnt(0)
	v_max_f32_e64 v10, s0, s0
	v_max_f32_e32 v1, v1, v10
	v_sub_f32_e32 v11, s0, v1
	v_sub_f32_e32 v10, v7, v1
	v_mul_f32_e32 v12, 0x3fb8aa3b, v11
	v_mov_b32_e32 v7, v1
	v_mul_f32_e32 v1, 0x3fb8aa3b, v10
	v_fma_f32 v15, v11, s4, -v12
	v_rndne_f32_e32 v16, v12
	v_fma_f32 v13, v10, s4, -v1
	v_rndne_f32_e32 v14, v1
	v_fmac_f32_e32 v15, 0x32a5705f, v11
	v_sub_f32_e32 v12, v12, v16
	v_fmac_f32_e32 v13, 0x32a5705f, v10
	v_sub_f32_e32 v1, v1, v14
	v_add_f32_e32 v12, v12, v15
	v_cvt_i32_f32_e32 v16, v16
	v_add_f32_e32 v1, v1, v13
	v_exp_f32_e32 v12, v12
	v_cvt_i32_f32_e32 v14, v14
	v_exp_f32_e32 v1, v1
	v_cmp_ngt_f32_e32 vcc, s8, v11
	v_ldexp_f32 v12, v12, v16
	v_mov_b32_e32 v8, s1
	v_ldexp_f32 v1, v1, v14
	v_cmp_ngt_f32_e64 s[0:1], s8, v10
	v_cndmask_b32_e32 v12, 0, v12, vcc
	v_cmp_nlt_f32_e32 vcc, s10, v11
	v_cndmask_b32_e64 v1, 0, v1, s[0:1]
	v_cmp_nlt_f32_e64 s[0:1], s10, v10
	v_cndmask_b32_e32 v12, v6, v12, vcc
	v_cmp_le_f32_e32 vcc, s11, v11
	v_cndmask_b32_e64 v1, v6, v1, s[0:1]
	v_cmp_le_f32_e64 s[0:1], s11, v10
	v_cndmask_b32_e32 v12, 0, v12, vcc
	s_cmp_le_i32 s9, s5
	v_cndmask_b32_e64 v10, 0, v1, s[0:1]
	s_waitcnt vmcnt(0)
	v_pk_mul_f32 v[8:9], v[8:9], v[12:13] op_sel_hi:[1,0]
	s_nop 0
	v_pk_fma_f32 v[4:5], v[4:5], v[10:11], v[8:9] op_sel_hi:[1,0,1]
	s_cbranch_scc0 .LBB15_3
	s_branch .LBB15_5
.LBB15_4:
	s_waitcnt lgkmcnt(0)
	v_mov_b32_e32 v4, s12
.LBB15_5:
	s_waitcnt vmcnt(0)
	v_div_scale_f32 v0, s[0:1], v4, v4, v5
	v_rcp_f32_e32 v1, v0
	v_div_scale_f32 v6, vcc, v5, v4, v5
	v_fma_f32 v7, -v0, v1, 1.0
	v_fmac_f32_e32 v1, v7, v1
	v_mul_f32_e32 v7, v6, v1
	v_fma_f32 v8, -v0, v7, v6
	v_fmac_f32_e32 v7, v8, v1
	v_fma_f32 v0, -v0, v7, v6
	v_div_fmas_f32 v0, v0, v1, v7
	v_div_fixup_f32 v0, v0, v4, v5
	global_store_dword v[2:3], v0, off
.LBB15_6:
	s_endpgm
	.section	.rodata,"a",@progbits
	.p2align	6, 0x0
	.amdhsa_kernel _ZL33flash_attn_stream_k_fixup_uniformILi112ELi1ELi8EEvPfPK15HIP_vector_typeIfLj2EEiiiiiiS1_IjLj3EES5_S5_
		.amdhsa_group_segment_fixed_size 0
		.amdhsa_private_segment_fixed_size 0
		.amdhsa_kernarg_size 76
		.amdhsa_user_sgpr_count 2
		.amdhsa_user_sgpr_dispatch_ptr 0
		.amdhsa_user_sgpr_queue_ptr 0
		.amdhsa_user_sgpr_kernarg_segment_ptr 1
		.amdhsa_user_sgpr_dispatch_id 0
		.amdhsa_user_sgpr_kernarg_preload_length 0
		.amdhsa_user_sgpr_kernarg_preload_offset 0
		.amdhsa_user_sgpr_private_segment_size 0
		.amdhsa_uses_dynamic_stack 0
		.amdhsa_enable_private_segment 0
		.amdhsa_system_sgpr_workgroup_id_x 1
		.amdhsa_system_sgpr_workgroup_id_y 1
		.amdhsa_system_sgpr_workgroup_id_z 1
		.amdhsa_system_sgpr_workgroup_info 0
		.amdhsa_system_vgpr_workitem_id 0
		.amdhsa_next_free_vgpr 17
		.amdhsa_next_free_sgpr 20
		.amdhsa_accum_offset 20
		.amdhsa_reserve_vcc 1
		.amdhsa_float_round_mode_32 0
		.amdhsa_float_round_mode_16_64 0
		.amdhsa_float_denorm_mode_32 3
		.amdhsa_float_denorm_mode_16_64 3
		.amdhsa_dx10_clamp 1
		.amdhsa_ieee_mode 1
		.amdhsa_fp16_overflow 0
		.amdhsa_tg_split 0
		.amdhsa_exception_fp_ieee_invalid_op 0
		.amdhsa_exception_fp_denorm_src 0
		.amdhsa_exception_fp_ieee_div_zero 0
		.amdhsa_exception_fp_ieee_overflow 0
		.amdhsa_exception_fp_ieee_underflow 0
		.amdhsa_exception_fp_ieee_inexact 0
		.amdhsa_exception_int_div_zero 0
	.end_amdhsa_kernel
	.section	.text._ZL33flash_attn_stream_k_fixup_uniformILi112ELi1ELi8EEvPfPK15HIP_vector_typeIfLj2EEiiiiiiS1_IjLj3EES5_S5_,"axG",@progbits,_ZL33flash_attn_stream_k_fixup_uniformILi112ELi1ELi8EEvPfPK15HIP_vector_typeIfLj2EEiiiiiiS1_IjLj3EES5_S5_,comdat
.Lfunc_end15:
	.size	_ZL33flash_attn_stream_k_fixup_uniformILi112ELi1ELi8EEvPfPK15HIP_vector_typeIfLj2EEiiiiiiS1_IjLj3EES5_S5_, .Lfunc_end15-_ZL33flash_attn_stream_k_fixup_uniformILi112ELi1ELi8EEvPfPK15HIP_vector_typeIfLj2EEiiiiiiS1_IjLj3EES5_S5_
                                        ; -- End function
	.set _ZL33flash_attn_stream_k_fixup_uniformILi112ELi1ELi8EEvPfPK15HIP_vector_typeIfLj2EEiiiiiiS1_IjLj3EES5_S5_.num_vgpr, 17
	.set _ZL33flash_attn_stream_k_fixup_uniformILi112ELi1ELi8EEvPfPK15HIP_vector_typeIfLj2EEiiiiiiS1_IjLj3EES5_S5_.num_agpr, 0
	.set _ZL33flash_attn_stream_k_fixup_uniformILi112ELi1ELi8EEvPfPK15HIP_vector_typeIfLj2EEiiiiiiS1_IjLj3EES5_S5_.numbered_sgpr, 20
	.set _ZL33flash_attn_stream_k_fixup_uniformILi112ELi1ELi8EEvPfPK15HIP_vector_typeIfLj2EEiiiiiiS1_IjLj3EES5_S5_.num_named_barrier, 0
	.set _ZL33flash_attn_stream_k_fixup_uniformILi112ELi1ELi8EEvPfPK15HIP_vector_typeIfLj2EEiiiiiiS1_IjLj3EES5_S5_.private_seg_size, 0
	.set _ZL33flash_attn_stream_k_fixup_uniformILi112ELi1ELi8EEvPfPK15HIP_vector_typeIfLj2EEiiiiiiS1_IjLj3EES5_S5_.uses_vcc, 1
	.set _ZL33flash_attn_stream_k_fixup_uniformILi112ELi1ELi8EEvPfPK15HIP_vector_typeIfLj2EEiiiiiiS1_IjLj3EES5_S5_.uses_flat_scratch, 0
	.set _ZL33flash_attn_stream_k_fixup_uniformILi112ELi1ELi8EEvPfPK15HIP_vector_typeIfLj2EEiiiiiiS1_IjLj3EES5_S5_.has_dyn_sized_stack, 0
	.set _ZL33flash_attn_stream_k_fixup_uniformILi112ELi1ELi8EEvPfPK15HIP_vector_typeIfLj2EEiiiiiiS1_IjLj3EES5_S5_.has_recursion, 0
	.set _ZL33flash_attn_stream_k_fixup_uniformILi112ELi1ELi8EEvPfPK15HIP_vector_typeIfLj2EEiiiiiiS1_IjLj3EES5_S5_.has_indirect_call, 0
	.section	.AMDGPU.csdata,"",@progbits
; Kernel info:
; codeLenInByte = 816
; TotalNumSgprs: 26
; NumVgprs: 17
; NumAgprs: 0
; TotalNumVgprs: 17
; ScratchSize: 0
; MemoryBound: 0
; FloatMode: 240
; IeeeMode: 1
; LDSByteSize: 0 bytes/workgroup (compile time only)
; SGPRBlocks: 3
; VGPRBlocks: 2
; NumSGPRsForWavesPerEU: 26
; NumVGPRsForWavesPerEU: 17
; AccumOffset: 20
; Occupancy: 8
; WaveLimiterHint : 0
; COMPUTE_PGM_RSRC2:SCRATCH_EN: 0
; COMPUTE_PGM_RSRC2:USER_SGPR: 2
; COMPUTE_PGM_RSRC2:TRAP_HANDLER: 0
; COMPUTE_PGM_RSRC2:TGID_X_EN: 1
; COMPUTE_PGM_RSRC2:TGID_Y_EN: 1
; COMPUTE_PGM_RSRC2:TGID_Z_EN: 1
; COMPUTE_PGM_RSRC2:TIDIG_COMP_CNT: 0
; COMPUTE_PGM_RSRC3_GFX90A:ACCUM_OFFSET: 4
; COMPUTE_PGM_RSRC3_GFX90A:TG_SPLIT: 0
	.section	.text._ZL33flash_attn_stream_k_fixup_generalILi112ELi1ELi8EEvPfPK15HIP_vector_typeIfLj2EEiiiiS1_IjLj3EES5_S5_S5_,"axG",@progbits,_ZL33flash_attn_stream_k_fixup_generalILi112ELi1ELi8EEvPfPK15HIP_vector_typeIfLj2EEiiiiS1_IjLj3EES5_S5_S5_,comdat
	.globl	_ZL33flash_attn_stream_k_fixup_generalILi112ELi1ELi8EEvPfPK15HIP_vector_typeIfLj2EEiiiiS1_IjLj3EES5_S5_S5_ ; -- Begin function _ZL33flash_attn_stream_k_fixup_generalILi112ELi1ELi8EEvPfPK15HIP_vector_typeIfLj2EEiiiiS1_IjLj3EES5_S5_S5_
	.p2align	8
	.type	_ZL33flash_attn_stream_k_fixup_generalILi112ELi1ELi8EEvPfPK15HIP_vector_typeIfLj2EEiiiiS1_IjLj3EES5_S5_S5_,@function
_ZL33flash_attn_stream_k_fixup_generalILi112ELi1ELi8EEvPfPK15HIP_vector_typeIfLj2EEiiiiS1_IjLj3EES5_S5_S5_: ; @_ZL33flash_attn_stream_k_fixup_generalILi112ELi1ELi8EEvPfPK15HIP_vector_typeIfLj2EEiiiiS1_IjLj3EES5_S5_S5_
; %bb.0:
	s_load_dwordx4 s[8:11], s[0:1], 0x10
	s_load_dword s5, s[0:1], 0x50
	s_mov_b32 s12, 0
	s_waitcnt lgkmcnt(0)
	s_mul_hi_i32 s13, s11, s2
	s_cmp_lg_u64 s[12:13], 0
	s_mul_i32 s18, s11, s2
	s_cbranch_scc0 .LBB16_20
; %bb.1:
	s_add_u32 s6, s5, 0
	s_addc_u32 s7, 0, 0
	s_xor_b64 s[6:7], s[6:7], 0
	v_cvt_f32_u32_e32 v1, s6
	v_cvt_f32_u32_e32 v2, s7
	s_sub_u32 s12, 0, s6
	s_subb_u32 s19, 0, s7
	v_fmamk_f32 v1, v2, 0x4f800000, v1
	v_rcp_f32_e32 v1, v1
	s_nop 0
	v_mul_f32_e32 v1, 0x5f7ffffc, v1
	v_mul_f32_e32 v2, 0x2f800000, v1
	v_trunc_f32_e32 v2, v2
	v_fmamk_f32 v1, v2, 0xcf800000, v1
	v_cvt_u32_f32_e32 v2, v2
	v_cvt_u32_f32_e32 v1, v1
	v_readfirstlane_b32 s20, v2
	v_readfirstlane_b32 s14, v1
	s_mul_i32 s15, s12, s20
	s_mul_hi_u32 s22, s12, s14
	s_mul_i32 s21, s19, s14
	s_add_i32 s15, s22, s15
	s_add_i32 s15, s15, s21
	s_mul_i32 s23, s12, s14
	s_mul_i32 s22, s14, s15
	s_mul_hi_u32 s24, s14, s23
	s_mul_hi_u32 s21, s14, s15
	s_add_u32 s22, s24, s22
	s_addc_u32 s21, 0, s21
	s_mul_hi_u32 s25, s20, s23
	s_mul_i32 s23, s20, s23
	s_add_u32 s22, s22, s23
	s_mul_hi_u32 s24, s20, s15
	s_addc_u32 s21, s21, s25
	s_addc_u32 s22, s24, 0
	s_mul_i32 s15, s20, s15
	s_add_u32 s15, s21, s15
	s_addc_u32 s21, 0, s22
	s_add_u32 s22, s14, s15
	s_cselect_b64 s[14:15], -1, 0
	s_cmp_lg_u64 s[14:15], 0
	s_addc_u32 s20, s20, s21
	s_mul_i32 s14, s12, s20
	s_mul_hi_u32 s15, s12, s22
	s_add_i32 s14, s15, s14
	s_mul_i32 s19, s19, s22
	s_add_i32 s14, s14, s19
	s_mul_i32 s12, s12, s22
	s_mul_hi_u32 s19, s20, s12
	s_mul_i32 s21, s20, s12
	s_mul_i32 s24, s22, s14
	s_mul_hi_u32 s12, s22, s12
	s_mul_hi_u32 s23, s22, s14
	s_add_u32 s12, s12, s24
	s_addc_u32 s23, 0, s23
	s_add_u32 s12, s12, s21
	s_mul_hi_u32 s15, s20, s14
	s_addc_u32 s12, s23, s19
	s_addc_u32 s15, s15, 0
	s_mul_i32 s14, s20, s14
	s_add_u32 s12, s12, s14
	s_addc_u32 s19, 0, s15
	s_add_u32 s21, s22, s12
	s_cselect_b64 s[14:15], -1, 0
	s_cmp_lg_u64 s[14:15], 0
	s_addc_u32 s19, s20, s19
	s_ashr_i32 s14, s13, 31
	s_add_u32 s12, s18, s14
	s_mov_b32 s15, s14
	s_addc_u32 s13, s13, s14
	s_xor_b64 s[12:13], s[12:13], s[14:15]
	s_mul_i32 s22, s12, s19
	s_mul_hi_u32 s23, s12, s21
	s_mul_hi_u32 s20, s12, s19
	s_add_u32 s22, s23, s22
	s_addc_u32 s20, 0, s20
	s_mul_hi_u32 s24, s13, s21
	s_mul_i32 s21, s13, s21
	s_add_u32 s21, s22, s21
	s_mul_hi_u32 s23, s13, s19
	s_addc_u32 s20, s20, s24
	s_addc_u32 s21, s23, 0
	s_mul_i32 s19, s13, s19
	s_add_u32 s19, s20, s19
	s_addc_u32 s24, 0, s21
	s_mul_i32 s20, s6, s24
	s_mul_hi_u32 s21, s6, s19
	s_add_i32 s20, s21, s20
	s_mul_i32 s21, s7, s19
	s_add_i32 s25, s20, s21
	s_sub_i32 s22, s13, s25
	s_mul_i32 s20, s6, s19
	s_sub_u32 s12, s12, s20
	s_cselect_b64 s[20:21], -1, 0
	s_cmp_lg_u64 s[20:21], 0
	s_subb_u32 s26, s22, s7
	s_sub_u32 s27, s12, s6
	s_cselect_b64 s[22:23], -1, 0
	s_cmp_lg_u64 s[22:23], 0
	s_subb_u32 s22, s26, 0
	s_cmp_ge_u32 s22, s7
	s_cselect_b32 s23, -1, 0
	s_cmp_ge_u32 s27, s6
	s_cselect_b32 s26, -1, 0
	s_cmp_eq_u32 s22, s7
	s_cselect_b32 s22, s26, s23
	s_add_u32 s23, s19, 1
	s_addc_u32 s26, s24, 0
	s_add_u32 s27, s19, 2
	s_addc_u32 s28, s24, 0
	s_cmp_lg_u32 s22, 0
	s_cselect_b32 s22, s27, s23
	s_cselect_b32 s23, s28, s26
	s_cmp_lg_u64 s[20:21], 0
	s_subb_u32 s13, s13, s25
	s_cmp_ge_u32 s13, s7
	s_cselect_b32 s20, -1, 0
	s_cmp_ge_u32 s12, s6
	s_cselect_b32 s6, -1, 0
	s_cmp_eq_u32 s13, s7
	s_cselect_b32 s6, s6, s20
	s_cmp_lg_u32 s6, 0
	s_cselect_b32 s7, s23, s24
	s_cselect_b32 s6, s22, s19
	s_xor_b64 s[12:13], s[14:15], 0
	s_xor_b64 s[6:7], s[6:7], s[12:13]
	s_sub_u32 s6, s6, s12
	s_load_dwordx4 s[12:15], s[0:1], 0x44
	s_cbranch_execnz .LBB16_3
.LBB16_2:
	v_cvt_f32_u32_e32 v1, s5
	s_sub_i32 s6, 0, s5
	v_rcp_iflag_f32_e32 v1, v1
	s_nop 0
	v_mul_f32_e32 v1, 0x4f7ffffe, v1
	v_cvt_u32_f32_e32 v1, v1
	s_nop 0
	v_readfirstlane_b32 s7, v1
	s_mul_i32 s6, s6, s7
	s_mul_hi_u32 s6, s7, s6
	s_add_i32 s7, s7, s6
	s_mul_hi_u32 s6, s18, s7
	s_waitcnt lgkmcnt(0)
	s_mul_i32 s15, s6, s5
	s_sub_i32 s15, s18, s15
	s_add_i32 s7, s6, 1
	s_sub_i32 s16, s15, s5
	s_cmp_ge_u32 s15, s5
	s_cselect_b32 s6, s7, s6
	s_cselect_b32 s15, s16, s15
	s_add_i32 s7, s6, 1
	s_cmp_ge_u32 s15, s5
	s_cselect_b32 s6, s7, s6
.LBB16_3:
	s_add_i32 s7, s2, 1
	s_mul_hi_i32 s21, s11, s7
	s_mov_b32 s20, 0
	s_cmp_lg_u64 s[20:21], 0
	s_mul_i32 s7, s11, s7
	s_cbranch_scc0 .LBB16_21
; %bb.4:
	s_add_u32 s16, s5, 0
	s_addc_u32 s17, 0, 0
	s_xor_b64 s[18:19], s[16:17], 0
	v_cvt_f32_u32_e32 v1, s18
	v_cvt_f32_u32_e32 v2, s19
	s_waitcnt lgkmcnt(0)
	s_sub_u32 s15, 0, s18
	s_subb_u32 s20, 0, s19
	v_fmamk_f32 v1, v2, 0x4f800000, v1
	v_rcp_f32_e32 v1, v1
	s_nop 0
	v_mul_f32_e32 v1, 0x5f7ffffc, v1
	v_mul_f32_e32 v2, 0x2f800000, v1
	v_trunc_f32_e32 v2, v2
	v_fmamk_f32 v1, v2, 0xcf800000, v1
	v_cvt_u32_f32_e32 v2, v2
	v_cvt_u32_f32_e32 v1, v1
	v_readfirstlane_b32 s24, v2
	v_readfirstlane_b32 s22, v1
	s_mul_i32 s23, s15, s24
	s_mul_hi_u32 s26, s15, s22
	s_mul_i32 s25, s20, s22
	s_add_i32 s23, s26, s23
	s_add_i32 s23, s23, s25
	s_mul_i32 s27, s15, s22
	s_mul_i32 s26, s22, s23
	s_mul_hi_u32 s28, s22, s27
	s_mul_hi_u32 s25, s22, s23
	s_add_u32 s26, s28, s26
	s_addc_u32 s25, 0, s25
	s_mul_hi_u32 s29, s24, s27
	s_mul_i32 s27, s24, s27
	s_add_u32 s26, s26, s27
	s_mul_hi_u32 s28, s24, s23
	s_addc_u32 s25, s25, s29
	s_addc_u32 s26, s28, 0
	s_mul_i32 s23, s24, s23
	s_add_u32 s23, s25, s23
	s_addc_u32 s25, 0, s26
	s_add_u32 s26, s22, s23
	s_cselect_b64 s[22:23], -1, 0
	s_cmp_lg_u64 s[22:23], 0
	s_addc_u32 s24, s24, s25
	s_mul_i32 s22, s15, s24
	s_mul_hi_u32 s23, s15, s26
	s_add_i32 s22, s23, s22
	s_mul_i32 s20, s20, s26
	s_add_i32 s22, s22, s20
	s_mul_i32 s15, s15, s26
	s_mul_hi_u32 s23, s24, s15
	s_mul_i32 s25, s24, s15
	s_mul_i32 s28, s26, s22
	s_mul_hi_u32 s15, s26, s15
	s_mul_hi_u32 s27, s26, s22
	s_add_u32 s15, s15, s28
	s_addc_u32 s27, 0, s27
	s_add_u32 s15, s15, s25
	s_mul_hi_u32 s20, s24, s22
	s_addc_u32 s15, s27, s23
	s_addc_u32 s20, s20, 0
	s_mul_i32 s22, s24, s22
	s_add_u32 s15, s15, s22
	s_addc_u32 s20, 0, s20
	s_add_u32 s15, s26, s15
	s_cselect_b64 s[22:23], -1, 0
	s_cmp_lg_u64 s[22:23], 0
	s_addc_u32 s24, s24, s20
	s_ashr_i32 s22, s21, 31
	s_add_u32 s20, s7, s22
	s_mov_b32 s23, s22
	s_addc_u32 s21, s21, s22
	s_xor_b64 s[20:21], s[20:21], s[22:23]
	s_mul_i32 s26, s20, s24
	s_mul_hi_u32 s27, s20, s15
	s_mul_hi_u32 s25, s20, s24
	s_add_u32 s26, s27, s26
	s_addc_u32 s25, 0, s25
	s_mul_hi_u32 s28, s21, s15
	s_mul_i32 s15, s21, s15
	s_add_u32 s15, s26, s15
	s_mul_hi_u32 s27, s21, s24
	s_addc_u32 s15, s25, s28
	s_addc_u32 s25, s27, 0
	s_mul_i32 s24, s21, s24
	s_add_u32 s15, s15, s24
	s_addc_u32 s28, 0, s25
	s_mul_i32 s24, s18, s28
	s_mul_hi_u32 s25, s18, s15
	s_add_i32 s24, s25, s24
	s_mul_i32 s25, s19, s15
	s_add_i32 s29, s24, s25
	s_sub_i32 s26, s21, s29
	s_mul_i32 s24, s18, s15
	s_sub_u32 s20, s20, s24
	s_cselect_b64 s[24:25], -1, 0
	s_cmp_lg_u64 s[24:25], 0
	s_subb_u32 s30, s26, s19
	s_sub_u32 s31, s20, s18
	s_cselect_b64 s[26:27], -1, 0
	s_cmp_lg_u64 s[26:27], 0
	s_subb_u32 s26, s30, 0
	s_cmp_ge_u32 s26, s19
	s_cselect_b32 s27, -1, 0
	s_cmp_ge_u32 s31, s18
	s_cselect_b32 s30, -1, 0
	s_cmp_eq_u32 s26, s19
	s_cselect_b32 s26, s30, s27
	s_add_u32 s27, s15, 1
	s_addc_u32 s30, s28, 0
	s_add_u32 s31, s15, 2
	s_addc_u32 s33, s28, 0
	s_cmp_lg_u32 s26, 0
	s_cselect_b32 s26, s31, s27
	s_cselect_b32 s27, s33, s30
	s_cmp_lg_u64 s[24:25], 0
	s_subb_u32 s21, s21, s29
	s_cmp_ge_u32 s21, s19
	s_cselect_b32 s24, -1, 0
	s_cmp_ge_u32 s20, s18
	s_cselect_b32 s18, -1, 0
	s_cmp_eq_u32 s21, s19
	s_cselect_b32 s18, s18, s24
	s_cmp_lg_u32 s18, 0
	s_cselect_b32 s19, s27, s28
	s_cselect_b32 s18, s26, s15
	s_xor_b64 s[20:21], s[22:23], 0
	s_xor_b64 s[18:19], s[18:19], s[20:21]
	s_sub_u32 s18, s18, s20
	s_cbranch_execnz .LBB16_6
.LBB16_5:
	v_cvt_f32_u32_e32 v1, s5
	s_waitcnt lgkmcnt(0)
	s_sub_i32 s15, 0, s5
	v_rcp_iflag_f32_e32 v1, v1
	s_nop 0
	v_mul_f32_e32 v1, 0x4f7ffffe, v1
	v_cvt_u32_f32_e32 v1, v1
	s_nop 0
	v_readfirstlane_b32 s16, v1
	s_mul_i32 s15, s15, s16
	s_mul_hi_u32 s15, s16, s15
	s_add_i32 s16, s16, s15
	s_mul_hi_u32 s15, s7, s16
	s_mul_i32 s17, s15, s5
	s_sub_i32 s7, s7, s17
	s_add_i32 s16, s15, 1
	s_sub_i32 s17, s7, s5
	s_cmp_ge_u32 s7, s5
	s_cselect_b32 s15, s16, s15
	s_cselect_b32 s7, s17, s7
	s_add_i32 s16, s15, 1
	s_cmp_ge_u32 s7, s5
	s_cselect_b32 s18, s16, s15
.LBB16_6:
	s_cmp_eq_u32 s6, s18
	s_waitcnt lgkmcnt(0)
	s_mul_hi_u32 s7, s6, s12
	s_cselect_b64 s[16:17], -1, 0
	s_add_i32 s7, s7, s6
	s_lshr_b32 s7, s7, s13
	s_mul_i32 s15, s7, s14
	s_cmp_eq_u32 s15, s6
	s_mul_hi_u32 s15, s18, s12
	s_cselect_b64 s[20:21], -1, 0
	s_add_i32 s15, s15, s18
	s_lshr_b32 s15, s15, s13
	s_cmp_eq_u32 s7, s15
	s_mul_i32 s15, s15, s14
	s_cselect_b64 s[22:23], -1, 0
	s_cmp_lg_u32 s15, s18
	s_cselect_b64 s[18:19], -1, 0
	s_and_b64 s[18:19], s[22:23], s[18:19]
	s_or_b64 s[16:17], s[16:17], s[20:21]
	s_or_b64 s[16:17], s[16:17], s[18:19]
	s_and_b64 vcc, exec, s[16:17]
	s_cbranch_vccnz .LBB16_23
; %bb.7:
	s_load_dwordx8 s[16:23], s[0:1], 0x20
	s_load_dword s24, s[0:1], 0x40
	s_waitcnt lgkmcnt(0)
	s_mul_hi_u32 s15, s6, s16
	s_add_i32 s15, s15, s6
	s_lshr_b32 s15, s15, s17
	s_mul_i32 s16, s15, s18
	s_sub_i32 s16, s6, s16
	s_mul_hi_u32 s17, s16, s19
	s_add_i32 s17, s16, s17
	s_lshr_b32 s20, s17, s20
	s_mul_i32 s17, s20, s21
	s_sub_i32 s16, s16, s17
	;; [unrolled: 5-line block ×3, first 2 shown]
	s_lshl_b32 s22, s17, 3
	s_mul_hi_u32 s17, s16, s12
	s_add_i32 s16, s16, s17
	s_lshr_b32 s21, s16, s13
	s_add_i32 s21, s21, s3
	s_cmp_lt_i32 s21, s8
	s_cselect_b64 s[16:17], -1, 0
	s_add_i32 s22, s22, s4
	s_cmp_lt_i32 s22, s10
	s_cselect_b64 s[18:19], -1, 0
	s_and_b64 s[16:17], s[16:17], s[18:19]
	s_andn2_b64 vcc, exec, s[16:17]
	s_cbranch_vccnz .LBB16_23
; %bb.8:
	s_load_dwordx4 s[16:19], s[0:1], 0x0
	s_lshl_b32 s0, s3, 3
	s_add_i32 s1, s0, s4
	s_mov_b32 s0, 0
	s_lshl_b32 s24, s5, 5
	s_mov_b32 s25, s0
	s_waitcnt lgkmcnt(0)
	v_mov_b32_e32 v2, s16
	v_mov_b32_e32 v3, s17
	s_lshl_b64 s[16:17], s[24:25], 2
	s_add_u32 s16, s18, s16
	s_mul_i32 s15, s15, s8
	s_addc_u32 s17, s19, s17
	s_mul_i32 s20, s20, s10
	s_add_i32 s8, s21, s15
	s_mul_i32 s8, s8, s9
	s_add_i32 s9, s22, s20
	s_add_i32 s8, s9, s8
	s_mulk_i32 s8, 0x70
	v_add_u32_e32 v4, s8, v0
	v_ashrrev_i32_e32 v5, 31, v4
	v_lshl_add_u64 v[2:3], v[4:5], 2, v[2:3]
	global_load_dword v1, v[2:3], off
	s_add_i32 s8, s3, s2
	v_cvt_f32_u32_e32 v4, s5
	s_lshl_b32 s8, s8, 3
	s_add_i32 s8, s8, s4
	s_ashr_i32 s9, s8, 31
	s_lshl_b64 s[8:9], s[8:9], 3
	v_rcp_iflag_f32_e32 v4, v4
	s_add_u32 s8, s18, s8
	s_addc_u32 s9, s19, s9
	s_load_dwordx2 s[8:9], s[8:9], 0x0
	v_mul_f32_e32 v4, 0x4f7ffffe, v4
	v_cvt_u32_f32_e32 v7, v4
	s_mulk_i32 s1, 0x70
	s_add_i32 s25, s2, -1
	v_add_u32_e32 v6, s1, v0
	s_add_i32 s10, s5, s3
	s_waitcnt lgkmcnt(0)
	v_mov_b32_e32 v0, s9
	v_mov_b32_e32 v9, s8
	s_mov_b32 s15, 0x3fb8aa3b
	s_mov_b32 s22, 0xc2ce8ed0
	;; [unrolled: 1-line block ×4, first 2 shown]
	v_mov_b32_e32 v8, 0x7f800000
	s_mul_hi_i32 s1, s25, s11
	s_cmp_lg_u64 s[0:1], 0
	s_mul_i32 s20, s25, s11
	s_cbranch_scc0 .LBB16_19
.LBB16_9:
	s_add_u32 s2, s5, 0
	s_addc_u32 s3, 0, 0
	s_xor_b64 s[2:3], s[2:3], 0
	v_cvt_f32_u32_e32 v4, s2
	v_cvt_f32_u32_e32 v5, s3
	s_sub_u32 s21, 0, s2
	s_subb_u32 s26, 0, s3
	v_fmac_f32_e32 v4, 0x4f800000, v5
	v_rcp_f32_e32 v4, v4
	s_nop 0
	v_mul_f32_e32 v4, 0x5f7ffffc, v4
	v_mul_f32_e32 v5, 0x2f800000, v4
	v_trunc_f32_e32 v5, v5
	v_fmac_f32_e32 v4, 0xcf800000, v5
	v_cvt_u32_f32_e32 v5, v5
	v_cvt_u32_f32_e32 v4, v4
	v_readfirstlane_b32 s27, v5
	v_readfirstlane_b32 s8, v4
	s_mul_i32 s9, s21, s27
	s_mul_hi_u32 s29, s21, s8
	s_mul_i32 s28, s26, s8
	s_add_i32 s9, s29, s9
	s_mul_i32 s30, s21, s8
	s_add_i32 s9, s9, s28
	s_mul_i32 s29, s8, s9
	s_mul_hi_u32 s31, s8, s30
	s_mul_hi_u32 s28, s8, s9
	s_add_u32 s29, s31, s29
	s_addc_u32 s28, 0, s28
	s_mul_hi_u32 s33, s27, s30
	s_mul_i32 s30, s27, s30
	s_add_u32 s29, s29, s30
	s_mul_hi_u32 s31, s27, s9
	s_addc_u32 s28, s28, s33
	s_addc_u32 s29, s31, 0
	s_mul_i32 s9, s27, s9
	s_add_u32 s9, s28, s9
	s_addc_u32 s28, 0, s29
	s_add_u32 s29, s8, s9
	s_cselect_b64 s[8:9], -1, 0
	s_cmp_lg_u64 s[8:9], 0
	s_addc_u32 s27, s27, s28
	s_mul_i32 s8, s21, s27
	s_mul_hi_u32 s9, s21, s29
	s_add_i32 s8, s9, s8
	s_mul_i32 s26, s26, s29
	s_add_i32 s8, s8, s26
	s_mul_i32 s21, s21, s29
	s_mul_hi_u32 s26, s27, s21
	s_mul_i32 s28, s27, s21
	s_mul_i32 s31, s29, s8
	s_mul_hi_u32 s21, s29, s21
	s_mul_hi_u32 s30, s29, s8
	s_add_u32 s21, s21, s31
	s_addc_u32 s30, 0, s30
	s_add_u32 s21, s21, s28
	s_mul_hi_u32 s9, s27, s8
	s_addc_u32 s21, s30, s26
	s_addc_u32 s9, s9, 0
	s_mul_i32 s8, s27, s8
	s_add_u32 s8, s21, s8
	s_addc_u32 s21, 0, s9
	s_add_u32 s28, s29, s8
	s_cselect_b64 s[8:9], -1, 0
	s_cmp_lg_u64 s[8:9], 0
	s_addc_u32 s21, s27, s21
	s_ashr_i32 s8, s1, 31
	s_add_u32 s26, s20, s8
	s_mov_b32 s9, s8
	s_addc_u32 s27, s1, s8
	s_xor_b64 s[26:27], s[26:27], s[8:9]
	s_mul_i32 s29, s26, s21
	s_mul_hi_u32 s30, s26, s28
	s_mul_hi_u32 s1, s26, s21
	s_add_u32 s29, s30, s29
	s_addc_u32 s1, 0, s1
	s_mul_hi_u32 s31, s27, s28
	s_mul_i32 s28, s27, s28
	s_add_u32 s28, s29, s28
	s_mul_hi_u32 s30, s27, s21
	s_addc_u32 s1, s1, s31
	s_addc_u32 s28, s30, 0
	s_mul_i32 s21, s27, s21
	s_add_u32 s1, s1, s21
	s_addc_u32 s21, 0, s28
	s_mul_i32 s28, s2, s21
	s_mul_hi_u32 s29, s2, s1
	s_add_i32 s28, s29, s28
	s_mul_i32 s29, s3, s1
	s_add_i32 s33, s28, s29
	s_sub_i32 s30, s27, s33
	s_mul_i32 s28, s2, s1
	s_sub_u32 s26, s26, s28
	s_cselect_b64 s[28:29], -1, 0
	s_cmp_lg_u64 s[28:29], 0
	s_subb_u32 s34, s30, s3
	s_sub_u32 s35, s26, s2
	s_cselect_b64 s[30:31], -1, 0
	s_cmp_lg_u64 s[30:31], 0
	s_subb_u32 s30, s34, 0
	s_cmp_ge_u32 s30, s3
	s_cselect_b32 s31, -1, 0
	s_cmp_ge_u32 s35, s2
	s_cselect_b32 s34, -1, 0
	s_cmp_eq_u32 s30, s3
	s_cselect_b32 s30, s34, s31
	s_add_u32 s31, s1, 1
	s_addc_u32 s34, s21, 0
	s_add_u32 s35, s1, 2
	s_addc_u32 s36, s21, 0
	s_cmp_lg_u32 s30, 0
	s_cselect_b32 s30, s35, s31
	s_cselect_b32 s31, s36, s34
	s_cmp_lg_u64 s[28:29], 0
	s_subb_u32 s27, s27, s33
	s_cmp_ge_u32 s27, s3
	s_cselect_b32 s28, -1, 0
	s_cmp_ge_u32 s26, s2
	s_cselect_b32 s2, -1, 0
	s_cmp_eq_u32 s27, s3
	s_cselect_b32 s2, s2, s28
	s_cmp_lg_u32 s2, 0
	s_cselect_b32 s3, s31, s21
	s_cselect_b32 s2, s30, s1
	s_xor_b64 s[8:9], s[8:9], 0
	s_xor_b64 s[2:3], s[2:3], s[8:9]
	s_sub_u32 s8, s2, s8
	s_cbranch_execnz .LBB16_11
.LBB16_10:
	s_sub_i32 s1, 0, s5
	v_readfirstlane_b32 s2, v7
	s_mul_i32 s1, s1, s2
	s_mul_hi_u32 s1, s2, s1
	s_add_i32 s2, s2, s1
	s_mul_hi_u32 s1, s20, s2
	s_mul_i32 s3, s1, s5
	s_sub_i32 s3, s20, s3
	s_add_i32 s2, s1, 1
	s_sub_i32 s8, s3, s5
	s_cmp_ge_u32 s3, s5
	s_cselect_b32 s1, s2, s1
	s_cselect_b32 s3, s8, s3
	s_add_i32 s2, s1, 1
	s_cmp_ge_u32 s3, s5
	s_cselect_b32 s8, s2, s1
.LBB16_11:
	s_cmp_lg_u32 s6, s8
	s_cbranch_scc0 .LBB16_15
; %bb.12:
	s_add_i32 s1, s10, s25
	s_lshl_b32 s1, s1, 3
	s_add_i32 s2, s1, s4
	s_mov_b32 s3, s0
	s_lshl_b64 s[2:3], s[2:3], 3
	s_add_u32 s20, s18, s2
	s_mul_hi_u32 s1, s8, s12
	s_addc_u32 s21, s19, s3
	s_add_i32 s1, s1, s8
	s_lshr_b32 s1, s1, s13
	s_mul_i32 s2, s1, s14
	s_cmp_eq_u32 s2, s8
	s_cselect_b64 s[2:3], -1, 0
	s_cmp_lt_u32 s1, s7
	s_cselect_b64 s[26:27], -1, 0
	s_or_b64 s[26:27], s[26:27], s[2:3]
	s_mov_b64 s[2:3], -1
	s_and_b64 vcc, exec, s[26:27]
	s_mov_b32 s1, s25
	s_mov_b32 s26, s6
	s_cbranch_vccnz .LBB16_14
; %bb.13:
	s_add_i32 s1, s25, -1
	s_mov_b64 s[2:3], 0
	s_mov_b32 s26, s8
.LBB16_14:
	s_mul_i32 s8, s25, 0x380
	v_add_u32_e32 v4, s8, v6
	v_ashrrev_i32_e32 v5, 31, v4
	v_lshl_add_u64 v[4:5], v[4:5], 2, s[16:17]
	global_load_dword v5, v[4:5], off
	s_load_dwordx2 s[8:9], s[20:21], 0x0
	v_max_f32_e32 v4, v9, v9
	s_waitcnt lgkmcnt(0)
	v_max_f32_e64 v10, s8, s8
	v_max_f32_e32 v10, v4, v10
	v_sub_f32_e32 v11, v9, v10
	v_sub_f32_e32 v13, s8, v10
	v_mul_f32_e32 v4, 0x3fb8aa3b, v11
	v_mul_f32_e32 v12, 0x3fb8aa3b, v13
	v_fma_f32 v14, v11, s15, -v4
	v_rndne_f32_e32 v15, v4
	v_fma_f32 v16, v13, s15, -v12
	v_rndne_f32_e32 v17, v12
	v_fmac_f32_e32 v14, 0x32a5705f, v11
	v_sub_f32_e32 v4, v4, v15
	v_fmac_f32_e32 v16, 0x32a5705f, v13
	v_sub_f32_e32 v12, v12, v17
	v_add_f32_e32 v4, v4, v14
	v_cvt_i32_f32_e32 v15, v15
	v_add_f32_e32 v12, v12, v16
	v_exp_f32_e32 v14, v4
	v_cvt_i32_f32_e32 v17, v17
	v_exp_f32_e32 v12, v12
	v_cmp_ngt_f32_e32 vcc, s22, v11
	v_ldexp_f32 v14, v14, v15
	v_mov_b32_e32 v4, s9
	v_ldexp_f32 v12, v12, v17
	v_cndmask_b32_e32 v14, 0, v14, vcc
	v_cmp_ngt_f32_e32 vcc, s22, v13
	s_nop 1
	v_cndmask_b32_e32 v12, 0, v12, vcc
	v_cmp_nlt_f32_e32 vcc, s23, v11
	s_nop 1
	v_cndmask_b32_e32 v14, v8, v14, vcc
	v_cmp_nlt_f32_e32 vcc, s23, v13
	s_nop 1
	v_cndmask_b32_e32 v15, v8, v12, vcc
	v_cmp_le_f32_e32 vcc, s24, v11
	s_nop 1
	v_cndmask_b32_e32 v12, 0, v14, vcc
	v_cmp_le_f32_e32 vcc, s24, v13
	s_nop 1
	v_cndmask_b32_e32 v14, 0, v15, vcc
	s_waitcnt vmcnt(0)
	v_pk_mul_f32 v[4:5], v[4:5], v[14:15] op_sel_hi:[1,0]
	s_nop 0
	v_pk_fma_f32 v[4:5], v[0:1], v[12:13], v[4:5] op_sel_hi:[1,0,1]
	s_cbranch_execz .LBB16_16
	s_branch .LBB16_17
.LBB16_15:
                                        ; implicit-def: $vgpr4_vgpr5
                                        ; implicit-def: $sgpr2_sgpr3
                                        ; implicit-def: $vgpr10
                                        ; implicit-def: $sgpr1
                                        ; implicit-def: $sgpr26
.LBB16_16:
	s_add_i32 s1, s25, -1
	s_mov_b64 s[2:3], 0
	s_mov_b32 s26, s6
	v_mov_b32_e32 v10, v9
	s_waitcnt vmcnt(0)
	v_mov_b64_e32 v[4:5], v[0:1]
.LBB16_17:
	s_andn2_b64 vcc, exec, s[2:3]
	s_cbranch_vccz .LBB16_22
; %bb.18:
	s_mov_b32 s6, s26
	s_mov_b32 s25, s1
	v_mov_b32_e32 v9, v10
	s_waitcnt vmcnt(0)
	v_mov_b64_e32 v[0:1], v[4:5]
	s_mul_hi_i32 s1, s25, s11
	s_cmp_lg_u64 s[0:1], 0
	s_mul_i32 s20, s25, s11
	s_cbranch_scc1 .LBB16_9
.LBB16_19:
                                        ; implicit-def: $sgpr8_sgpr9
	s_branch .LBB16_10
.LBB16_20:
                                        ; implicit-def: $sgpr6_sgpr7
	s_load_dwordx4 s[12:15], s[0:1], 0x44
	s_branch .LBB16_2
.LBB16_21:
                                        ; implicit-def: $sgpr18_sgpr19
	s_branch .LBB16_5
.LBB16_22:
	v_div_scale_f32 v0, s[0:1], v4, v4, v5
	s_waitcnt vmcnt(0)
	v_rcp_f32_e32 v1, v0
	v_div_scale_f32 v6, vcc, v5, v4, v5
	v_fma_f32 v7, -v0, v1, 1.0
	v_fmac_f32_e32 v1, v7, v1
	v_mul_f32_e32 v7, v6, v1
	v_fma_f32 v8, -v0, v7, v6
	v_fmac_f32_e32 v7, v8, v1
	v_fma_f32 v0, -v0, v7, v6
	v_div_fmas_f32 v0, v0, v1, v7
	v_div_fixup_f32 v0, v0, v4, v5
	global_store_dword v[2:3], v0, off
.LBB16_23:
	s_endpgm
	.section	.rodata,"a",@progbits
	.p2align	6, 0x0
	.amdhsa_kernel _ZL33flash_attn_stream_k_fixup_generalILi112ELi1ELi8EEvPfPK15HIP_vector_typeIfLj2EEiiiiS1_IjLj3EES5_S5_S5_
		.amdhsa_group_segment_fixed_size 0
		.amdhsa_private_segment_fixed_size 0
		.amdhsa_kernarg_size 336
		.amdhsa_user_sgpr_count 2
		.amdhsa_user_sgpr_dispatch_ptr 0
		.amdhsa_user_sgpr_queue_ptr 0
		.amdhsa_user_sgpr_kernarg_segment_ptr 1
		.amdhsa_user_sgpr_dispatch_id 0
		.amdhsa_user_sgpr_kernarg_preload_length 0
		.amdhsa_user_sgpr_kernarg_preload_offset 0
		.amdhsa_user_sgpr_private_segment_size 0
		.amdhsa_uses_dynamic_stack 0
		.amdhsa_enable_private_segment 0
		.amdhsa_system_sgpr_workgroup_id_x 1
		.amdhsa_system_sgpr_workgroup_id_y 1
		.amdhsa_system_sgpr_workgroup_id_z 1
		.amdhsa_system_sgpr_workgroup_info 0
		.amdhsa_system_vgpr_workitem_id 0
		.amdhsa_next_free_vgpr 18
		.amdhsa_next_free_sgpr 37
		.amdhsa_accum_offset 20
		.amdhsa_reserve_vcc 1
		.amdhsa_float_round_mode_32 0
		.amdhsa_float_round_mode_16_64 0
		.amdhsa_float_denorm_mode_32 3
		.amdhsa_float_denorm_mode_16_64 3
		.amdhsa_dx10_clamp 1
		.amdhsa_ieee_mode 1
		.amdhsa_fp16_overflow 0
		.amdhsa_tg_split 0
		.amdhsa_exception_fp_ieee_invalid_op 0
		.amdhsa_exception_fp_denorm_src 0
		.amdhsa_exception_fp_ieee_div_zero 0
		.amdhsa_exception_fp_ieee_overflow 0
		.amdhsa_exception_fp_ieee_underflow 0
		.amdhsa_exception_fp_ieee_inexact 0
		.amdhsa_exception_int_div_zero 0
	.end_amdhsa_kernel
	.section	.text._ZL33flash_attn_stream_k_fixup_generalILi112ELi1ELi8EEvPfPK15HIP_vector_typeIfLj2EEiiiiS1_IjLj3EES5_S5_S5_,"axG",@progbits,_ZL33flash_attn_stream_k_fixup_generalILi112ELi1ELi8EEvPfPK15HIP_vector_typeIfLj2EEiiiiS1_IjLj3EES5_S5_S5_,comdat
.Lfunc_end16:
	.size	_ZL33flash_attn_stream_k_fixup_generalILi112ELi1ELi8EEvPfPK15HIP_vector_typeIfLj2EEiiiiS1_IjLj3EES5_S5_S5_, .Lfunc_end16-_ZL33flash_attn_stream_k_fixup_generalILi112ELi1ELi8EEvPfPK15HIP_vector_typeIfLj2EEiiiiS1_IjLj3EES5_S5_S5_
                                        ; -- End function
	.set _ZL33flash_attn_stream_k_fixup_generalILi112ELi1ELi8EEvPfPK15HIP_vector_typeIfLj2EEiiiiS1_IjLj3EES5_S5_S5_.num_vgpr, 18
	.set _ZL33flash_attn_stream_k_fixup_generalILi112ELi1ELi8EEvPfPK15HIP_vector_typeIfLj2EEiiiiS1_IjLj3EES5_S5_S5_.num_agpr, 0
	.set _ZL33flash_attn_stream_k_fixup_generalILi112ELi1ELi8EEvPfPK15HIP_vector_typeIfLj2EEiiiiS1_IjLj3EES5_S5_S5_.numbered_sgpr, 37
	.set _ZL33flash_attn_stream_k_fixup_generalILi112ELi1ELi8EEvPfPK15HIP_vector_typeIfLj2EEiiiiS1_IjLj3EES5_S5_S5_.num_named_barrier, 0
	.set _ZL33flash_attn_stream_k_fixup_generalILi112ELi1ELi8EEvPfPK15HIP_vector_typeIfLj2EEiiiiS1_IjLj3EES5_S5_S5_.private_seg_size, 0
	.set _ZL33flash_attn_stream_k_fixup_generalILi112ELi1ELi8EEvPfPK15HIP_vector_typeIfLj2EEiiiiS1_IjLj3EES5_S5_S5_.uses_vcc, 1
	.set _ZL33flash_attn_stream_k_fixup_generalILi112ELi1ELi8EEvPfPK15HIP_vector_typeIfLj2EEiiiiS1_IjLj3EES5_S5_S5_.uses_flat_scratch, 0
	.set _ZL33flash_attn_stream_k_fixup_generalILi112ELi1ELi8EEvPfPK15HIP_vector_typeIfLj2EEiiiiS1_IjLj3EES5_S5_S5_.has_dyn_sized_stack, 0
	.set _ZL33flash_attn_stream_k_fixup_generalILi112ELi1ELi8EEvPfPK15HIP_vector_typeIfLj2EEiiiiS1_IjLj3EES5_S5_S5_.has_recursion, 0
	.set _ZL33flash_attn_stream_k_fixup_generalILi112ELi1ELi8EEvPfPK15HIP_vector_typeIfLj2EEiiiiS1_IjLj3EES5_S5_S5_.has_indirect_call, 0
	.section	.AMDGPU.csdata,"",@progbits
; Kernel info:
; codeLenInByte = 2936
; TotalNumSgprs: 43
; NumVgprs: 18
; NumAgprs: 0
; TotalNumVgprs: 18
; ScratchSize: 0
; MemoryBound: 0
; FloatMode: 240
; IeeeMode: 1
; LDSByteSize: 0 bytes/workgroup (compile time only)
; SGPRBlocks: 5
; VGPRBlocks: 2
; NumSGPRsForWavesPerEU: 43
; NumVGPRsForWavesPerEU: 18
; AccumOffset: 20
; Occupancy: 8
; WaveLimiterHint : 0
; COMPUTE_PGM_RSRC2:SCRATCH_EN: 0
; COMPUTE_PGM_RSRC2:USER_SGPR: 2
; COMPUTE_PGM_RSRC2:TRAP_HANDLER: 0
; COMPUTE_PGM_RSRC2:TGID_X_EN: 1
; COMPUTE_PGM_RSRC2:TGID_Y_EN: 1
; COMPUTE_PGM_RSRC2:TGID_Z_EN: 1
; COMPUTE_PGM_RSRC2:TIDIG_COMP_CNT: 0
; COMPUTE_PGM_RSRC3_GFX90A:ACCUM_OFFSET: 4
; COMPUTE_PGM_RSRC3_GFX90A:TG_SPLIT: 0
	.section	.text._ZL15flash_attn_tileILi112ELi112ELi16ELi4ELb0EEvPKcS1_S1_S1_S1_PKiPfP15HIP_vector_typeIfLj2EEffffjfiS5_IjLj3EEiiiiiiiiiiiliiliiiiil,"axG",@progbits,_ZL15flash_attn_tileILi112ELi112ELi16ELi4ELb0EEvPKcS1_S1_S1_S1_PKiPfP15HIP_vector_typeIfLj2EEffffjfiS5_IjLj3EEiiiiiiiiiiiliiliiiiil,comdat
	.globl	_ZL15flash_attn_tileILi112ELi112ELi16ELi4ELb0EEvPKcS1_S1_S1_S1_PKiPfP15HIP_vector_typeIfLj2EEffffjfiS5_IjLj3EEiiiiiiiiiiiliiliiiiil ; -- Begin function _ZL15flash_attn_tileILi112ELi112ELi16ELi4ELb0EEvPKcS1_S1_S1_S1_PKiPfP15HIP_vector_typeIfLj2EEffffjfiS5_IjLj3EEiiiiiiiiiiiliiliiiiil
	.p2align	8
	.type	_ZL15flash_attn_tileILi112ELi112ELi16ELi4ELb0EEvPKcS1_S1_S1_S1_PKiPfP15HIP_vector_typeIfLj2EEffffjfiS5_IjLj3EEiiiiiiiiiiiliiliiiiil,@function
_ZL15flash_attn_tileILi112ELi112ELi16ELi4ELb0EEvPKcS1_S1_S1_S1_PKiPfP15HIP_vector_typeIfLj2EEffffjfiS5_IjLj3EEiiiiiiiiiiiliiliiiiil: ; @_ZL15flash_attn_tileILi112ELi112ELi16ELi4ELb0EEvPKcS1_S1_S1_S1_PKiPfP15HIP_vector_typeIfLj2EEffffjfiS5_IjLj3EEiiiiiiiiiiiliiliiiiil
; %bb.0:
	s_load_dwordx4 s[64:67], s[0:1], 0x5c
	s_load_dwordx2 s[70:71], s[0:1], 0x80
	s_load_dwordx16 s[48:63], s[0:1], 0x0
	s_mov_b64 s[72:73], 0
	s_waitcnt lgkmcnt(0)
	s_ashr_i32 s5, s67, 31
	s_lshr_b32 s5, s5, 30
	s_add_i32 s5, s67, s5
	s_ashr_i32 s5, s5, 2
	v_cvt_f32_u32_e32 v1, s5
	s_sub_i32 s6, 0, s5
	v_rcp_iflag_f32_e32 v1, v1
	s_nop 0
	v_mul_f32_e32 v1, 0x4f7ffffe, v1
	v_cvt_u32_f32_e32 v1, v1
	s_nop 0
	v_readfirstlane_b32 s7, v1
	s_mul_i32 s6, s6, s7
	s_mul_hi_u32 s6, s7, s6
	s_add_i32 s7, s7, s6
	s_mul_hi_u32 s6, s4, s7
	s_mul_i32 s7, s6, s5
	s_sub_i32 s7, s4, s7
	s_add_i32 s8, s6, 1
	s_sub_i32 s9, s7, s5
	s_cmp_ge_u32 s7, s5
	s_cselect_b32 s6, s8, s6
	s_cselect_b32 s7, s9, s7
	s_add_i32 s8, s6, 1
	s_cmp_ge_u32 s7, s5
	s_cselect_b32 s74, s8, s6
	s_abs_i32 s5, s71
	v_cvt_f32_u32_e32 v1, s5
	s_lshl_b32 s4, s4, 2
	s_mul_i32 s8, s74, s67
	s_sub_i32 s9, 0, s5
	v_rcp_iflag_f32_e32 v1, v1
	s_sub_i32 s68, s4, s8
	s_abs_i32 s7, s67
	s_xor_b32 s6, s67, s71
	v_mul_f32_e32 v1, 0x4f7ffffe, v1
	v_cvt_u32_f32_e32 v1, v1
	s_ashr_i32 s6, s6, 31
	v_readfirstlane_b32 s4, v1
	s_mul_i32 s9, s9, s4
	s_mul_hi_u32 s8, s4, s9
	s_add_i32 s4, s4, s8
	s_mul_hi_u32 s4, s7, s4
	s_mul_i32 s8, s4, s5
	s_sub_i32 s7, s7, s8
	s_add_i32 s9, s4, 1
	s_sub_i32 s8, s7, s5
	s_cmp_ge_u32 s7, s5
	s_cselect_b32 s4, s9, s4
	s_cselect_b32 s7, s8, s7
	s_add_i32 s8, s4, 1
	s_cmp_ge_u32 s7, s5
	s_cselect_b32 s4, s8, s4
	s_xor_b32 s4, s4, s6
	s_sub_i32 s15, s4, s6
	s_abs_i32 s14, s15
	v_cvt_f32_u32_e32 v1, s14
	s_load_dwordx2 s[4:5], s[0:1], 0xb8
	s_cmp_eq_u64 s[54:55], 0
	v_rcp_iflag_f32_e32 v1, v1
	s_nop 0
	v_mul_f32_e32 v1, 0x4f7ffffe, v1
	v_cvt_u32_f32_e32 v1, v1
	s_nop 0
	v_readfirstlane_b32 s16, v1
	s_cbranch_scc1 .LBB17_2
; %bb.1:
	s_waitcnt lgkmcnt(0)
	s_abs_i32 s4, s4
	v_cvt_f32_u32_e32 v1, s4
	s_sub_i32 s10, 0, s4
	s_abs_i32 s9, s74
	s_ashr_i32 s8, s74, 31
	v_rcp_iflag_f32_e32 v1, v1
	s_load_dwordx2 s[6:7], s[0:1], 0xc8
	v_mul_f32_e32 v1, 0x4f7ffffe, v1
	v_cvt_u32_f32_e32 v1, v1
	s_nop 0
	v_readfirstlane_b32 s11, v1
	s_mul_i32 s10, s10, s11
	s_mul_hi_u32 s10, s11, s10
	s_add_i32 s11, s11, s10
	s_mul_hi_u32 s10, s9, s11
	s_mul_i32 s10, s10, s4
	s_sub_i32 s9, s9, s10
	s_sub_i32 s10, s9, s4
	s_cmp_ge_u32 s9, s4
	s_cselect_b32 s9, s10, s9
	s_sub_i32 s10, s9, s4
	s_cmp_ge_u32 s9, s4
	s_cselect_b32 s4, s10, s9
	s_xor_b32 s4, s4, s8
	s_sub_i32 s4, s4, s8
	s_ashr_i32 s8, s4, 31
	s_waitcnt lgkmcnt(0)
	s_mul_hi_u32 s9, s6, s4
	s_mul_i32 s8, s6, s8
	s_mul_i32 s7, s7, s4
	s_add_i32 s8, s9, s8
	s_add_i32 s8, s8, s7
	s_mul_i32 s4, s6, s4
	s_add_u32 s72, s54, s4
	s_addc_u32 s73, s55, s8
.LBB17_2:
	s_load_dwordx4 s[8:11], s[0:1], 0x70
	s_waitcnt lgkmcnt(0)
	s_load_dword s4, s[0:1], 0x40
	s_lshl_b32 s33, s2, 4
	v_and_b32_e32 v150, 0x3ff, v0
	v_bfe_u32 v21, v0, 10, 10
	s_mul_i32 s6, s74, s10
	s_ashr_i32 s10, s6, 31
	s_mul_i32 s7, s68, s9
	s_add_u32 s6, s48, s6
	s_addc_u32 s10, s49, s10
	s_ashr_i32 s11, s7, 31
	s_add_u32 s6, s6, s7
	s_addc_u32 s7, s10, s11
	s_ashr_i32 s11, s9, 31
	s_mov_b32 s10, s9
	s_lshr_b64 s[10:11], s[10:11], 2
	s_ashr_i32 s9, s8, 31
	v_lshlrev_b32_e32 v20, 2, v150
	v_cmp_gt_u32_e64 s[48:49], 28, v150
	s_lshr_b64 s[8:9], s[8:9], 2
	v_mov_b32_e32 v1, 0
	v_lshlrev_b32_e32 v154, 3, v150
	v_lshl_add_u32 v2, v21, 1, s33
	v_lshlrev_b32_e32 v0, 2, v20
	s_mul_i32 s17, s11, 12
	s_mul_hi_u32 s18, s10, 12
	s_mul_i32 s19, s10, 12
	s_and_saveexec_b64 s[12:13], s[48:49]
	s_cbranch_execz .LBB17_4
; %bb.3:
	v_mul_hi_u32 v3, v2, s64
	v_add_u32_e32 v3, v2, v3
	v_lshrrev_b32_e32 v3, s65, v3
	v_mul_lo_u32 v3, v3, s66
	v_sub_u32_e32 v3, v2, v3
	v_mad_u64_u32 v[4:5], s[20:21], s8, v3, 0
	v_mov_b32_e32 v6, v5
	v_mad_u64_u32 v[6:7], s[20:21], s9, v3, v[6:7]
	v_mov_b32_e32 v5, v6
	s_lshl_b64 s[20:21], s[10:11], 2
	v_lshlrev_b64 v[16:17], 2, v[4:5]
	s_add_u32 s20, s6, s20
	v_lshl_add_u64 v[4:5], s[6:7], 0, v[16:17]
	s_addc_u32 s21, s7, s21
	v_lshl_add_u64 v[12:13], v[4:5], 0, v[0:1]
	v_lshl_add_u64 v[4:5], s[20:21], 0, v[16:17]
	s_lshl_b64 s[20:21], s[10:11], 3
	s_add_u32 s20, s6, s20
	s_addc_u32 s21, s7, s21
	v_lshl_add_u64 v[14:15], v[4:5], 0, v[0:1]
	global_load_dwordx4 v[4:7], v[12:13], off
	global_load_dwordx4 v[8:11], v[14:15], off
	v_lshl_add_u64 v[12:13], s[20:21], 0, v[16:17]
	s_add_i32 s21, s18, s17
	s_add_u32 s20, s6, s19
	s_addc_u32 s21, s7, s21
	v_lshl_add_u64 v[16:17], s[20:21], 0, v[16:17]
	v_lshl_add_u64 v[12:13], v[12:13], 0, v[0:1]
	;; [unrolled: 1-line block ×3, first 2 shown]
	global_load_dwordx4 v[12:15], v[12:13], off
	s_movk_i32 s20, 0x700
	global_load_dwordx4 v[16:19], v[16:17], off
	v_mad_u32_u24 v1, v21, s20, v154
	s_waitcnt vmcnt(3) lgkmcnt(0)
	v_fma_mixlo_f16 v3, s4, v4, 0
	v_fma_mixlo_f16 v4, s4, v5, 0
	;; [unrolled: 1-line block ×4, first 2 shown]
	s_waitcnt vmcnt(2)
	v_fma_mixlo_f16 v7, s4, v8, 0
	v_fma_mixlo_f16 v8, s4, v9, 0
	;; [unrolled: 1-line block ×4, first 2 shown]
	v_lshlrev_b32_e32 v4, 16, v4
	s_waitcnt vmcnt(1)
	v_fma_mixlo_f16 v11, s4, v12, 0
	v_fma_mixlo_f16 v12, s4, v13, 0
	;; [unrolled: 1-line block ×4, first 2 shown]
	s_waitcnt vmcnt(0)
	v_fma_mixlo_f16 v15, s4, v16, 0
	v_fma_mixlo_f16 v16, s4, v17, 0
	v_and_b32_e32 v3, 0xffff, v3
	v_lshlrev_b32_e32 v6, 16, v6
	v_and_b32_e32 v5, 0xffff, v5
	v_lshlrev_b32_e32 v8, 16, v8
	v_and_b32_e32 v7, 0xffff, v7
	v_fma_mixlo_f16 v17, s4, v18, 0
	v_fma_mixlo_f16 v18, s4, v19, 0
	v_lshlrev_b32_e32 v10, 16, v10
	v_and_b32_e32 v9, 0xffff, v9
	v_lshlrev_b32_e32 v12, 16, v12
	v_and_b32_e32 v11, 0xffff, v11
	;; [unrolled: 2-line block ×3, first 2 shown]
	v_or_b32_e32 v3, v4, v3
	v_or3_b32 v5, v6, v5, 0
	v_or_b32_e32 v6, v8, v7
	v_lshlrev_b32_e32 v14, 16, v14
	v_and_b32_e32 v13, 0xffff, v13
	v_lshlrev_b32_e32 v18, 16, v18
	v_and_b32_e32 v17, 0xffff, v17
	v_or3_b32 v7, v10, v9, 0
	v_or_b32_e32 v8, v12, v11
	v_or_b32_e32 v10, v16, v15
	v_or3_b32 v4, 0, 0, v3
	v_or3_b32 v6, 0, 0, v6
	;; [unrolled: 1-line block ×6, first 2 shown]
	ds_write2_b64 v1, v[4:5], v[6:7] offset1:28
	ds_write2_b64 v1, v[8:9], v[10:11] offset0:56 offset1:84
.LBB17_4:
	s_or_b64 exec, exec, s[12:13]
	v_lshlrev_b32_e32 v3, 3, v21
	v_or_b32_e32 v4, 4, v3
	v_lshrrev_b32_e32 v12, 2, v4
	s_and_saveexec_b64 s[12:13], s[48:49]
	s_cbranch_execnz .LBB17_13
; %bb.5:
	s_or_b64 exec, exec, s[12:13]
	v_or_b32_e32 v11, 5, v3
	s_and_saveexec_b64 s[12:13], s[48:49]
	s_cbranch_execnz .LBB17_14
.LBB17_6:
	s_or_b64 exec, exec, s[12:13]
	v_or_b32_e32 v10, 6, v3
	s_and_saveexec_b64 s[12:13], s[48:49]
	s_cbranch_execnz .LBB17_15
.LBB17_7:
	s_or_b64 exec, exec, s[12:13]
	v_or_b32_e32 v9, 7, v3
	s_and_saveexec_b64 s[10:11], s[48:49]
	s_cbranch_execz .LBB17_9
.LBB17_8:
	v_lshrrev_b32_e32 v1, 2, v9
	v_add_u32_e32 v1, s33, v1
	v_mul_hi_u32 v4, v1, s64
	v_add_u32_e32 v4, v1, v4
	v_lshrrev_b32_e32 v4, s65, v4
	v_mul_lo_u32 v4, v4, s66
	v_sub_u32_e32 v1, v1, v4
	v_mad_u64_u32 v[4:5], s[12:13], s8, v1, 0
	s_add_i32 s18, s18, s17
	v_mov_b32_e32 v6, v5
	s_add_u32 s6, s6, s19
	v_mad_u64_u32 v[6:7], s[8:9], s9, v1, v[6:7]
	s_addc_u32 s7, s7, s18
	v_mov_b32_e32 v5, v6
	v_lshl_add_u64 v[4:5], v[4:5], 2, s[6:7]
	v_mov_b32_e32 v1, 0
	v_lshl_add_u64 v[0:1], v[4:5], 0, v[0:1]
	global_load_dwordx4 v[4:7], v[0:1], off
	s_movk_i32 s6, 0xe0
	v_mad_u32_u24 v8, v9, s6, v154
	s_waitcnt vmcnt(0) lgkmcnt(0)
	v_fma_mixlo_f16 v0, s4, v4, 0
	v_fma_mixlo_f16 v1, s4, v6, 0
	v_mov_b32_e32 v4, v7
	v_and_b32_e32 v6, 0xffff, v0
	v_and_b32_e32 v7, 0xffff, v1
	v_pk_mul_f32 v[0:1], s[4:5], v[4:5] op_sel_hi:[0,1]
	v_cvt_pk_f16_f32 v0, v0, v1
	v_lshlrev_b32_e32 v1, 16, v0
	v_and_b32_e32 v0, 0xffff0000, v0
	v_or_b32_e32 v0, v0, v6
	v_or3_b32 v1, v1, v7, 0
	v_or3_b32 v0, 0, 0, v0
	ds_write_b64 v8, v[0:1]
.LBB17_9:
	s_or_b64 exec, exec, s[10:11]
	s_cmp_eq_u64 s[58:59], 0
	s_waitcnt lgkmcnt(0)
	s_barrier
	s_cbranch_scc1 .LBB17_11
; %bb.10:
	s_load_dword s4, s[0:1], 0xd0
	s_mov_b32 s7, 0
	s_waitcnt lgkmcnt(0)
	s_mul_i32 s4, s4, s74
	s_add_i32 s6, s4, s2
	s_lshl_b64 s[6:7], s[6:7], 2
	s_add_u32 s6, s58, s6
	s_addc_u32 s7, s59, s7
	s_load_dword s70, s[6:7], 0x0
.LBB17_11:
	s_lshl_b32 s2, s3, 5
	s_waitcnt lgkmcnt(0)
	s_cmp_lt_i32 s2, s70
	v_mbcnt_lo_u32_b32 v0, -1, 0
	s_cbranch_scc1 .LBB17_16
; %bb.12:
	v_mbcnt_hi_u32_b32 v163, -1, v0
	v_and_b32_e32 v1, 0x60, v163
	v_add_u32_e32 v183, 32, v1
	v_xor_b32_e32 v184, 16, v163
	v_xor_b32_e32 v188, 8, v163
	;; [unrolled: 1-line block ×5, first 2 shown]
	s_mov_b64 s[6:7], 0
	s_branch .LBB17_17
.LBB17_13:
	v_add_u32_e32 v1, s33, v12
	v_mul_hi_u32 v5, v1, s64
	v_add_u32_e32 v5, v1, v5
	v_lshrrev_b32_e32 v5, s65, v5
	v_mul_lo_u32 v5, v5, s66
	v_sub_u32_e32 v1, v1, v5
	v_mad_u64_u32 v[6:7], s[20:21], s8, v1, 0
	v_mov_b32_e32 v8, v7
	v_mad_u64_u32 v[8:9], s[20:21], s9, v1, v[8:9]
	v_mov_b32_e32 v7, v8
	v_lshl_add_u64 v[6:7], v[6:7], 2, s[6:7]
	v_mov_b32_e32 v1, 0
	v_lshl_add_u64 v[6:7], v[6:7], 0, v[0:1]
	global_load_dwordx4 v[6:9], v[6:7], off
	s_movk_i32 s20, 0xe0
	v_mad_u32_u24 v1, v4, s20, v154
	s_waitcnt vmcnt(0) lgkmcnt(0)
	v_fma_mixlo_f16 v4, s4, v6, 0
	v_fma_mixlo_f16 v5, s4, v8, 0
	v_mov_b32_e32 v6, v9
	v_and_b32_e32 v8, 0xffff, v4
	v_and_b32_e32 v9, 0xffff, v5
	v_pk_mul_f32 v[4:5], s[4:5], v[6:7] op_sel_hi:[0,1]
	v_cvt_pk_f16_f32 v4, v4, v5
	v_lshlrev_b32_e32 v5, 16, v4
	v_and_b32_e32 v4, 0xffff0000, v4
	v_or_b32_e32 v4, v4, v8
	v_or3_b32 v5, v5, v9, 0
	v_or3_b32 v4, 0, 0, v4
	ds_write_b64 v1, v[4:5]
	s_or_b64 exec, exec, s[12:13]
	v_or_b32_e32 v11, 5, v3
	s_and_saveexec_b64 s[12:13], s[48:49]
	s_cbranch_execz .LBB17_6
.LBB17_14:
	v_lshrrev_b32_e32 v1, 2, v11
	v_add_u32_e32 v1, s33, v1
	v_mul_hi_u32 v4, v1, s64
	v_add_u32_e32 v4, v1, v4
	v_lshrrev_b32_e32 v4, s65, v4
	v_mul_lo_u32 v4, v4, s66
	v_sub_u32_e32 v1, v1, v4
	v_mad_u64_u32 v[4:5], s[22:23], s8, v1, 0
	s_lshl_b64 s[20:21], s[10:11], 2
	v_mov_b32_e32 v6, v5
	s_add_u32 s20, s6, s20
	v_mad_u64_u32 v[6:7], s[22:23], s9, v1, v[6:7]
	s_addc_u32 s21, s7, s21
	v_mov_b32_e32 v5, v6
	v_lshl_add_u64 v[4:5], v[4:5], 2, s[20:21]
	v_mov_b32_e32 v1, 0
	v_lshl_add_u64 v[4:5], v[4:5], 0, v[0:1]
	global_load_dwordx4 v[4:7], v[4:5], off
	s_movk_i32 s20, 0xe0
	v_mad_u32_u24 v1, v11, s20, v154
	s_waitcnt vmcnt(0) lgkmcnt(0)
	v_fma_mixlo_f16 v8, s4, v4, 0
	v_mov_b32_e32 v4, v7
	v_pk_mul_f32 v[4:5], s[4:5], v[4:5] op_sel_hi:[0,1]
	v_cvt_pk_f16_f32 v4, v4, v5
	v_fma_mixlo_f16 v6, s4, v6, 0
	v_and_b32_e32 v7, 0xffff, v8
	v_lshlrev_b32_e32 v5, 16, v4
	v_and_b32_e32 v4, 0xffff0000, v4
	v_and_b32_e32 v6, 0xffff, v6
	v_or_b32_e32 v4, v4, v7
	v_or3_b32 v5, v5, v6, 0
	v_or3_b32 v4, 0, 0, v4
	ds_write_b64 v1, v[4:5]
	s_or_b64 exec, exec, s[12:13]
	v_or_b32_e32 v10, 6, v3
	s_and_saveexec_b64 s[12:13], s[48:49]
	s_cbranch_execz .LBB17_7
.LBB17_15:
	v_lshrrev_b32_e32 v1, 2, v10
	v_add_u32_e32 v1, s33, v1
	v_mul_hi_u32 v4, v1, s64
	v_add_u32_e32 v4, v1, v4
	v_lshrrev_b32_e32 v4, s65, v4
	v_mul_lo_u32 v4, v4, s66
	v_sub_u32_e32 v1, v1, v4
	v_mad_u64_u32 v[4:5], s[20:21], s8, v1, 0
	s_lshl_b64 s[10:11], s[10:11], 3
	v_mov_b32_e32 v6, v5
	s_add_u32 s10, s6, s10
	v_mad_u64_u32 v[6:7], s[20:21], s9, v1, v[6:7]
	s_addc_u32 s11, s7, s11
	v_mov_b32_e32 v5, v6
	v_lshl_add_u64 v[4:5], v[4:5], 2, s[10:11]
	v_mov_b32_e32 v1, 0
	v_lshl_add_u64 v[4:5], v[4:5], 0, v[0:1]
	global_load_dwordx4 v[4:7], v[4:5], off
	s_movk_i32 s10, 0xe0
	v_mad_u32_u24 v1, v10, s10, v154
	s_waitcnt vmcnt(0) lgkmcnt(0)
	v_fma_mixlo_f16 v8, s4, v4, 0
	v_mov_b32_e32 v4, v7
	v_pk_mul_f32 v[4:5], s[4:5], v[4:5] op_sel_hi:[0,1]
	v_cvt_pk_f16_f32 v4, v4, v5
	v_fma_mixlo_f16 v6, s4, v6, 0
	v_and_b32_e32 v7, 0xffff, v8
	v_lshlrev_b32_e32 v5, 16, v4
	v_and_b32_e32 v4, 0xffff0000, v4
	v_and_b32_e32 v6, 0xffff, v6
	v_or_b32_e32 v4, v4, v7
	v_or3_b32 v5, v5, v6, 0
	v_or3_b32 v4, 0, 0, v4
	ds_write_b64 v1, v[4:5]
	s_or_b64 exec, exec, s[12:13]
	v_or_b32_e32 v9, 7, v3
	s_and_saveexec_b64 s[10:11], s[48:49]
	s_cbranch_execnz .LBB17_8
	s_branch .LBB17_9
.LBB17_16:
	s_mov_b64 s[6:7], -1
                                        ; implicit-def: $vgpr163
                                        ; implicit-def: $vgpr183
                                        ; implicit-def: $vgpr184
                                        ; implicit-def: $vgpr188
                                        ; implicit-def: $vgpr187
                                        ; implicit-def: $vgpr186
                                        ; implicit-def: $vgpr185
.LBB17_17:
	s_andn2_b64 vcc, exec, s[6:7]
	scratch_store_dword off, v12, off       ; 4-byte Folded Spill
	scratch_store_dword off, v11, off offset:8 ; 4-byte Folded Spill
	scratch_store_dword off, v10, off offset:12 ; 4-byte Folded Spill
	;; [unrolled: 1-line block ×4, first 2 shown]
	s_cbranch_vccnz .LBB17_45
; %bb.18:
	s_load_dwordx2 s[6:7], s[0:1], 0x8c
	s_load_dwordx4 s[8:11], s[0:1], 0x98
	s_sub_i32 s4, 0, s14
	s_mul_i32 s4, s4, s16
	s_mul_hi_u32 s4, s16, s4
	s_waitcnt lgkmcnt(0)
	s_ashr_i32 s59, s6, 2
	s_ashr_i32 s58, s10, 2
	;; [unrolled: 1-line block ×4, first 2 shown]
	s_mul_hi_u32 s6, s8, s74
	s_mul_i32 s18, s8, s5
	s_abs_i32 s17, s68
	s_add_i32 s16, s16, s4
	s_add_i32 s6, s6, s18
	s_mul_i32 s9, s9, s74
	s_mul_hi_u32 s4, s17, s16
	s_ashr_i32 s16, s68, 31
	s_ashr_i32 s15, s15, 31
	s_add_i32 s6, s6, s9
	s_mul_i32 s8, s8, s74
	s_add_u32 s8, s50, s8
	v_lshrrev_b32_e32 v4, 1, v150
	s_addc_u32 s6, s51, s6
	s_xor_b32 s9, s16, s15
	s_mul_i32 s15, s4, s14
	v_lshl_add_u32 v5, v21, 4, v4
	v_lshrrev_b32_e32 v4, 2, v150
	s_sub_i32 s15, s17, s15
	v_add_u32_e32 v3, v4, v3
	v_lshlrev_b32_e32 v4, 7, v150
	s_add_i32 s16, s4, 1
	s_sub_i32 s17, s15, s14
	v_lshl_add_u32 v1, v21, 5, v150
	v_add_u32_e32 v168, 0x3800, v4
	v_add_u32_e32 v170, 0x3860, v4
	v_and_b32_e32 v4, 4, v20
	s_cmp_ge_u32 s15, s14
	v_cmp_gt_u32_e32 vcc, 32, v1
	v_mul_lo_u32 v114, s59, v1
	v_lshlrev_b32_e32 v1, 2, v4
	s_cselect_b32 s4, s16, s4
	v_lshl_or_b32 v6, v5, 7, v1
	s_cselect_b32 s15, s17, s15
	s_add_i32 s16, s4, 1
	v_add_u32_e32 v171, 0x3840, v6
	v_and_b32_e32 v6, 12, v20
	s_cmp_ge_u32 s15, s14
	v_lshlrev_b32_e32 v7, 2, v6
	s_cselect_b32 s4, s16, s4
	v_lshl_or_b32 v8, v3, 7, v7
	s_load_dwordx2 s[12:13], s[0:1], 0xa8
	s_xor_b32 s4, s4, s9
	v_add_u32_e32 v172, 0x3800, v8
	v_mul_hi_u32 v8, s64, v2
	s_sub_i32 s4, s4, s9
	v_add_u32_e32 v8, v2, v8
	s_mul_i32 s7, s4, s7
	v_lshrrev_b32_e32 v8, s65, v8
	s_ashr_i32 s9, s7, 31
	v_mul_lo_u32 v8, v8, s66
	s_add_u32 s69, s8, s7
	v_sub_u32_e32 v8, v2, v8
	v_add_u32_e32 v2, 1, v2
	s_addc_u32 s71, s6, s9
	s_waitcnt lgkmcnt(0)
	s_mul_hi_u32 s6, s12, s74
	s_mul_i32 s5, s12, s5
	v_mul_lo_u32 v173, v8, s10
	v_mul_hi_u32 v8, s64, v2
	s_add_i32 s5, s6, s5
	s_mul_i32 s6, s13, s74
	v_add_u32_e32 v8, v2, v8
	s_add_i32 s5, s5, s6
	s_mul_i32 s6, s12, s74
	v_lshrrev_b32_e32 v8, s65, v8
	s_add_u32 s6, s52, s6
	s_mul_i32 s4, s4, s11
	v_mul_lo_u32 v8, v8, s66
	s_addc_u32 s5, s53, s5
	s_ashr_i32 s7, s4, 31
	v_sub_u32_e32 v2, v2, v8
	v_mov_b32_e32 v8, 0x4840
	v_mul_u32_u24_e32 v9, 0xe0, v5
	s_add_u32 s75, s6, s4
	v_lshl_add_u32 v175, v21, 9, v8
	v_lshrrev_b32_e32 v8, 3, v150
	v_or_b32_e32 v1, v9, v1
	s_addc_u32 s76, s5, s7
	v_lshl_add_u32 v8, v21, 2, v8
	v_add_u32_e32 v177, 0x38c0, v1
	v_mul_u32_u24_e32 v1, 0xe0, v3
	s_movk_i32 s15, 0x3880
	v_and_b32_e32 v126, 28, v20
	v_cmp_gt_u32_e64 s[6:7], 32, v3
	s_movk_i32 s14, 0x3800
	v_mul_lo_u32 v116, s59, v5
	v_mov_b32_e32 v119, 0
	v_mul_lo_u32 v120, s59, v3
	v_mul_lo_u32 v174, v2, s10
	v_lshlrev_b32_e32 v2, 4, v150
	v_cmp_gt_u32_e64 s[10:11], 16, v3
	v_mul_lo_u32 v122, s58, v5
	v_add3_u32 v178, v1, v7, s15
	v_mul_lo_u32 v124, s58, v3
	v_mul_u32_u24_e32 v1, 0xe0, v8
	v_lshlrev_b32_e32 v3, 2, v126
	v_mul_lo_u32 v128, s58, v8
	s_add_u32 s50, s0, 0xd0
	v_cmp_gt_u32_e64 s[4:5], 32, v5
	v_mul_u32_u24_e32 v169, 0x700, v21
	v_ashrrev_i32_e32 v115, 31, v114
	v_ashrrev_i32_e32 v117, 31, v116
	v_ashrrev_i32_e32 v121, 31, v120
	v_cmp_gt_u32_e64 s[8:9], 16, v5
	v_cmp_gt_u32_e64 s[12:13], 16, v8
	v_ashrrev_i32_e32 v123, 31, v122
	v_ashrrev_i32_e32 v125, 31, v124
	v_add3_u32 v179, v1, v3, s14
	v_ashrrev_i32_e32 v129, 31, v128
	s_addc_u32 s51, s1, 0
	v_mov_b32_e32 v8, 0xfeffffff
	s_mov_b32 s64, 0x3fb8aa3b
	s_mov_b32 s65, 0xc2ce8ed0
	s_mov_b32 s77, 0x42b17218
	v_add_u32_e32 v181, v175, v2
	s_mov_b32 s78, 0x10001
	v_lshlrev_b32_e32 v118, 2, v4
	v_lshlrev_b32_e32 v130, 2, v6
	v_mbcnt_hi_u32_b32 v163, -1, v0
	v_mov_b32_e32 v182, 0x7f800000
	v_mov_b32_e32 v153, v119
	;; [unrolled: 1-line block ×32, first 2 shown]
.LBB17_19:                              ; =>This Inner Loop Header: Depth=1
	s_mul_hi_i32 s15, s2, s59
	s_mul_i32 s14, s2, s59
	s_lshl_b64 s[14:15], s[14:15], 2
	s_add_u32 s14, s69, s14
	s_addc_u32 s15, s71, s15
	v_lshl_add_u64 v[4:5], v[114:115], 2, s[14:15]
	s_and_saveexec_b64 s[16:17], vcc
	s_cbranch_execnz .LBB17_37
; %bb.20:                               ;   in Loop: Header=BB17_19 Depth=1
	s_or_b64 exec, exec, s[16:17]
	v_lshl_add_u64 v[0:1], v[116:117], 2, s[14:15]
	s_and_saveexec_b64 s[16:17], s[4:5]
	s_cbranch_execnz .LBB17_38
.LBB17_21:                              ;   in Loop: Header=BB17_19 Depth=1
	s_or_b64 exec, exec, s[16:17]
	v_lshl_add_u64 v[2:3], v[120:121], 2, s[14:15]
	s_and_saveexec_b64 s[14:15], s[6:7]
	s_cbranch_execz .LBB17_23
.LBB17_22:                              ;   in Loop: Header=BB17_19 Depth=1
	v_mov_b32_e32 v131, v119
	v_lshl_add_u64 v[6:7], v[2:3], 0, v[130:131]
	global_load_dwordx4 v[16:19], v[6:7], off
	s_waitcnt vmcnt(0)
	ds_write_b128 v172, v[16:19]
.LBB17_23:                              ;   in Loop: Header=BB17_19 Depth=1
	s_or_b64 exec, exec, s[14:15]
	v_mov_b32_e32 v21, 0
	s_waitcnt lgkmcnt(0)
	s_barrier
	ds_read_b128 v[22:25], v168
	ds_read_b128 v[16:19], v169
	ds_read_b128 v[26:29], v169 offset:224
	ds_read_b128 v[30:33], v169 offset:448
	;; [unrolled: 1-line block ×7, first 2 shown]
	s_waitcnt lgkmcnt(7)
	;;#ASMSTART
	v_dot2_f32_f16 v21, v22, v16, v21
	;;#ASMEND
	v_mov_b32_e32 v20, 0
	;;#ASMSTART
	v_dot2_f32_f16 v21, v23, v17, v21
	;;#ASMEND
	v_mov_b32_e32 v17, 0
	;; [unrolled: 4-line block ×3, first 2 shown]
	;;#ASMSTART
	v_dot2_f32_f16 v21, v25, v19, v21
	;;#ASMEND
	s_waitcnt lgkmcnt(6)
	;;#ASMSTART
	v_dot2_f32_f16 v20, v22, v26, v20
	;;#ASMEND
	v_mov_b32_e32 v19, 0
	;;#ASMSTART
	v_dot2_f32_f16 v20, v23, v27, v20
	;;#ASMEND
	v_mov_b32_e32 v16, 0
	;; [unrolled: 4-line block ×3, first 2 shown]
	;;#ASMSTART
	v_dot2_f32_f16 v20, v25, v29, v20
	;;#ASMEND
	s_waitcnt lgkmcnt(5)
	;;#ASMSTART
	v_dot2_f32_f16 v19, v22, v30, v19
	;;#ASMEND
	v_mov_b32_e32 v6, 0
	;;#ASMSTART
	v_dot2_f32_f16 v19, v23, v31, v19
	;;#ASMEND
	s_nop 0
	;;#ASMSTART
	v_dot2_f32_f16 v19, v24, v32, v19
	;;#ASMEND
	s_nop 0
	;;#ASMSTART
	v_dot2_f32_f16 v19, v25, v33, v19
	;;#ASMEND
	s_waitcnt lgkmcnt(4)
	;;#ASMSTART
	v_dot2_f32_f16 v18, v22, v34, v18
	;;#ASMEND
	s_nop 0
	;;#ASMSTART
	v_dot2_f32_f16 v18, v23, v35, v18
	;;#ASMEND
	s_nop 0
	;;#ASMSTART
	v_dot2_f32_f16 v18, v24, v36, v18
	;;#ASMEND
	s_nop 0
	;;#ASMSTART
	v_dot2_f32_f16 v18, v25, v37, v18
	;;#ASMEND
	s_waitcnt lgkmcnt(3)
	;;#ASMSTART
	v_dot2_f32_f16 v17, v22, v38, v17
	;;#ASMEND
	s_nop 0
	;; [unrolled: 16-line block ×5, first 2 shown]
	;;#ASMSTART
	v_dot2_f32_f16 v6, v23, v51, v6
	;;#ASMEND
	s_nop 0
	;;#ASMSTART
	v_dot2_f32_f16 v6, v24, v52, v6
	;;#ASMEND
	s_nop 0
	;;#ASMSTART
	v_dot2_f32_f16 v6, v25, v53, v6
	;;#ASMEND
	ds_read_b128 v[22:25], v168 offset:16
	ds_read_b128 v[26:29], v169 offset:16
	;; [unrolled: 1-line block ×9, first 2 shown]
	s_waitcnt lgkmcnt(7)
	;;#ASMSTART
	v_dot2_f32_f16 v21, v22, v26, v21
	;;#ASMEND
	s_nop 0
	;;#ASMSTART
	v_dot2_f32_f16 v21, v23, v27, v21
	;;#ASMEND
	s_nop 0
	;;#ASMSTART
	v_dot2_f32_f16 v21, v24, v28, v21
	;;#ASMEND
	s_nop 0
	;;#ASMSTART
	v_dot2_f32_f16 v21, v25, v29, v21
	;;#ASMEND
	s_waitcnt lgkmcnt(6)
	;;#ASMSTART
	v_dot2_f32_f16 v20, v22, v30, v20
	;;#ASMEND
	s_nop 0
	;;#ASMSTART
	v_dot2_f32_f16 v20, v23, v31, v20
	;;#ASMEND
	s_nop 0
	;;#ASMSTART
	v_dot2_f32_f16 v20, v24, v32, v20
	;;#ASMEND
	s_nop 0
	;;#ASMSTART
	v_dot2_f32_f16 v20, v25, v33, v20
	;;#ASMEND
	;; [unrolled: 16-line block ×8, first 2 shown]
	ds_read_b128 v[22:25], v168 offset:32
	ds_read_b128 v[26:29], v169 offset:32
	;; [unrolled: 1-line block ×9, first 2 shown]
	s_waitcnt lgkmcnt(7)
	;;#ASMSTART
	v_dot2_f32_f16 v21, v22, v26, v21
	;;#ASMEND
	s_nop 0
	;;#ASMSTART
	v_dot2_f32_f16 v21, v23, v27, v21
	;;#ASMEND
	s_nop 0
	;;#ASMSTART
	v_dot2_f32_f16 v21, v24, v28, v21
	;;#ASMEND
	s_nop 0
	;;#ASMSTART
	v_dot2_f32_f16 v21, v25, v29, v21
	;;#ASMEND
	s_waitcnt lgkmcnt(6)
	;;#ASMSTART
	v_dot2_f32_f16 v20, v22, v30, v20
	;;#ASMEND
	s_nop 0
	;;#ASMSTART
	v_dot2_f32_f16 v20, v23, v31, v20
	;;#ASMEND
	s_nop 0
	;;#ASMSTART
	v_dot2_f32_f16 v20, v24, v32, v20
	;;#ASMEND
	s_nop 0
	;;#ASMSTART
	v_dot2_f32_f16 v20, v25, v33, v20
	;;#ASMEND
	;; [unrolled: 16-line block ×8, first 2 shown]
	ds_read_b128 v[22:25], v168 offset:48
	ds_read_b128 v[26:29], v169 offset:48
	;; [unrolled: 1-line block ×9, first 2 shown]
	s_waitcnt lgkmcnt(7)
	;;#ASMSTART
	v_dot2_f32_f16 v21, v22, v26, v21
	;;#ASMEND
	s_nop 0
	;;#ASMSTART
	v_dot2_f32_f16 v21, v23, v27, v21
	;;#ASMEND
	s_nop 0
	;;#ASMSTART
	v_dot2_f32_f16 v21, v24, v28, v21
	;;#ASMEND
	s_nop 0
	;;#ASMSTART
	v_dot2_f32_f16 v21, v25, v29, v21
	;;#ASMEND
	s_waitcnt lgkmcnt(6)
	;;#ASMSTART
	v_dot2_f32_f16 v20, v22, v30, v20
	;;#ASMEND
	s_nop 0
	;;#ASMSTART
	v_dot2_f32_f16 v20, v23, v31, v20
	;;#ASMEND
	s_nop 0
	;;#ASMSTART
	v_dot2_f32_f16 v20, v24, v32, v20
	;;#ASMEND
	s_nop 0
	;;#ASMSTART
	v_dot2_f32_f16 v20, v25, v33, v20
	;;#ASMEND
	;; [unrolled: 16-line block ×8, first 2 shown]
	ds_read_b128 v[22:25], v168 offset:64
	ds_read_b128 v[26:29], v169 offset:64
	ds_read_b128 v[30:33], v169 offset:288
	ds_read_b128 v[34:37], v169 offset:512
	ds_read_b128 v[38:41], v169 offset:736
	ds_read_b128 v[42:45], v169 offset:960
	ds_read_b128 v[46:49], v169 offset:1184
	ds_read_b128 v[50:53], v169 offset:1408
	ds_read_b128 v[54:57], v169 offset:1632
	s_waitcnt lgkmcnt(7)
	;;#ASMSTART
	v_dot2_f32_f16 v21, v22, v26, v21
	;;#ASMEND
	s_nop 0
	;;#ASMSTART
	v_dot2_f32_f16 v21, v23, v27, v21
	;;#ASMEND
	s_nop 0
	;;#ASMSTART
	v_dot2_f32_f16 v21, v24, v28, v21
	;;#ASMEND
	s_nop 0
	;;#ASMSTART
	v_dot2_f32_f16 v21, v25, v29, v21
	;;#ASMEND
	s_waitcnt lgkmcnt(6)
	;;#ASMSTART
	v_dot2_f32_f16 v20, v22, v30, v20
	;;#ASMEND
	s_nop 0
	;;#ASMSTART
	v_dot2_f32_f16 v20, v23, v31, v20
	;;#ASMEND
	s_nop 0
	;;#ASMSTART
	v_dot2_f32_f16 v20, v24, v32, v20
	;;#ASMEND
	s_nop 0
	;;#ASMSTART
	v_dot2_f32_f16 v20, v25, v33, v20
	;;#ASMEND
	;; [unrolled: 16-line block ×8, first 2 shown]
	ds_read_b128 v[22:25], v168 offset:80
	ds_read_b128 v[26:29], v169 offset:80
	;; [unrolled: 1-line block ×9, first 2 shown]
	s_waitcnt lgkmcnt(7)
	;;#ASMSTART
	v_dot2_f32_f16 v21, v22, v26, v21
	;;#ASMEND
	s_nop 0
	;;#ASMSTART
	v_dot2_f32_f16 v21, v23, v27, v21
	;;#ASMEND
	s_nop 0
	;;#ASMSTART
	v_dot2_f32_f16 v21, v24, v28, v21
	;;#ASMEND
	s_nop 0
	;;#ASMSTART
	v_dot2_f32_f16 v21, v25, v29, v21
	;;#ASMEND
	s_waitcnt lgkmcnt(6)
	;;#ASMSTART
	v_dot2_f32_f16 v20, v22, v30, v20
	;;#ASMEND
	s_nop 0
	;;#ASMSTART
	v_dot2_f32_f16 v20, v23, v31, v20
	;;#ASMEND
	s_nop 0
	;;#ASMSTART
	v_dot2_f32_f16 v20, v24, v32, v20
	;;#ASMEND
	s_nop 0
	;;#ASMSTART
	v_dot2_f32_f16 v20, v25, v33, v20
	;;#ASMEND
	;; [unrolled: 16-line block ×8, first 2 shown]
	ds_read_b128 v[22:25], v168 offset:96
	ds_read_b128 v[26:29], v169 offset:96
	;; [unrolled: 1-line block ×9, first 2 shown]
	s_waitcnt lgkmcnt(7)
	;;#ASMSTART
	v_dot2_f32_f16 v21, v22, v26, v21
	;;#ASMEND
	s_nop 0
	;;#ASMSTART
	v_dot2_f32_f16 v21, v23, v27, v21
	;;#ASMEND
	s_nop 0
	;;#ASMSTART
	v_dot2_f32_f16 v21, v24, v28, v21
	;;#ASMEND
	s_nop 0
	;;#ASMSTART
	v_dot2_f32_f16 v21, v25, v29, v21
	;;#ASMEND
	s_waitcnt lgkmcnt(6)
	;;#ASMSTART
	v_dot2_f32_f16 v20, v22, v30, v20
	;;#ASMEND
	s_nop 0
	;;#ASMSTART
	v_dot2_f32_f16 v20, v23, v31, v20
	;;#ASMEND
	s_nop 0
	;;#ASMSTART
	v_dot2_f32_f16 v20, v24, v32, v20
	;;#ASMEND
	s_nop 0
	;;#ASMSTART
	v_dot2_f32_f16 v20, v25, v33, v20
	;;#ASMEND
	;; [unrolled: 16-line block ×8, first 2 shown]
	s_barrier
	s_and_saveexec_b64 s[14:15], vcc
	s_cbranch_execnz .LBB17_39
; %bb.24:                               ;   in Loop: Header=BB17_19 Depth=1
	s_or_b64 exec, exec, s[14:15]
	s_and_saveexec_b64 s[14:15], s[4:5]
	s_cbranch_execnz .LBB17_40
.LBB17_25:                              ;   in Loop: Header=BB17_19 Depth=1
	s_or_b64 exec, exec, s[14:15]
	s_and_saveexec_b64 s[14:15], s[6:7]
	s_cbranch_execz .LBB17_27
.LBB17_26:                              ;   in Loop: Header=BB17_19 Depth=1
	v_mov_b32_e32 v131, v119
	v_lshl_add_u64 v[0:1], v[2:3], 0, v[130:131]
	global_load_dwordx4 v[0:3], v[0:1], off offset:112
	s_waitcnt vmcnt(0)
	ds_write_b128 v172, v[0:3]
.LBB17_27:                              ;   in Loop: Header=BB17_19 Depth=1
	s_or_b64 exec, exec, s[14:15]
	s_waitcnt lgkmcnt(0)
	s_barrier
	ds_read_b128 v[0:3], v168
	ds_read_b128 v[22:25], v169 offset:112
	ds_read_b128 v[26:29], v169 offset:336
	;; [unrolled: 1-line block ×8, first 2 shown]
	s_waitcnt lgkmcnt(7)
	;;#ASMSTART
	v_dot2_f32_f16 v21, v0, v22, v21
	;;#ASMEND
	v_xor_b32_e32 v184, 16, v163
	;;#ASMSTART
	v_dot2_f32_f16 v21, v1, v23, v21
	;;#ASMEND
	v_xor_b32_e32 v188, 8, v163
	;; [unrolled: 4-line block ×3, first 2 shown]
	;;#ASMSTART
	v_dot2_f32_f16 v21, v3, v25, v21
	;;#ASMEND
	s_waitcnt lgkmcnt(6)
	;;#ASMSTART
	v_dot2_f32_f16 v20, v0, v26, v20
	;;#ASMEND
	v_xor_b32_e32 v186, 2, v163
	;;#ASMSTART
	v_dot2_f32_f16 v20, v1, v27, v20
	;;#ASMEND
	v_xor_b32_e32 v185, 1, v163
	;;#ASMSTART
	v_dot2_f32_f16 v20, v2, v28, v20
	;;#ASMEND
	s_nop 0
	;;#ASMSTART
	v_dot2_f32_f16 v20, v3, v29, v20
	;;#ASMEND
	s_waitcnt lgkmcnt(5)
	;;#ASMSTART
	v_dot2_f32_f16 v19, v0, v30, v19
	;;#ASMEND
	s_nop 0
	;;#ASMSTART
	v_dot2_f32_f16 v19, v1, v31, v19
	;;#ASMEND
	s_nop 0
	;;#ASMSTART
	v_dot2_f32_f16 v19, v2, v32, v19
	;;#ASMEND
	s_nop 0
	;;#ASMSTART
	v_dot2_f32_f16 v19, v3, v33, v19
	;;#ASMEND
	s_waitcnt lgkmcnt(4)
	;;#ASMSTART
	v_dot2_f32_f16 v18, v0, v34, v18
	;;#ASMEND
	s_nop 0
	;;#ASMSTART
	v_dot2_f32_f16 v18, v1, v35, v18
	;;#ASMEND
	s_nop 0
	;; [unrolled: 16-line block ×6, first 2 shown]
	;;#ASMSTART
	v_dot2_f32_f16 v6, v2, v52, v6
	;;#ASMEND
	s_nop 0
	;;#ASMSTART
	v_dot2_f32_f16 v6, v3, v53, v6
	;;#ASMEND
	ds_read_b128 v[0:3], v168 offset:16
	ds_read_b128 v[22:25], v169 offset:128
	;; [unrolled: 1-line block ×9, first 2 shown]
	s_waitcnt lgkmcnt(7)
	;;#ASMSTART
	v_dot2_f32_f16 v21, v0, v22, v21
	;;#ASMEND
	s_nop 0
	;;#ASMSTART
	v_dot2_f32_f16 v21, v1, v23, v21
	;;#ASMEND
	s_nop 0
	;;#ASMSTART
	v_dot2_f32_f16 v21, v2, v24, v21
	;;#ASMEND
	s_nop 0
	;;#ASMSTART
	v_dot2_f32_f16 v21, v3, v25, v21
	;;#ASMEND
	s_waitcnt lgkmcnt(6)
	;;#ASMSTART
	v_dot2_f32_f16 v20, v0, v26, v20
	;;#ASMEND
	s_nop 0
	;;#ASMSTART
	v_dot2_f32_f16 v20, v1, v27, v20
	;;#ASMEND
	s_nop 0
	;;#ASMSTART
	v_dot2_f32_f16 v20, v2, v28, v20
	;;#ASMEND
	s_nop 0
	;;#ASMSTART
	v_dot2_f32_f16 v20, v3, v29, v20
	;;#ASMEND
	;; [unrolled: 16-line block ×8, first 2 shown]
	ds_read_b128 v[0:3], v168 offset:32
	ds_read_b128 v[22:25], v169 offset:144
	ds_read_b128 v[26:29], v169 offset:368
	ds_read_b128 v[30:33], v169 offset:592
	ds_read_b128 v[34:37], v169 offset:816
	ds_read_b128 v[38:41], v169 offset:1040
	ds_read_b128 v[42:45], v169 offset:1264
	ds_read_b128 v[46:49], v169 offset:1488
	ds_read_b128 v[50:53], v169 offset:1712
	s_waitcnt lgkmcnt(7)
	;;#ASMSTART
	v_dot2_f32_f16 v21, v0, v22, v21
	;;#ASMEND
	s_nop 0
	;;#ASMSTART
	v_dot2_f32_f16 v21, v1, v23, v21
	;;#ASMEND
	s_nop 0
	;;#ASMSTART
	v_dot2_f32_f16 v21, v2, v24, v21
	;;#ASMEND
	s_nop 0
	;;#ASMSTART
	v_dot2_f32_f16 v21, v3, v25, v21
	;;#ASMEND
	s_waitcnt lgkmcnt(6)
	;;#ASMSTART
	v_dot2_f32_f16 v20, v0, v26, v20
	;;#ASMEND
	s_nop 0
	;;#ASMSTART
	v_dot2_f32_f16 v20, v1, v27, v20
	;;#ASMEND
	s_nop 0
	;;#ASMSTART
	v_dot2_f32_f16 v20, v2, v28, v20
	;;#ASMEND
	s_nop 0
	;;#ASMSTART
	v_dot2_f32_f16 v20, v3, v29, v20
	;;#ASMEND
	;; [unrolled: 16-line block ×8, first 2 shown]
	ds_read_b128 v[0:3], v168 offset:48
	ds_read_b128 v[22:25], v169 offset:160
	ds_read_b128 v[26:29], v169 offset:384
	ds_read_b128 v[30:33], v169 offset:608
	ds_read_b128 v[34:37], v169 offset:832
	ds_read_b128 v[38:41], v169 offset:1056
	ds_read_b128 v[42:45], v169 offset:1280
	ds_read_b128 v[46:49], v169 offset:1504
	ds_read_b128 v[50:53], v169 offset:1728
	s_waitcnt lgkmcnt(7)
	;;#ASMSTART
	v_dot2_f32_f16 v21, v0, v22, v21
	;;#ASMEND
	s_nop 0
	;;#ASMSTART
	v_dot2_f32_f16 v21, v1, v23, v21
	;;#ASMEND
	s_nop 0
	;;#ASMSTART
	v_dot2_f32_f16 v21, v2, v24, v21
	;;#ASMEND
	s_nop 0
	;;#ASMSTART
	v_dot2_f32_f16 v21, v3, v25, v21
	;;#ASMEND
	s_waitcnt lgkmcnt(6)
	;;#ASMSTART
	v_dot2_f32_f16 v20, v0, v26, v20
	;;#ASMEND
	s_nop 0
	;;#ASMSTART
	v_dot2_f32_f16 v20, v1, v27, v20
	;;#ASMEND
	s_nop 0
	;;#ASMSTART
	v_dot2_f32_f16 v20, v2, v28, v20
	;;#ASMEND
	s_nop 0
	;;#ASMSTART
	v_dot2_f32_f16 v20, v3, v29, v20
	;;#ASMEND
	;; [unrolled: 16-line block ×8, first 2 shown]
	ds_read_b128 v[0:3], v168 offset:64
	ds_read_b128 v[22:25], v169 offset:176
	;; [unrolled: 1-line block ×9, first 2 shown]
	s_waitcnt lgkmcnt(7)
	;;#ASMSTART
	v_dot2_f32_f16 v21, v0, v22, v21
	;;#ASMEND
	s_nop 0
	;;#ASMSTART
	v_dot2_f32_f16 v21, v1, v23, v21
	;;#ASMEND
	s_nop 0
	;;#ASMSTART
	v_dot2_f32_f16 v21, v2, v24, v21
	;;#ASMEND
	s_nop 0
	;;#ASMSTART
	v_dot2_f32_f16 v21, v3, v25, v21
	;;#ASMEND
	s_waitcnt lgkmcnt(6)
	;;#ASMSTART
	v_dot2_f32_f16 v20, v0, v26, v20
	;;#ASMEND
	s_nop 0
	;;#ASMSTART
	v_dot2_f32_f16 v20, v1, v27, v20
	;;#ASMEND
	s_nop 0
	;;#ASMSTART
	v_dot2_f32_f16 v20, v2, v28, v20
	;;#ASMEND
	s_nop 0
	;;#ASMSTART
	v_dot2_f32_f16 v20, v3, v29, v20
	;;#ASMEND
	;; [unrolled: 16-line block ×8, first 2 shown]
	ds_read_b128 v[0:3], v168 offset:80
	ds_read_b128 v[22:25], v169 offset:192
	;; [unrolled: 1-line block ×9, first 2 shown]
	s_waitcnt lgkmcnt(7)
	;;#ASMSTART
	v_dot2_f32_f16 v21, v0, v22, v21
	;;#ASMEND
	s_nop 0
	;;#ASMSTART
	v_dot2_f32_f16 v21, v1, v23, v21
	;;#ASMEND
	s_nop 0
	;;#ASMSTART
	v_dot2_f32_f16 v21, v2, v24, v21
	;;#ASMEND
	s_nop 0
	;;#ASMSTART
	v_dot2_f32_f16 v21, v3, v25, v21
	;;#ASMEND
	s_waitcnt lgkmcnt(6)
	;;#ASMSTART
	v_dot2_f32_f16 v20, v0, v26, v20
	;;#ASMEND
	s_nop 0
	;;#ASMSTART
	v_dot2_f32_f16 v20, v1, v27, v20
	;;#ASMEND
	s_nop 0
	;;#ASMSTART
	v_dot2_f32_f16 v20, v2, v28, v20
	;;#ASMEND
	s_nop 0
	;;#ASMSTART
	v_dot2_f32_f16 v20, v3, v29, v20
	;;#ASMEND
	s_waitcnt lgkmcnt(5)
	;;#ASMSTART
	v_dot2_f32_f16 v19, v0, v30, v19
	;;#ASMEND
	s_nop 0
	;;#ASMSTART
	v_dot2_f32_f16 v19, v1, v31, v19
	;;#ASMEND
	s_nop 0
	;;#ASMSTART
	v_dot2_f32_f16 v19, v2, v32, v19
	;;#ASMEND
	s_nop 0
	;;#ASMSTART
	v_dot2_f32_f16 v19, v3, v33, v19
	;;#ASMEND
	s_waitcnt lgkmcnt(4)
	;;#ASMSTART
	v_dot2_f32_f16 v18, v0, v34, v18
	;;#ASMEND
	s_nop 0
	;;#ASMSTART
	v_dot2_f32_f16 v18, v1, v35, v18
	;;#ASMEND
	s_nop 0
	;;#ASMSTART
	v_dot2_f32_f16 v18, v2, v36, v18
	;;#ASMEND
	s_nop 0
	;;#ASMSTART
	v_dot2_f32_f16 v18, v3, v37, v18
	;;#ASMEND
	s_waitcnt lgkmcnt(3)
	;;#ASMSTART
	v_dot2_f32_f16 v17, v0, v38, v17
	;;#ASMEND
	s_nop 0
	;;#ASMSTART
	v_dot2_f32_f16 v17, v1, v39, v17
	;;#ASMEND
	s_nop 0
	;;#ASMSTART
	v_dot2_f32_f16 v17, v2, v40, v17
	;;#ASMEND
	s_nop 0
	;;#ASMSTART
	v_dot2_f32_f16 v17, v3, v41, v17
	;;#ASMEND
	s_waitcnt lgkmcnt(2)
	;;#ASMSTART
	v_dot2_f32_f16 v16, v0, v42, v16
	;;#ASMEND
	s_nop 0
	;;#ASMSTART
	v_dot2_f32_f16 v16, v1, v43, v16
	;;#ASMEND
	s_nop 0
	;;#ASMSTART
	v_dot2_f32_f16 v16, v2, v44, v16
	;;#ASMEND
	s_nop 0
	;;#ASMSTART
	v_dot2_f32_f16 v16, v3, v45, v16
	;;#ASMEND
	s_waitcnt lgkmcnt(1)
	;;#ASMSTART
	v_dot2_f32_f16 v7, v0, v46, v7
	;;#ASMEND
	s_nop 0
	;;#ASMSTART
	v_dot2_f32_f16 v7, v1, v47, v7
	;;#ASMEND
	s_nop 0
	;;#ASMSTART
	v_dot2_f32_f16 v7, v2, v48, v7
	;;#ASMEND
	s_nop 0
	;;#ASMSTART
	v_dot2_f32_f16 v7, v3, v49, v7
	;;#ASMEND
	s_waitcnt lgkmcnt(0)
	;;#ASMSTART
	v_dot2_f32_f16 v6, v0, v50, v6
	;;#ASMEND
	s_nop 0
	;;#ASMSTART
	v_dot2_f32_f16 v6, v1, v51, v6
	;;#ASMEND
	s_nop 0
	;;#ASMSTART
	v_dot2_f32_f16 v6, v2, v52, v6
	;;#ASMEND
	s_nop 0
	;;#ASMSTART
	v_dot2_f32_f16 v6, v3, v53, v6
	;;#ASMEND
	ds_read_b128 v[0:3], v168 offset:96
	ds_read_b128 v[22:25], v169 offset:208
	;; [unrolled: 1-line block ×9, first 2 shown]
	s_waitcnt lgkmcnt(7)
	;;#ASMSTART
	v_dot2_f32_f16 v21, v0, v22, v21
	;;#ASMEND
	s_nop 0
	;;#ASMSTART
	v_dot2_f32_f16 v21, v1, v23, v21
	;;#ASMEND
	s_nop 0
	;; [unrolled: 4-line block ×3, first 2 shown]
	;;#ASMSTART
	v_dot2_f32_f16 v21, v3, v25, v21
	;;#ASMEND
	s_waitcnt lgkmcnt(6)
	;;#ASMSTART
	v_dot2_f32_f16 v20, v0, v26, v20
	;;#ASMEND
	v_max_f32_e32 v25, v15, v15
	;;#ASMSTART
	v_dot2_f32_f16 v20, v1, v27, v20
	;;#ASMEND
	v_max_f32_e32 v27, v14, v14
	;;#ASMSTART
	v_dot2_f32_f16 v20, v2, v28, v20
	;;#ASMEND
	s_nop 0
	;;#ASMSTART
	v_dot2_f32_f16 v20, v3, v29, v20
	;;#ASMEND
	s_waitcnt lgkmcnt(5)
	;;#ASMSTART
	v_dot2_f32_f16 v19, v0, v30, v19
	;;#ASMEND
	v_max_f32_e32 v29, v12, v12
	;;#ASMSTART
	v_dot2_f32_f16 v19, v1, v31, v19
	;;#ASMEND
	s_nop 0
	;;#ASMSTART
	v_dot2_f32_f16 v19, v2, v32, v19
	;;#ASMEND
	s_nop 0
	;;#ASMSTART
	v_dot2_f32_f16 v19, v3, v33, v19
	;;#ASMEND
	s_waitcnt lgkmcnt(4)
	;;#ASMSTART
	v_dot2_f32_f16 v18, v0, v34, v18
	;;#ASMEND
	s_nop 0
	;;#ASMSTART
	v_dot2_f32_f16 v18, v1, v35, v18
	;;#ASMEND
	s_nop 0
	;;#ASMSTART
	v_dot2_f32_f16 v18, v2, v36, v18
	;;#ASMEND
	s_nop 0
	;;#ASMSTART
	v_dot2_f32_f16 v18, v3, v37, v18
	;;#ASMEND
	s_waitcnt lgkmcnt(3)
	;;#ASMSTART
	v_dot2_f32_f16 v17, v0, v38, v17
	;;#ASMEND
	s_nop 0
	;; [unrolled: 16-line block ×5, first 2 shown]
	;;#ASMSTART
	v_dot2_f32_f16 v6, v1, v51, v6
	;;#ASMEND
	s_nop 0
	;;#ASMSTART
	v_dot2_f32_f16 v6, v2, v52, v6
	;;#ASMEND
	v_add_u32_e32 v2, s2, v150
	v_add_u32_e32 v0, v2, v173
	v_ashrrev_i32_e32 v1, 31, v0
	v_lshl_add_u64 v[0:1], v[0:1], 1, s[72:73]
	;;#ASMSTART
	v_dot2_f32_f16 v6, v3, v53, v6
	;;#ASMEND
	global_load_ushort v3, v[0:1], off
	v_and_b32_e32 v0, 0x60, v163
	v_add_u32_e32 v183, 32, v0
	v_add_u32_e32 v0, v2, v174
	v_ashrrev_i32_e32 v1, 31, v0
	v_lshl_add_u64 v[0:1], v[0:1], 1, s[72:73]
	global_load_ushort v1, v[0:1], off
	v_cmp_lt_i32_e64 s[14:15], v184, v183
	s_barrier
	s_nop 0
	v_cndmask_b32_e64 v4, v163, v184, s[14:15]
	v_cmp_lt_i32_e64 s[14:15], v188, v183
	v_lshlrev_b32_e32 v5, 2, v4
	s_nop 0
	v_cndmask_b32_e64 v0, v163, v188, s[14:15]
	v_lshlrev_b32_e32 v22, 2, v0
	v_cmp_lt_i32_e64 s[14:15], v187, v183
	s_waitcnt vmcnt(1)
	v_cvt_f32_f16_e32 v2, v3
	v_max_f32_e32 v3, v8, v8
	v_cndmask_b32_e64 v4, v163, v187, s[14:15]
	v_cmp_lt_i32_e64 s[14:15], v186, v183
	v_add_f32_e32 v21, v21, v2
	v_add_f32_e32 v0, 0x40051340, v21
	v_max_f32_e32 v0, v3, v0
	ds_bpermute_b32 v3, v5, v0
	v_lshlrev_b32_e32 v23, 2, v4
	v_cndmask_b32_e64 v4, v163, v186, s[14:15]
	v_add_f32_e32 v20, v20, v2
	v_lshlrev_b32_e32 v24, 2, v4
	s_waitcnt lgkmcnt(0)
	v_max_f32_e32 v3, v3, v3
	v_max_f32_e32 v0, v0, v3
	ds_bpermute_b32 v3, v22, v0
	v_add_f32_e32 v4, 0x40051340, v20
	v_max_f32_e32 v4, v25, v4
	ds_bpermute_b32 v25, v5, v4
	v_add_f32_e32 v19, v19, v2
	s_waitcnt lgkmcnt(1)
	v_max_f32_e32 v3, v3, v3
	v_max_f32_e32 v0, v0, v3
	ds_bpermute_b32 v3, v23, v0
	s_waitcnt lgkmcnt(1)
	v_max_f32_e32 v25, v25, v25
	v_max_f32_e32 v4, v4, v25
	ds_bpermute_b32 v25, v22, v4
	v_add_f32_e32 v18, v18, v2
	s_waitcnt lgkmcnt(1)
	v_max_f32_e32 v3, v3, v3
	v_max_f32_e32 v0, v0, v3
	ds_bpermute_b32 v3, v24, v0
	v_add_f32_e32 v2, 0x40051340, v18
	v_cmp_lt_i32_e64 s[14:15], v185, v183
	s_waitcnt lgkmcnt(0)
	v_max_f32_e32 v3, v3, v3
	v_max_f32_e32 v0, v0, v3
	;; [unrolled: 1-line block ×4, first 2 shown]
	v_add_f32_e32 v25, 0x40051340, v19
	ds_bpermute_b32 v4, v23, v3
	v_max_f32_e32 v25, v27, v25
	ds_bpermute_b32 v27, v5, v25
	v_cndmask_b32_e64 v26, v163, v185, s[14:15]
	v_lshlrev_b32_e32 v26, 2, v26
	s_waitcnt lgkmcnt(1)
	v_max_f32_e32 v4, v4, v4
	v_max_f32_e32 v3, v3, v4
	s_waitcnt lgkmcnt(0)
	v_max_f32_e32 v27, v27, v27
	ds_bpermute_b32 v4, v24, v3
	v_max_f32_e32 v25, v25, v27
	ds_bpermute_b32 v27, v22, v25
	ds_bpermute_b32 v28, v26, v0
	s_waitcnt lgkmcnt(2)
	v_max_f32_e32 v4, v4, v4
	v_max_f32_e32 v3, v3, v4
	s_waitcnt lgkmcnt(1)
	v_max_f32_e32 v4, v27, v27
	v_max_f32_e32 v4, v25, v4
	ds_bpermute_b32 v25, v23, v4
	v_max_f32_e32 v27, v13, v13
	v_max_f32_e32 v2, v27, v2
	ds_bpermute_b32 v27, v5, v2
	s_waitcnt lgkmcnt(2)
	v_max_f32_e32 v28, v28, v28
	s_waitcnt lgkmcnt(1)
	v_max_f32_e32 v25, v25, v25
	v_max_f32_e32 v4, v4, v25
	ds_bpermute_b32 v25, v24, v4
	s_waitcnt lgkmcnt(1)
	v_max_f32_e32 v27, v27, v27
	v_max_f32_e32 v2, v2, v27
	ds_bpermute_b32 v27, v22, v2
	v_max_f32_e32 v0, v0, v28
	s_waitcnt lgkmcnt(1)
	v_max_f32_e32 v25, v25, v25
	v_max_f32_e32 v4, v4, v25
	s_waitcnt vmcnt(0)
	v_cvt_f32_f16_e32 v25, v1
	s_waitcnt lgkmcnt(0)
	v_max_f32_e32 v1, v27, v27
	v_max_f32_e32 v1, v2, v1
	ds_bpermute_b32 v2, v23, v1
	v_add_f32_e32 v17, v17, v25
	v_add_f32_e32 v27, 0x40051340, v17
	v_max_f32_e32 v27, v29, v27
	ds_bpermute_b32 v29, v5, v27
	s_waitcnt lgkmcnt(1)
	v_max_f32_e32 v2, v2, v2
	v_max_f32_e32 v31, v1, v2
	ds_bpermute_b32 v30, v26, v4
	ds_bpermute_b32 v28, v26, v3
	s_waitcnt lgkmcnt(2)
	v_max_f32_e32 v1, v29, v29
	v_max_f32_e32 v27, v27, v1
	ds_bpermute_b32 v29, v22, v27
	s_waitcnt lgkmcnt(2)
	v_max_f32_e32 v2, v30, v30
	s_waitcnt lgkmcnt(1)
	v_max_f32_e32 v28, v28, v28
	v_max_f32_e32 v2, v4, v2
	v_add_f32_e32 v16, v16, v25
	s_waitcnt lgkmcnt(0)
	v_max_f32_e32 v4, v29, v29
	v_max_f32_e32 v1, v3, v28
	;; [unrolled: 1-line block ×3, first 2 shown]
	v_add_f32_e32 v28, 0x40051340, v16
	v_max_f32_e32 v29, v11, v11
	ds_bpermute_b32 v27, v23, v4
	v_max_f32_e32 v28, v29, v28
	ds_bpermute_b32 v29, v5, v28
	ds_bpermute_b32 v32, v24, v31
	v_sub_f32_e32 v21, v21, v0
	s_waitcnt lgkmcnt(2)
	v_max_f32_e32 v27, v27, v27
	v_max_f32_e32 v4, v4, v27
	s_waitcnt lgkmcnt(1)
	v_max_f32_e32 v29, v29, v29
	ds_bpermute_b32 v27, v24, v4
	v_max_f32_e32 v28, v28, v29
	ds_bpermute_b32 v29, v22, v28
	s_waitcnt lgkmcnt(2)
	v_max_f32_e32 v3, v32, v32
	v_max_f32_e32 v3, v31, v3
	s_waitcnt lgkmcnt(1)
	v_max_f32_e32 v27, v27, v27
	v_max_f32_e32 v4, v4, v27
	s_waitcnt lgkmcnt(0)
	v_max_f32_e32 v29, v29, v29
	ds_bpermute_b32 v27, v26, v4
	v_max_f32_e32 v28, v28, v29
	ds_bpermute_b32 v29, v23, v28
	ds_bpermute_b32 v30, v26, v3
	v_sub_f32_e32 v20, v20, v1
	s_waitcnt lgkmcnt(2)
	v_max_f32_e32 v27, v27, v27
	v_max_f32_e32 v4, v4, v27
	s_waitcnt lgkmcnt(1)
	v_max_f32_e32 v27, v29, v29
	v_max_f32_e32 v27, v28, v27
	v_add_f32_e32 v28, v7, v25
	v_add_f32_e32 v7, 0x40051340, v28
	v_max_f32_e32 v29, v10, v10
	v_max_f32_e32 v7, v29, v7
	ds_bpermute_b32 v29, v5, v7
	s_waitcnt lgkmcnt(1)
	v_max_f32_e32 v30, v30, v30
	v_add_f32_e32 v25, v6, v25
	v_max_f32_e32 v3, v3, v30
	v_add_f32_e32 v6, 0x40051340, v25
	v_max_f32_e32 v30, v9, v9
	v_max_f32_e32 v6, v30, v6
	ds_bpermute_b32 v5, v5, v6
	s_waitcnt lgkmcnt(1)
	v_max_f32_e32 v29, v29, v29
	v_max_f32_e32 v7, v7, v29
	ds_bpermute_b32 v29, v22, v7
	ds_bpermute_b32 v30, v24, v27
	s_waitcnt lgkmcnt(2)
	v_max_f32_e32 v5, v5, v5
	v_max_f32_e32 v5, v6, v5
	ds_bpermute_b32 v6, v22, v5
	s_waitcnt lgkmcnt(2)
	v_max_f32_e32 v29, v29, v29
	v_max_f32_e32 v7, v7, v29
	ds_bpermute_b32 v29, v23, v7
	s_waitcnt lgkmcnt(2)
	v_max_f32_e32 v22, v30, v30
	s_waitcnt lgkmcnt(1)
	v_max_f32_e32 v6, v6, v6
	v_max_f32_e32 v5, v5, v6
	ds_bpermute_b32 v6, v23, v5
	s_waitcnt lgkmcnt(1)
	v_max_f32_e32 v23, v29, v29
	v_max_f32_e32 v7, v7, v23
	ds_bpermute_b32 v23, v24, v7
	v_max_f32_e32 v22, v27, v22
	s_waitcnt lgkmcnt(1)
	v_max_f32_e32 v6, v6, v6
	v_max_f32_e32 v5, v5, v6
	ds_bpermute_b32 v6, v24, v5
	ds_bpermute_b32 v24, v26, v22
	s_waitcnt lgkmcnt(2)
	v_max_f32_e32 v23, v23, v23
	v_max_f32_e32 v7, v7, v23
	ds_bpermute_b32 v23, v26, v7
	s_waitcnt lgkmcnt(2)
	v_max_f32_e32 v6, v6, v6
	v_max_f32_e32 v27, v5, v6
	s_waitcnt lgkmcnt(1)
	v_max_f32_e32 v5, v24, v24
	v_max_f32_e32 v5, v22, v5
	v_mul_f32_e32 v22, 0x3fb8aa3b, v21
	s_waitcnt lgkmcnt(0)
	v_max_f32_e32 v6, v23, v23
	v_fma_f32 v23, v21, s64, -v22
	v_rndne_f32_e32 v24, v22
	v_fmac_f32_e32 v23, 0x32a5705f, v21
	v_sub_f32_e32 v22, v22, v24
	v_add_f32_e32 v22, v22, v23
	ds_bpermute_b32 v26, v26, v27
	v_exp_f32_e32 v22, v22
	v_cvt_i32_f32_e32 v23, v24
	v_max_f32_e32 v6, v7, v6
	v_cmp_ngt_f32_e64 s[14:15], s65, v21
	s_waitcnt lgkmcnt(0)
	v_max_f32_e32 v7, v26, v26
	v_ldexp_f32 v22, v22, v23
	v_mul_f32_e32 v23, 0x3fb8aa3b, v20
	v_fma_f32 v24, v20, s64, -v23
	v_rndne_f32_e32 v26, v23
	v_fmac_f32_e32 v24, 0x32a5705f, v20
	v_sub_f32_e32 v23, v23, v26
	v_add_f32_e32 v23, v23, v24
	v_exp_f32_e32 v23, v23
	v_cvt_i32_f32_e32 v24, v26
	v_cndmask_b32_e64 v22, 0, v22, s[14:15]
	v_cmp_nlt_f32_e64 s[14:15], s77, v21
	v_sub_f32_e32 v19, v19, v2
	v_ldexp_f32 v21, v23, v24
	v_cndmask_b32_e64 v132, v182, v22, s[14:15]
	v_mul_f32_e32 v22, 0x3fb8aa3b, v19
	v_fma_f32 v23, v19, s64, -v22
	v_rndne_f32_e32 v24, v22
	v_fmac_f32_e32 v23, 0x32a5705f, v19
	v_sub_f32_e32 v22, v22, v24
	v_add_f32_e32 v22, v22, v23
	v_exp_f32_e32 v22, v22
	v_cvt_i32_f32_e32 v23, v24
	v_cmp_ngt_f32_e64 s[14:15], s65, v20
	v_sub_f32_e32 v18, v18, v3
	v_sub_f32_e32 v17, v17, v4
	v_cndmask_b32_e64 v21, 0, v21, s[14:15]
	v_cmp_nlt_f32_e64 s[14:15], s77, v20
	v_ldexp_f32 v20, v22, v23
	v_sub_f32_e32 v16, v16, v5
	v_cndmask_b32_e64 v133, v182, v21, s[14:15]
	v_mul_f32_e32 v21, 0x3fb8aa3b, v18
	v_fma_f32 v22, v18, s64, -v21
	v_rndne_f32_e32 v23, v21
	v_fmac_f32_e32 v22, 0x32a5705f, v18
	v_sub_f32_e32 v21, v21, v23
	v_add_f32_e32 v21, v21, v22
	v_exp_f32_e32 v21, v21
	v_cvt_i32_f32_e32 v22, v23
	v_cmp_ngt_f32_e64 s[14:15], s65, v19
	v_max_f32_e32 v7, v27, v7
	s_nop 0
	v_cndmask_b32_e64 v20, 0, v20, s[14:15]
	v_cmp_nlt_f32_e64 s[14:15], s77, v19
	v_ldexp_f32 v19, v21, v22
	s_nop 0
	v_cndmask_b32_e64 v134, v182, v20, s[14:15]
	v_mul_f32_e32 v20, 0x3fb8aa3b, v17
	v_fma_f32 v21, v17, s64, -v20
	v_rndne_f32_e32 v22, v20
	v_fmac_f32_e32 v21, 0x32a5705f, v17
	v_sub_f32_e32 v20, v20, v22
	v_add_f32_e32 v20, v20, v21
	v_exp_f32_e32 v20, v20
	v_cvt_i32_f32_e32 v21, v22
	v_cmp_ngt_f32_e64 s[14:15], s65, v18
	s_nop 1
	v_cndmask_b32_e64 v19, 0, v19, s[14:15]
	v_cmp_nlt_f32_e64 s[14:15], s77, v18
	v_ldexp_f32 v18, v20, v21
	s_nop 0
	v_cndmask_b32_e64 v135, v182, v19, s[14:15]
	v_mul_f32_e32 v19, 0x3fb8aa3b, v16
	v_fma_f32 v20, v16, s64, -v19
	v_rndne_f32_e32 v21, v19
	v_fmac_f32_e32 v20, 0x32a5705f, v16
	v_sub_f32_e32 v19, v19, v21
	v_add_f32_e32 v19, v19, v20
	v_exp_f32_e32 v19, v19
	v_cvt_i32_f32_e32 v20, v21
	v_cmp_ngt_f32_e64 s[14:15], s65, v17
	s_nop 1
	v_cndmask_b32_e64 v18, 0, v18, s[14:15]
	v_cmp_nlt_f32_e64 s[14:15], s77, v17
	v_ldexp_f32 v17, v19, v20
	s_nop 0
	v_cndmask_b32_e64 v136, v182, v18, s[14:15]
	v_sub_f32_e32 v18, v28, v6
	v_mul_f32_e32 v19, 0x3fb8aa3b, v18
	v_fma_f32 v20, v18, s64, -v19
	v_rndne_f32_e32 v21, v19
	v_fmac_f32_e32 v20, 0x32a5705f, v18
	v_sub_f32_e32 v19, v19, v21
	v_add_f32_e32 v19, v19, v20
	v_exp_f32_e32 v19, v19
	v_cvt_i32_f32_e32 v20, v21
	v_cmp_ngt_f32_e64 s[14:15], s65, v16
	s_nop 1
	v_cndmask_b32_e64 v17, 0, v17, s[14:15]
	v_cmp_nlt_f32_e64 s[14:15], s77, v16
	v_ldexp_f32 v16, v19, v20
	s_nop 0
	v_cndmask_b32_e64 v137, v182, v17, s[14:15]
	v_sub_f32_e32 v17, v25, v7
	v_mul_f32_e32 v19, 0x3fb8aa3b, v17
	v_fma_f32 v20, v17, s64, -v19
	v_rndne_f32_e32 v21, v19
	v_fmac_f32_e32 v20, 0x32a5705f, v17
	v_sub_f32_e32 v19, v19, v21
	v_add_f32_e32 v19, v19, v20
	v_exp_f32_e32 v19, v19
	v_cvt_i32_f32_e32 v20, v21
	v_cmp_ngt_f32_e64 s[14:15], s65, v18
	s_nop 1
	v_cndmask_b32_e64 v16, 0, v16, s[14:15]
	v_cmp_nlt_f32_e64 s[14:15], s77, v18
	v_cvt_pk_f16_f32 v18, v136, v137
	s_nop 0
	v_cndmask_b32_e64 v138, v182, v16, s[14:15]
	v_ldexp_f32 v16, v19, v20
	v_cmp_ngt_f32_e64 s[14:15], s65, v17
	s_nop 1
	v_cndmask_b32_e64 v16, 0, v16, s[14:15]
	v_cmp_nlt_f32_e64 s[14:15], s77, v17
	v_cvt_pk_f16_f32 v17, v134, v135
	s_nop 0
	v_cndmask_b32_e64 v139, v182, v16, s[14:15]
	s_mul_hi_i32 s15, s2, s58
	s_mul_i32 s14, s2, s58
	s_lshl_b64 s[14:15], s[14:15], 2
	s_add_u32 s14, s75, s14
	v_cvt_pk_f16_f32 v19, v138, v139
	v_cvt_pk_f16_f32 v16, v132, v133
	s_addc_u32 s15, s76, s15
	ds_write_b128 v181, v[16:19]
	s_and_saveexec_b64 s[16:17], s[8:9]
	s_cbranch_execnz .LBB17_41
; %bb.28:                               ;   in Loop: Header=BB17_19 Depth=1
	s_or_b64 exec, exec, s[16:17]
	s_and_saveexec_b64 s[16:17], s[10:11]
	s_cbranch_execnz .LBB17_42
.LBB17_29:                              ;   in Loop: Header=BB17_19 Depth=1
	s_or_b64 exec, exec, s[16:17]
	v_lshlrev_b32_e32 v140, 2, v126
	s_and_saveexec_b64 s[16:17], s[12:13]
	s_cbranch_execz .LBB17_31
.LBB17_30:                              ;   in Loop: Header=BB17_19 Depth=1
	v_lshl_add_u64 v[16:17], v[128:129], 2, s[14:15]
	v_mov_b32_e32 v141, v119
	v_lshl_add_u64 v[16:17], v[16:17], 0, v[140:141]
	global_load_dwordx4 v[16:19], v[16:17], off
	s_waitcnt vmcnt(0)
	ds_write_b128 v179, v[16:19]
.LBB17_31:                              ;   in Loop: Header=BB17_19 Depth=1
	s_or_b64 exec, exec, s[16:17]
	v_add_u32_e32 v190, 0x3800, v154
	s_waitcnt lgkmcnt(0)
	s_barrier
	ds_read2_b64 v[36:39], v190 offset1:28
	ds_read_b128 v[100:103], v175
	ds_read_b128 v[96:99], v175 offset:16
	ds_read_b128 v[92:95], v175 offset:32
	;; [unrolled: 1-line block ×3, first 2 shown]
	ds_read2_b64 v[32:35], v190 offset0:56 offset1:84
	ds_read2_b64 v[28:31], v190 offset0:112 offset1:140
	ds_read_b128 v[84:87], v175 offset:64
	ds_read_b128 v[80:83], v175 offset:80
	ds_read2_b64 v[24:27], v190 offset0:168 offset1:196
	ds_read_b128 v[76:79], v175 offset:96
	ds_read_b128 v[72:75], v175 offset:112
	;; [unrolled: 3-line block ×3, first 2 shown]
	v_add_u32_e32 v189, 0x4000, v154
	v_sub_f32_e32 v192, v8, v0
	v_sub_f32_e32 v191, v15, v1
	;; [unrolled: 1-line block ×8, first 2 shown]
	ds_read2_b64 v[16:19], v189 offset0:24 offset1:52
	ds_read_b128 v[60:63], v175 offset:160
	ds_read_b128 v[56:59], v175 offset:176
	ds_read2_b64 v[12:15], v189 offset0:80 offset1:108
	ds_read_b128 v[52:55], v175 offset:192
	ds_read_b128 v[48:51], v175 offset:208
	;; [unrolled: 3-line block ×3, first 2 shown]
	s_or_b32 s52, s2, 16
	s_mul_hi_i32 s53, s52, s58
	s_mul_i32 s52, s52, s58
	s_lshl_b64 s[52:53], s[52:53], 2
	s_add_u32 s52, s75, s52
	v_cmp_ngt_f32_e64 s[44:45], s65, v192
	v_cmp_nlt_f32_e64 s[46:47], s77, v192
	v_cmp_ngt_f32_e64 s[40:41], s65, v191
	v_cmp_nlt_f32_e64 s[42:43], s77, v191
	;; [unrolled: 2-line block ×8, first 2 shown]
	s_addc_u32 s53, s76, s53
	s_waitcnt lgkmcnt(0)
	s_barrier
	s_and_saveexec_b64 s[54:55], s[8:9]
	s_cbranch_execnz .LBB17_43
; %bb.32:                               ;   in Loop: Header=BB17_19 Depth=1
	s_or_b64 exec, exec, s[54:55]
	s_and_saveexec_b64 s[54:55], s[10:11]
	s_cbranch_execnz .LBB17_44
.LBB17_33:                              ;   in Loop: Header=BB17_19 Depth=1
	s_or_b64 exec, exec, s[54:55]
	s_and_saveexec_b64 s[54:55], s[12:13]
	s_cbranch_execz .LBB17_35
.LBB17_34:                              ;   in Loop: Header=BB17_19 Depth=1
	v_lshl_add_u64 v[194:195], v[128:129], 2, s[52:53]
	v_mov_b32_e32 v141, v119
	v_lshl_add_u64 v[140:141], v[194:195], 0, v[140:141]
	global_load_dwordx4 v[194:197], v[140:141], off
	s_waitcnt vmcnt(0)
	ds_write_b128 v179, v[194:197]
.LBB17_35:                              ;   in Loop: Header=BB17_19 Depth=1
	s_or_b64 exec, exec, s[54:55]
	v_mul_f32_e32 v131, 0x3fb8aa3b, v192
	v_fma_f32 v140, v192, s64, -v131
	v_rndne_f32_e32 v141, v131
	v_fmac_f32_e32 v140, 0x32a5705f, v192
	v_sub_f32_e32 v131, v131, v141
	v_add_f32_e32 v131, v131, v140
	v_cvt_i32_f32_e32 v140, v141
	v_mul_f32_e32 v141, 0x3fb8aa3b, v191
	v_fma_f32 v192, v191, s64, -v141
	v_fmac_f32_e32 v192, 0x32a5705f, v191
	v_rndne_f32_e32 v191, v141
	v_sub_f32_e32 v141, v141, v191
	v_add_f32_e32 v141, v141, v192
	v_exp_f32_e32 v141, v141
	v_cvt_i32_f32_e32 v191, v191
	v_exp_f32_e32 v131, v131
	v_mul_u32_u24_sdwa v199, v101, s78 dst_sel:DWORD dst_unused:UNUSED_PAD src0_sel:WORD_0 src1_sel:DWORD
	v_mul_u32_u24_sdwa v101, v101, s78 dst_sel:DWORD dst_unused:UNUSED_PAD src0_sel:WORD_1 src1_sel:DWORD
	v_ldexp_f32 v141, v141, v191
	v_mul_f32_e32 v191, 0x3fb8aa3b, v143
	v_fma_f32 v192, v143, s64, -v191
	v_fmac_f32_e32 v192, 0x32a5705f, v143
	v_rndne_f32_e32 v143, v191
	v_sub_f32_e32 v191, v191, v143
	v_add_f32_e32 v191, v191, v192
	v_exp_f32_e32 v191, v191
	v_cvt_i32_f32_e32 v143, v143
	v_ldexp_f32 v131, v131, v140
	v_cndmask_b32_e64 v131, 0, v131, s[44:45]
	v_cndmask_b32_e64 v141, 0, v141, s[40:41]
	v_ldexp_f32 v143, v191, v143
	v_mul_f32_e32 v191, 0x3fb8aa3b, v142
	v_fma_f32 v193, v142, s64, -v191
	v_fmac_f32_e32 v193, 0x32a5705f, v142
	v_rndne_f32_e32 v142, v191
	v_sub_f32_e32 v191, v191, v142
	v_add_f32_e32 v191, v191, v193
	v_exp_f32_e32 v191, v191
	v_cvt_i32_f32_e32 v193, v142
	v_cndmask_b32_e64 v142, 0, v143, s[36:37]
	v_cndmask_b32_e64 v140, v182, v131, s[46:47]
	v_cndmask_b32_e64 v141, v182, v141, s[42:43]
	v_ldexp_f32 v143, v191, v193
	v_mul_f32_e32 v193, 0x3fb8aa3b, v147
	v_fma_f32 v195, v147, s64, -v193
	v_fmac_f32_e32 v195, 0x32a5705f, v147
	v_rndne_f32_e32 v147, v193
	v_sub_f32_e32 v193, v193, v147
	v_add_f32_e32 v193, v193, v195
	v_exp_f32_e32 v193, v193
	v_cvt_i32_f32_e32 v147, v147
	v_cndmask_b32_e64 v143, 0, v143, s[30:31]
	;; [unrolled: 12-line block ×3, first 2 shown]
	v_cndmask_b32_e64 v144, v182, v144, s[28:29]
	v_cvt_f16_f32_e32 v131, v140
	v_ldexp_f32 v147, v193, v195
	v_mul_f32_e32 v193, 0x3fb8aa3b, v145
	v_fma_f32 v195, v145, s64, -v193
	v_fmac_f32_e32 v195, 0x32a5705f, v145
	v_rndne_f32_e32 v145, v193
	v_sub_f32_e32 v193, v193, v145
	v_add_f32_e32 v193, v193, v195
	v_exp_f32_e32 v193, v193
	v_cvt_i32_f32_e32 v195, v145
	v_cndmask_b32_e64 v145, 0, v147, s[22:23]
	v_cndmask_b32_e64 v145, v182, v145, s[24:25]
	v_cvt_f16_f32_e32 v192, v141
	v_ldexp_f32 v147, v193, v195
	v_mul_f32_e32 v193, 0x3fb8aa3b, v146
	v_fma_f32 v195, v146, s64, -v193
	v_fmac_f32_e32 v195, 0x32a5705f, v146
	v_rndne_f32_e32 v146, v193
	v_sub_f32_e32 v193, v193, v146
	v_add_f32_e32 v193, v193, v195
	v_exp_f32_e32 v193, v193
	v_cvt_i32_f32_e32 v195, v146
	v_cndmask_b32_e64 v146, 0, v147, s[18:19]
	v_cndmask_b32_e64 v146, v182, v146, s[20:21]
	v_cvt_f16_f32_e32 v194, v142
	v_ldexp_f32 v147, v193, v195
	v_cndmask_b32_e64 v147, 0, v147, s[14:15]
	v_cndmask_b32_e64 v147, v182, v147, s[16:17]
	v_cvt_f16_f32_e32 v191, v143
	v_cvt_f16_f32_e32 v196, v144
	;; [unrolled: 1-line block ×5, first 2 shown]
	v_mul_u32_u24_e32 v131, 0x10001, v131
	v_mul_u32_u24_e32 v192, 0x10001, v192
	;; [unrolled: 1-line block ×8, first 2 shown]
	v_mul_u32_u24_sdwa v198, v100, s78 dst_sel:DWORD dst_unused:UNUSED_PAD src0_sel:WORD_0 src1_sel:DWORD
	v_mul_u32_u24_sdwa v100, v100, s78 dst_sel:DWORD dst_unused:UNUSED_PAD src0_sel:WORD_1 src1_sel:DWORD
	v_mul_u32_u24_sdwa v200, v102, s78 dst_sel:DWORD dst_unused:UNUSED_PAD src0_sel:WORD_0 src1_sel:DWORD
	v_mul_u32_u24_sdwa v102, v102, s78 dst_sel:DWORD dst_unused:UNUSED_PAD src0_sel:WORD_1 src1_sel:DWORD
	v_mul_u32_u24_sdwa v201, v103, s78 dst_sel:DWORD dst_unused:UNUSED_PAD src0_sel:WORD_0 src1_sel:DWORD
	v_mul_u32_u24_sdwa v103, v103, s78 dst_sel:DWORD dst_unused:UNUSED_PAD src0_sel:WORD_1 src1_sel:DWORD
	v_pk_mul_f16 v176, v176, v131
	v_pk_mul_f16 v131, v180, v131
	;; [unrolled: 1-line block ×16, first 2 shown]
	v_mul_u32_u24_sdwa v202, v96, s78 dst_sel:DWORD dst_unused:UNUSED_PAD src0_sel:WORD_0 src1_sel:DWORD
	v_mul_u32_u24_sdwa v96, v96, s78 dst_sel:DWORD dst_unused:UNUSED_PAD src0_sel:WORD_1 src1_sel:DWORD
	v_mul_u32_u24_sdwa v203, v97, s78 dst_sel:DWORD dst_unused:UNUSED_PAD src0_sel:WORD_0 src1_sel:DWORD
	v_mul_u32_u24_sdwa v97, v97, s78 dst_sel:DWORD dst_unused:UNUSED_PAD src0_sel:WORD_1 src1_sel:DWORD
	v_mul_u32_u24_sdwa v204, v98, s78 dst_sel:DWORD dst_unused:UNUSED_PAD src0_sel:WORD_0 src1_sel:DWORD
	v_mul_u32_u24_sdwa v98, v98, s78 dst_sel:DWORD dst_unused:UNUSED_PAD src0_sel:WORD_1 src1_sel:DWORD
	v_mul_u32_u24_sdwa v205, v99, s78 dst_sel:DWORD dst_unused:UNUSED_PAD src0_sel:WORD_0 src1_sel:DWORD
	v_mul_u32_u24_sdwa v99, v99, s78 dst_sel:DWORD dst_unused:UNUSED_PAD src0_sel:WORD_1 src1_sel:DWORD
	v_pk_fma_f16 v176, v36, v198, v176
	v_pk_fma_f16 v166, v36, v100, v166
	v_pk_fma_f16 v164, v36, v199, v164
	v_pk_fma_f16 v161, v36, v101, v161
	v_pk_fma_f16 v159, v36, v200, v159
	v_pk_fma_f16 v157, v36, v102, v157
	v_pk_fma_f16 v155, v36, v201, v155
	v_pk_fma_f16 v36, v36, v103, v152
	v_pk_fma_f16 v131, v37, v198, v131
	v_pk_fma_f16 v100, v37, v100, v167
	v_pk_fma_f16 v152, v37, v199, v165
	v_pk_fma_f16 v101, v37, v101, v162
	v_pk_fma_f16 v160, v37, v200, v160
	v_pk_fma_f16 v102, v37, v102, v158
	v_pk_fma_f16 v156, v37, v201, v156
	v_pk_fma_f16 v37, v37, v103, v153
	v_mul_u32_u24_sdwa v206, v92, s78 dst_sel:DWORD dst_unused:UNUSED_PAD src0_sel:WORD_0 src1_sel:DWORD
	v_mul_u32_u24_sdwa v92, v92, s78 dst_sel:DWORD dst_unused:UNUSED_PAD src0_sel:WORD_1 src1_sel:DWORD
	v_mul_u32_u24_sdwa v207, v93, s78 dst_sel:DWORD dst_unused:UNUSED_PAD src0_sel:WORD_0 src1_sel:DWORD
	v_mul_u32_u24_sdwa v93, v93, s78 dst_sel:DWORD dst_unused:UNUSED_PAD src0_sel:WORD_1 src1_sel:DWORD
	v_mul_u32_u24_sdwa v208, v94, s78 dst_sel:DWORD dst_unused:UNUSED_PAD src0_sel:WORD_0 src1_sel:DWORD
	v_mul_u32_u24_sdwa v94, v94, s78 dst_sel:DWORD dst_unused:UNUSED_PAD src0_sel:WORD_1 src1_sel:DWORD
	v_mul_u32_u24_sdwa v209, v95, s78 dst_sel:DWORD dst_unused:UNUSED_PAD src0_sel:WORD_0 src1_sel:DWORD
	v_mul_u32_u24_sdwa v95, v95, s78 dst_sel:DWORD dst_unused:UNUSED_PAD src0_sel:WORD_1 src1_sel:DWORD
	v_pk_fma_f16 v103, v38, v202, v176
	v_pk_fma_f16 v153, v38, v96, v166
	v_pk_fma_f16 v158, v38, v203, v164
	v_pk_fma_f16 v161, v38, v97, v161
	v_pk_fma_f16 v159, v38, v204, v159
	v_pk_fma_f16 v157, v38, v98, v157
	v_pk_fma_f16 v155, v38, v205, v155
	v_pk_fma_f16 v36, v38, v99, v36
	v_pk_fma_f16 v38, v39, v202, v131
	v_pk_fma_f16 v96, v39, v96, v100
	v_pk_fma_f16 v100, v39, v203, v152
	v_pk_fma_f16 v97, v39, v97, v101
	v_pk_fma_f16 v101, v39, v204, v160
	v_pk_fma_f16 v98, v39, v98, v102
	v_pk_fma_f16 v102, v39, v205, v156
	v_pk_fma_f16 v37, v39, v99, v37
	v_mul_u32_u24_sdwa v210, v88, s78 dst_sel:DWORD dst_unused:UNUSED_PAD src0_sel:WORD_0 src1_sel:DWORD
	v_mul_u32_u24_sdwa v88, v88, s78 dst_sel:DWORD dst_unused:UNUSED_PAD src0_sel:WORD_1 src1_sel:DWORD
	v_mul_u32_u24_sdwa v211, v89, s78 dst_sel:DWORD dst_unused:UNUSED_PAD src0_sel:WORD_0 src1_sel:DWORD
	v_mul_u32_u24_sdwa v89, v89, s78 dst_sel:DWORD dst_unused:UNUSED_PAD src0_sel:WORD_1 src1_sel:DWORD
	v_mul_u32_u24_sdwa v212, v90, s78 dst_sel:DWORD dst_unused:UNUSED_PAD src0_sel:WORD_0 src1_sel:DWORD
	v_mul_u32_u24_sdwa v90, v90, s78 dst_sel:DWORD dst_unused:UNUSED_PAD src0_sel:WORD_1 src1_sel:DWORD
	v_mul_u32_u24_sdwa v213, v91, s78 dst_sel:DWORD dst_unused:UNUSED_PAD src0_sel:WORD_0 src1_sel:DWORD
	v_mul_u32_u24_sdwa v91, v91, s78 dst_sel:DWORD dst_unused:UNUSED_PAD src0_sel:WORD_1 src1_sel:DWORD
	v_pk_fma_f16 v39, v32, v206, v103
	v_pk_fma_f16 v99, v32, v92, v153
	v_pk_fma_f16 v103, v32, v207, v158
	v_pk_fma_f16 v131, v32, v93, v161
	v_pk_fma_f16 v152, v32, v208, v159
	v_pk_fma_f16 v153, v32, v94, v157
	v_pk_fma_f16 v155, v32, v209, v155
	v_pk_fma_f16 v32, v32, v95, v36
	v_pk_fma_f16 v36, v33, v206, v38
	v_pk_fma_f16 v38, v33, v92, v96
	v_pk_fma_f16 v92, v33, v207, v100
	v_pk_fma_f16 v93, v33, v93, v97
	v_pk_fma_f16 v96, v33, v208, v101
	v_pk_fma_f16 v94, v33, v94, v98
	v_pk_fma_f16 v97, v33, v209, v102
	v_pk_fma_f16 v33, v33, v95, v37
	v_mul_u32_u24_sdwa v214, v84, s78 dst_sel:DWORD dst_unused:UNUSED_PAD src0_sel:WORD_0 src1_sel:DWORD
	v_mul_u32_u24_sdwa v84, v84, s78 dst_sel:DWORD dst_unused:UNUSED_PAD src0_sel:WORD_1 src1_sel:DWORD
	v_mul_u32_u24_sdwa v215, v85, s78 dst_sel:DWORD dst_unused:UNUSED_PAD src0_sel:WORD_0 src1_sel:DWORD
	v_mul_u32_u24_sdwa v85, v85, s78 dst_sel:DWORD dst_unused:UNUSED_PAD src0_sel:WORD_1 src1_sel:DWORD
	v_mul_u32_u24_sdwa v216, v86, s78 dst_sel:DWORD dst_unused:UNUSED_PAD src0_sel:WORD_0 src1_sel:DWORD
	v_mul_u32_u24_sdwa v86, v86, s78 dst_sel:DWORD dst_unused:UNUSED_PAD src0_sel:WORD_1 src1_sel:DWORD
	v_mul_u32_u24_sdwa v217, v87, s78 dst_sel:DWORD dst_unused:UNUSED_PAD src0_sel:WORD_0 src1_sel:DWORD
	v_mul_u32_u24_sdwa v87, v87, s78 dst_sel:DWORD dst_unused:UNUSED_PAD src0_sel:WORD_1 src1_sel:DWORD
	v_pk_fma_f16 v37, v34, v210, v39
	v_pk_fma_f16 v39, v34, v88, v99
	v_pk_fma_f16 v95, v34, v211, v103
	v_pk_fma_f16 v98, v34, v89, v131
	v_pk_fma_f16 v99, v34, v212, v152
	v_pk_fma_f16 v100, v34, v90, v153
	v_pk_fma_f16 v101, v34, v213, v155
	v_pk_fma_f16 v32, v34, v91, v32
	v_pk_fma_f16 v34, v35, v210, v36
	v_pk_fma_f16 v36, v35, v88, v38
	v_pk_fma_f16 v38, v35, v211, v92
	v_pk_fma_f16 v88, v35, v89, v93
	v_pk_fma_f16 v89, v35, v212, v96
	v_pk_fma_f16 v90, v35, v90, v94
	v_pk_fma_f16 v92, v35, v213, v97
	v_pk_fma_f16 v33, v35, v91, v33
	v_mul_u32_u24_sdwa v218, v80, s78 dst_sel:DWORD dst_unused:UNUSED_PAD src0_sel:WORD_0 src1_sel:DWORD
	v_mul_u32_u24_sdwa v80, v80, s78 dst_sel:DWORD dst_unused:UNUSED_PAD src0_sel:WORD_1 src1_sel:DWORD
	v_mul_u32_u24_sdwa v219, v81, s78 dst_sel:DWORD dst_unused:UNUSED_PAD src0_sel:WORD_0 src1_sel:DWORD
	v_mul_u32_u24_sdwa v81, v81, s78 dst_sel:DWORD dst_unused:UNUSED_PAD src0_sel:WORD_1 src1_sel:DWORD
	v_mul_u32_u24_sdwa v220, v82, s78 dst_sel:DWORD dst_unused:UNUSED_PAD src0_sel:WORD_0 src1_sel:DWORD
	v_mul_u32_u24_sdwa v82, v82, s78 dst_sel:DWORD dst_unused:UNUSED_PAD src0_sel:WORD_1 src1_sel:DWORD
	v_mul_u32_u24_sdwa v221, v83, s78 dst_sel:DWORD dst_unused:UNUSED_PAD src0_sel:WORD_0 src1_sel:DWORD
	v_mul_u32_u24_sdwa v83, v83, s78 dst_sel:DWORD dst_unused:UNUSED_PAD src0_sel:WORD_1 src1_sel:DWORD
	v_pk_fma_f16 v35, v28, v214, v37
	v_pk_fma_f16 v37, v28, v84, v39
	v_pk_fma_f16 v39, v28, v215, v95
	v_pk_fma_f16 v91, v28, v85, v98
	v_pk_fma_f16 v93, v28, v216, v99
	v_pk_fma_f16 v94, v28, v86, v100
	v_pk_fma_f16 v95, v28, v217, v101
	v_pk_fma_f16 v28, v28, v87, v32
	v_pk_fma_f16 v32, v29, v214, v34
	v_pk_fma_f16 v34, v29, v84, v36
	v_pk_fma_f16 v36, v29, v215, v38
	v_pk_fma_f16 v38, v29, v85, v88
	v_pk_fma_f16 v84, v29, v216, v89
	v_pk_fma_f16 v85, v29, v86, v90
	v_pk_fma_f16 v86, v29, v217, v92
	v_pk_fma_f16 v29, v29, v87, v33
	v_mul_u32_u24_sdwa v222, v76, s78 dst_sel:DWORD dst_unused:UNUSED_PAD src0_sel:WORD_0 src1_sel:DWORD
	v_mul_u32_u24_sdwa v76, v76, s78 dst_sel:DWORD dst_unused:UNUSED_PAD src0_sel:WORD_1 src1_sel:DWORD
	v_mul_u32_u24_sdwa v223, v77, s78 dst_sel:DWORD dst_unused:UNUSED_PAD src0_sel:WORD_0 src1_sel:DWORD
	v_mul_u32_u24_sdwa v77, v77, s78 dst_sel:DWORD dst_unused:UNUSED_PAD src0_sel:WORD_1 src1_sel:DWORD
	v_mul_u32_u24_sdwa v224, v78, s78 dst_sel:DWORD dst_unused:UNUSED_PAD src0_sel:WORD_0 src1_sel:DWORD
	v_mul_u32_u24_sdwa v78, v78, s78 dst_sel:DWORD dst_unused:UNUSED_PAD src0_sel:WORD_1 src1_sel:DWORD
	v_mul_u32_u24_sdwa v225, v79, s78 dst_sel:DWORD dst_unused:UNUSED_PAD src0_sel:WORD_0 src1_sel:DWORD
	v_mul_u32_u24_sdwa v79, v79, s78 dst_sel:DWORD dst_unused:UNUSED_PAD src0_sel:WORD_1 src1_sel:DWORD
	v_pk_fma_f16 v33, v30, v218, v35
	v_pk_fma_f16 v35, v30, v80, v37
	v_pk_fma_f16 v37, v30, v219, v39
	v_pk_fma_f16 v39, v30, v81, v91
	v_pk_fma_f16 v87, v30, v220, v93
	v_pk_fma_f16 v88, v30, v82, v94
	v_pk_fma_f16 v89, v30, v221, v95
	v_pk_fma_f16 v28, v30, v83, v28
	v_pk_fma_f16 v30, v31, v218, v32
	v_pk_fma_f16 v32, v31, v80, v34
	v_pk_fma_f16 v34, v31, v219, v36
	v_pk_fma_f16 v36, v31, v81, v38
	v_pk_fma_f16 v38, v31, v220, v84
	v_pk_fma_f16 v80, v31, v82, v85
	v_pk_fma_f16 v81, v31, v221, v86
	v_pk_fma_f16 v29, v31, v83, v29
	v_mul_u32_u24_sdwa v226, v72, s78 dst_sel:DWORD dst_unused:UNUSED_PAD src0_sel:WORD_0 src1_sel:DWORD
	v_mul_u32_u24_sdwa v72, v72, s78 dst_sel:DWORD dst_unused:UNUSED_PAD src0_sel:WORD_1 src1_sel:DWORD
	v_mul_u32_u24_sdwa v227, v73, s78 dst_sel:DWORD dst_unused:UNUSED_PAD src0_sel:WORD_0 src1_sel:DWORD
	v_mul_u32_u24_sdwa v73, v73, s78 dst_sel:DWORD dst_unused:UNUSED_PAD src0_sel:WORD_1 src1_sel:DWORD
	v_mul_u32_u24_sdwa v228, v74, s78 dst_sel:DWORD dst_unused:UNUSED_PAD src0_sel:WORD_0 src1_sel:DWORD
	v_mul_u32_u24_sdwa v74, v74, s78 dst_sel:DWORD dst_unused:UNUSED_PAD src0_sel:WORD_1 src1_sel:DWORD
	v_mul_u32_u24_sdwa v229, v75, s78 dst_sel:DWORD dst_unused:UNUSED_PAD src0_sel:WORD_0 src1_sel:DWORD
	v_mul_u32_u24_sdwa v75, v75, s78 dst_sel:DWORD dst_unused:UNUSED_PAD src0_sel:WORD_1 src1_sel:DWORD
	v_pk_fma_f16 v31, v24, v222, v33
	v_pk_fma_f16 v33, v24, v76, v35
	v_pk_fma_f16 v35, v24, v223, v37
	v_pk_fma_f16 v37, v24, v77, v39
	v_pk_fma_f16 v39, v24, v224, v87
	v_pk_fma_f16 v82, v24, v78, v88
	v_pk_fma_f16 v83, v24, v225, v89
	v_pk_fma_f16 v24, v24, v79, v28
	v_pk_fma_f16 v28, v25, v222, v30
	v_pk_fma_f16 v30, v25, v76, v32
	v_pk_fma_f16 v32, v25, v223, v34
	v_pk_fma_f16 v34, v25, v77, v36
	v_pk_fma_f16 v36, v25, v224, v38
	v_pk_fma_f16 v38, v25, v78, v80
	v_pk_fma_f16 v76, v25, v225, v81
	v_pk_fma_f16 v25, v25, v79, v29
	v_mul_u32_u24_sdwa v230, v68, s78 dst_sel:DWORD dst_unused:UNUSED_PAD src0_sel:WORD_0 src1_sel:DWORD
	v_mul_u32_u24_sdwa v68, v68, s78 dst_sel:DWORD dst_unused:UNUSED_PAD src0_sel:WORD_1 src1_sel:DWORD
	v_mul_u32_u24_sdwa v231, v69, s78 dst_sel:DWORD dst_unused:UNUSED_PAD src0_sel:WORD_0 src1_sel:DWORD
	v_mul_u32_u24_sdwa v69, v69, s78 dst_sel:DWORD dst_unused:UNUSED_PAD src0_sel:WORD_1 src1_sel:DWORD
	v_mul_u32_u24_sdwa v232, v70, s78 dst_sel:DWORD dst_unused:UNUSED_PAD src0_sel:WORD_0 src1_sel:DWORD
	v_mul_u32_u24_sdwa v70, v70, s78 dst_sel:DWORD dst_unused:UNUSED_PAD src0_sel:WORD_1 src1_sel:DWORD
	v_mul_u32_u24_sdwa v233, v71, s78 dst_sel:DWORD dst_unused:UNUSED_PAD src0_sel:WORD_0 src1_sel:DWORD
	v_mul_u32_u24_sdwa v71, v71, s78 dst_sel:DWORD dst_unused:UNUSED_PAD src0_sel:WORD_1 src1_sel:DWORD
	v_pk_fma_f16 v29, v26, v226, v31
	v_pk_fma_f16 v31, v26, v72, v33
	v_pk_fma_f16 v33, v26, v227, v35
	v_pk_fma_f16 v35, v26, v73, v37
	v_pk_fma_f16 v37, v26, v228, v39
	v_pk_fma_f16 v39, v26, v74, v82
	v_pk_fma_f16 v77, v26, v229, v83
	v_pk_fma_f16 v24, v26, v75, v24
	v_pk_fma_f16 v26, v27, v226, v28
	v_pk_fma_f16 v28, v27, v72, v30
	v_pk_fma_f16 v30, v27, v227, v32
	v_pk_fma_f16 v32, v27, v73, v34
	v_pk_fma_f16 v34, v27, v228, v36
	v_pk_fma_f16 v36, v27, v74, v38
	v_pk_fma_f16 v38, v27, v229, v76
	v_pk_fma_f16 v25, v27, v75, v25
	v_mul_u32_u24_sdwa v234, v64, s78 dst_sel:DWORD dst_unused:UNUSED_PAD src0_sel:WORD_0 src1_sel:DWORD
	v_mul_u32_u24_sdwa v64, v64, s78 dst_sel:DWORD dst_unused:UNUSED_PAD src0_sel:WORD_1 src1_sel:DWORD
	v_mul_u32_u24_sdwa v235, v65, s78 dst_sel:DWORD dst_unused:UNUSED_PAD src0_sel:WORD_0 src1_sel:DWORD
	v_mul_u32_u24_sdwa v65, v65, s78 dst_sel:DWORD dst_unused:UNUSED_PAD src0_sel:WORD_1 src1_sel:DWORD
	v_mul_u32_u24_sdwa v236, v66, s78 dst_sel:DWORD dst_unused:UNUSED_PAD src0_sel:WORD_0 src1_sel:DWORD
	v_mul_u32_u24_sdwa v66, v66, s78 dst_sel:DWORD dst_unused:UNUSED_PAD src0_sel:WORD_1 src1_sel:DWORD
	v_mul_u32_u24_sdwa v237, v67, s78 dst_sel:DWORD dst_unused:UNUSED_PAD src0_sel:WORD_0 src1_sel:DWORD
	v_mul_u32_u24_sdwa v67, v67, s78 dst_sel:DWORD dst_unused:UNUSED_PAD src0_sel:WORD_1 src1_sel:DWORD
	v_pk_fma_f16 v27, v20, v230, v29
	v_pk_fma_f16 v29, v20, v68, v31
	v_pk_fma_f16 v31, v20, v231, v33
	v_pk_fma_f16 v33, v20, v69, v35
	v_pk_fma_f16 v35, v20, v232, v37
	v_pk_fma_f16 v37, v20, v70, v39
	v_pk_fma_f16 v39, v20, v233, v77
	v_pk_fma_f16 v20, v20, v71, v24
	v_pk_fma_f16 v24, v21, v230, v26
	v_pk_fma_f16 v26, v21, v68, v28
	v_pk_fma_f16 v28, v21, v231, v30
	v_pk_fma_f16 v30, v21, v69, v32
	v_pk_fma_f16 v32, v21, v232, v34
	v_pk_fma_f16 v34, v21, v70, v36
	v_pk_fma_f16 v36, v21, v233, v38
	v_pk_fma_f16 v21, v21, v71, v25
	v_mul_u32_u24_sdwa v238, v60, s78 dst_sel:DWORD dst_unused:UNUSED_PAD src0_sel:WORD_0 src1_sel:DWORD
	v_mul_u32_u24_sdwa v60, v60, s78 dst_sel:DWORD dst_unused:UNUSED_PAD src0_sel:WORD_1 src1_sel:DWORD
	v_mul_u32_u24_sdwa v239, v61, s78 dst_sel:DWORD dst_unused:UNUSED_PAD src0_sel:WORD_0 src1_sel:DWORD
	v_mul_u32_u24_sdwa v61, v61, s78 dst_sel:DWORD dst_unused:UNUSED_PAD src0_sel:WORD_1 src1_sel:DWORD
	v_mul_u32_u24_sdwa v240, v62, s78 dst_sel:DWORD dst_unused:UNUSED_PAD src0_sel:WORD_0 src1_sel:DWORD
	v_mul_u32_u24_sdwa v62, v62, s78 dst_sel:DWORD dst_unused:UNUSED_PAD src0_sel:WORD_1 src1_sel:DWORD
	v_mul_u32_u24_sdwa v241, v63, s78 dst_sel:DWORD dst_unused:UNUSED_PAD src0_sel:WORD_0 src1_sel:DWORD
	v_mul_u32_u24_sdwa v63, v63, s78 dst_sel:DWORD dst_unused:UNUSED_PAD src0_sel:WORD_1 src1_sel:DWORD
	v_pk_fma_f16 v25, v22, v234, v27
	v_pk_fma_f16 v27, v22, v64, v29
	v_pk_fma_f16 v29, v22, v235, v31
	v_pk_fma_f16 v31, v22, v65, v33
	v_pk_fma_f16 v33, v22, v236, v35
	v_pk_fma_f16 v35, v22, v66, v37
	v_pk_fma_f16 v37, v22, v237, v39
	v_pk_fma_f16 v20, v22, v67, v20
	v_pk_fma_f16 v22, v23, v234, v24
	v_pk_fma_f16 v24, v23, v64, v26
	v_pk_fma_f16 v26, v23, v235, v28
	v_pk_fma_f16 v28, v23, v65, v30
	v_pk_fma_f16 v30, v23, v236, v32
	v_pk_fma_f16 v32, v23, v66, v34
	v_pk_fma_f16 v34, v23, v237, v36
	v_pk_fma_f16 v21, v23, v67, v21
	v_mul_u32_u24_sdwa v242, v56, s78 dst_sel:DWORD dst_unused:UNUSED_PAD src0_sel:WORD_0 src1_sel:DWORD
	v_mul_u32_u24_sdwa v56, v56, s78 dst_sel:DWORD dst_unused:UNUSED_PAD src0_sel:WORD_1 src1_sel:DWORD
	v_mul_u32_u24_sdwa v243, v57, s78 dst_sel:DWORD dst_unused:UNUSED_PAD src0_sel:WORD_0 src1_sel:DWORD
	v_mul_u32_u24_sdwa v57, v57, s78 dst_sel:DWORD dst_unused:UNUSED_PAD src0_sel:WORD_1 src1_sel:DWORD
	v_mul_u32_u24_sdwa v244, v58, s78 dst_sel:DWORD dst_unused:UNUSED_PAD src0_sel:WORD_0 src1_sel:DWORD
	v_mul_u32_u24_sdwa v58, v58, s78 dst_sel:DWORD dst_unused:UNUSED_PAD src0_sel:WORD_1 src1_sel:DWORD
	v_mul_u32_u24_sdwa v245, v59, s78 dst_sel:DWORD dst_unused:UNUSED_PAD src0_sel:WORD_0 src1_sel:DWORD
	v_mul_u32_u24_sdwa v59, v59, s78 dst_sel:DWORD dst_unused:UNUSED_PAD src0_sel:WORD_1 src1_sel:DWORD
	v_pk_fma_f16 v23, v16, v238, v25
	v_pk_fma_f16 v25, v16, v60, v27
	v_pk_fma_f16 v27, v16, v239, v29
	v_pk_fma_f16 v29, v16, v61, v31
	v_pk_fma_f16 v31, v16, v240, v33
	v_pk_fma_f16 v33, v16, v62, v35
	v_pk_fma_f16 v35, v16, v241, v37
	v_pk_fma_f16 v16, v16, v63, v20
	v_pk_fma_f16 v20, v17, v238, v22
	v_pk_fma_f16 v22, v17, v60, v24
	v_pk_fma_f16 v24, v17, v239, v26
	v_pk_fma_f16 v26, v17, v61, v28
	v_pk_fma_f16 v28, v17, v240, v30
	v_pk_fma_f16 v30, v17, v62, v32
	v_pk_fma_f16 v32, v17, v241, v34
	v_pk_fma_f16 v17, v17, v63, v21
	v_mul_u32_u24_sdwa v246, v52, s78 dst_sel:DWORD dst_unused:UNUSED_PAD src0_sel:WORD_0 src1_sel:DWORD
	v_mul_u32_u24_sdwa v52, v52, s78 dst_sel:DWORD dst_unused:UNUSED_PAD src0_sel:WORD_1 src1_sel:DWORD
	v_mul_u32_u24_sdwa v247, v53, s78 dst_sel:DWORD dst_unused:UNUSED_PAD src0_sel:WORD_0 src1_sel:DWORD
	v_mul_u32_u24_sdwa v53, v53, s78 dst_sel:DWORD dst_unused:UNUSED_PAD src0_sel:WORD_1 src1_sel:DWORD
	v_mul_u32_u24_sdwa v248, v54, s78 dst_sel:DWORD dst_unused:UNUSED_PAD src0_sel:WORD_0 src1_sel:DWORD
	v_mul_u32_u24_sdwa v54, v54, s78 dst_sel:DWORD dst_unused:UNUSED_PAD src0_sel:WORD_1 src1_sel:DWORD
	v_mul_u32_u24_sdwa v249, v55, s78 dst_sel:DWORD dst_unused:UNUSED_PAD src0_sel:WORD_0 src1_sel:DWORD
	v_mul_u32_u24_sdwa v55, v55, s78 dst_sel:DWORD dst_unused:UNUSED_PAD src0_sel:WORD_1 src1_sel:DWORD
	v_pk_fma_f16 v21, v18, v242, v23
	v_pk_fma_f16 v23, v18, v56, v25
	v_pk_fma_f16 v25, v18, v243, v27
	v_pk_fma_f16 v27, v18, v57, v29
	v_pk_fma_f16 v29, v18, v244, v31
	v_pk_fma_f16 v31, v18, v58, v33
	v_pk_fma_f16 v33, v18, v245, v35
	v_pk_fma_f16 v16, v18, v59, v16
	v_pk_fma_f16 v18, v19, v242, v20
	v_pk_fma_f16 v20, v19, v56, v22
	v_pk_fma_f16 v22, v19, v243, v24
	v_pk_fma_f16 v24, v19, v57, v26
	v_pk_fma_f16 v26, v19, v244, v28
	v_pk_fma_f16 v28, v19, v58, v30
	v_pk_fma_f16 v30, v19, v245, v32
	v_pk_fma_f16 v17, v19, v59, v17
	v_mul_u32_u24_sdwa v250, v48, s78 dst_sel:DWORD dst_unused:UNUSED_PAD src0_sel:WORD_0 src1_sel:DWORD
	v_mul_u32_u24_sdwa v48, v48, s78 dst_sel:DWORD dst_unused:UNUSED_PAD src0_sel:WORD_1 src1_sel:DWORD
	v_mul_u32_u24_sdwa v251, v49, s78 dst_sel:DWORD dst_unused:UNUSED_PAD src0_sel:WORD_0 src1_sel:DWORD
	v_mul_u32_u24_sdwa v49, v49, s78 dst_sel:DWORD dst_unused:UNUSED_PAD src0_sel:WORD_1 src1_sel:DWORD
	v_mul_u32_u24_sdwa v252, v50, s78 dst_sel:DWORD dst_unused:UNUSED_PAD src0_sel:WORD_0 src1_sel:DWORD
	v_mul_u32_u24_sdwa v50, v50, s78 dst_sel:DWORD dst_unused:UNUSED_PAD src0_sel:WORD_1 src1_sel:DWORD
	v_mul_u32_u24_sdwa v253, v51, s78 dst_sel:DWORD dst_unused:UNUSED_PAD src0_sel:WORD_0 src1_sel:DWORD
	v_mul_u32_u24_sdwa v51, v51, s78 dst_sel:DWORD dst_unused:UNUSED_PAD src0_sel:WORD_1 src1_sel:DWORD
	v_pk_fma_f16 v19, v12, v246, v21
	v_pk_fma_f16 v21, v12, v52, v23
	v_pk_fma_f16 v23, v12, v247, v25
	v_pk_fma_f16 v25, v12, v53, v27
	v_pk_fma_f16 v27, v12, v248, v29
	v_pk_fma_f16 v29, v12, v54, v31
	v_pk_fma_f16 v31, v12, v249, v33
	v_pk_fma_f16 v12, v12, v55, v16
	v_pk_fma_f16 v16, v13, v246, v18
	v_pk_fma_f16 v18, v13, v52, v20
	v_pk_fma_f16 v20, v13, v247, v22
	v_pk_fma_f16 v22, v13, v53, v24
	v_pk_fma_f16 v24, v13, v248, v26
	v_pk_fma_f16 v26, v13, v54, v28
	v_pk_fma_f16 v28, v13, v249, v30
	v_pk_fma_f16 v13, v13, v55, v17
	v_mul_u32_u24_sdwa v254, v44, s78 dst_sel:DWORD dst_unused:UNUSED_PAD src0_sel:WORD_0 src1_sel:DWORD
	v_mul_u32_u24_sdwa v44, v44, s78 dst_sel:DWORD dst_unused:UNUSED_PAD src0_sel:WORD_1 src1_sel:DWORD
	v_mul_u32_u24_sdwa v255, v45, s78 dst_sel:DWORD dst_unused:UNUSED_PAD src0_sel:WORD_0 src1_sel:DWORD
	v_mul_u32_u24_sdwa v45, v45, s78 dst_sel:DWORD dst_unused:UNUSED_PAD src0_sel:WORD_1 src1_sel:DWORD
	v_mul_u32_u24_sdwa v105, v46, s78 dst_sel:DWORD dst_unused:UNUSED_PAD src0_sel:WORD_0 src1_sel:DWORD
	v_mul_u32_u24_sdwa v46, v46, s78 dst_sel:DWORD dst_unused:UNUSED_PAD src0_sel:WORD_1 src1_sel:DWORD
	v_mul_u32_u24_sdwa v127, v47, s78 dst_sel:DWORD dst_unused:UNUSED_PAD src0_sel:WORD_0 src1_sel:DWORD
	v_mul_u32_u24_sdwa v47, v47, s78 dst_sel:DWORD dst_unused:UNUSED_PAD src0_sel:WORD_1 src1_sel:DWORD
	v_pk_fma_f16 v17, v14, v250, v19
	v_pk_fma_f16 v19, v14, v48, v21
	v_pk_fma_f16 v21, v14, v251, v23
	v_pk_fma_f16 v23, v14, v49, v25
	v_pk_fma_f16 v25, v14, v252, v27
	v_pk_fma_f16 v27, v14, v50, v29
	v_pk_fma_f16 v29, v14, v253, v31
	v_pk_fma_f16 v12, v14, v51, v12
	v_pk_fma_f16 v14, v15, v250, v16
	v_pk_fma_f16 v16, v15, v48, v18
	v_pk_fma_f16 v18, v15, v251, v20
	v_pk_fma_f16 v20, v15, v49, v22
	v_pk_fma_f16 v22, v15, v252, v24
	v_pk_fma_f16 v24, v15, v50, v26
	v_pk_fma_f16 v26, v15, v253, v28
	v_pk_fma_f16 v13, v15, v51, v13
	v_mul_u32_u24_sdwa v148, v40, s78 dst_sel:DWORD dst_unused:UNUSED_PAD src0_sel:WORD_0 src1_sel:DWORD
	v_mul_u32_u24_sdwa v40, v40, s78 dst_sel:DWORD dst_unused:UNUSED_PAD src0_sel:WORD_1 src1_sel:DWORD
	v_mul_u32_u24_sdwa v149, v41, s78 dst_sel:DWORD dst_unused:UNUSED_PAD src0_sel:WORD_0 src1_sel:DWORD
	v_mul_u32_u24_sdwa v41, v41, s78 dst_sel:DWORD dst_unused:UNUSED_PAD src0_sel:WORD_1 src1_sel:DWORD
	v_mul_u32_u24_sdwa v104, v42, s78 dst_sel:DWORD dst_unused:UNUSED_PAD src0_sel:WORD_0 src1_sel:DWORD
	v_mul_u32_u24_sdwa v42, v42, s78 dst_sel:DWORD dst_unused:UNUSED_PAD src0_sel:WORD_1 src1_sel:DWORD
	v_mul_u32_u24_sdwa v151, v43, s78 dst_sel:DWORD dst_unused:UNUSED_PAD src0_sel:WORD_0 src1_sel:DWORD
	v_mul_u32_u24_sdwa v43, v43, s78 dst_sel:DWORD dst_unused:UNUSED_PAD src0_sel:WORD_1 src1_sel:DWORD
	v_pk_fma_f16 v15, v8, v254, v17
	v_pk_fma_f16 v17, v8, v44, v19
	v_pk_fma_f16 v19, v8, v255, v21
	v_pk_fma_f16 v21, v8, v45, v23
	v_pk_fma_f16 v23, v8, v105, v25
	v_pk_fma_f16 v25, v8, v46, v27
	v_pk_fma_f16 v27, v8, v127, v29
	v_pk_fma_f16 v8, v8, v47, v12
	v_pk_fma_f16 v12, v9, v254, v14
	v_pk_fma_f16 v14, v9, v44, v16
	v_pk_fma_f16 v16, v9, v255, v18
	v_pk_fma_f16 v18, v9, v45, v20
	v_pk_fma_f16 v20, v9, v105, v22
	v_pk_fma_f16 v22, v9, v46, v24
	v_pk_fma_f16 v24, v9, v127, v26
	v_pk_fma_f16 v9, v9, v47, v13
	v_pk_fma_f16 v28, v10, v148, v15
	v_pk_fma_f16 v29, v10, v40, v17
	;; [unrolled: 1-line block ×16, first 2 shown]
	s_waitcnt lgkmcnt(0)
	s_barrier
	ds_read_b128 v[8:11], v175 offset:256
	ds_read2_b64 v[12:15], v190 offset1:28
	ds_read_b128 v[16:19], v175 offset:272
	ds_read_b128 v[20:23], v175 offset:288
	;; [unrolled: 1-line block ×3, first 2 shown]
	s_waitcnt lgkmcnt(4)
	v_mul_u32_u24_sdwa v44, v8, s78 dst_sel:DWORD dst_unused:UNUSED_PAD src0_sel:WORD_0 src1_sel:DWORD
	v_mul_u32_u24_sdwa v8, v8, s78 dst_sel:DWORD dst_unused:UNUSED_PAD src0_sel:WORD_1 src1_sel:DWORD
	v_mul_u32_u24_sdwa v45, v9, s78 dst_sel:DWORD dst_unused:UNUSED_PAD src0_sel:WORD_0 src1_sel:DWORD
	v_mul_u32_u24_sdwa v9, v9, s78 dst_sel:DWORD dst_unused:UNUSED_PAD src0_sel:WORD_1 src1_sel:DWORD
	;; [unrolled: 2-line block ×4, first 2 shown]
	s_waitcnt lgkmcnt(3)
	v_pk_fma_f16 v28, v12, v44, v28
	v_pk_fma_f16 v29, v12, v8, v29
	;; [unrolled: 1-line block ×16, first 2 shown]
	s_waitcnt lgkmcnt(2)
	v_mul_u32_u24_sdwa v13, v16, s78 dst_sel:DWORD dst_unused:UNUSED_PAD src0_sel:WORD_0 src1_sel:DWORD
	v_mul_u32_u24_sdwa v16, v16, s78 dst_sel:DWORD dst_unused:UNUSED_PAD src0_sel:WORD_1 src1_sel:DWORD
	v_mul_u32_u24_sdwa v39, v17, s78 dst_sel:DWORD dst_unused:UNUSED_PAD src0_sel:WORD_0 src1_sel:DWORD
	v_mul_u32_u24_sdwa v17, v17, s78 dst_sel:DWORD dst_unused:UNUSED_PAD src0_sel:WORD_1 src1_sel:DWORD
	;; [unrolled: 2-line block ×4, first 2 shown]
	v_pk_fma_f16 v28, v14, v13, v28
	v_pk_fma_f16 v29, v14, v16, v29
	v_pk_fma_f16 v30, v14, v39, v30
	v_pk_fma_f16 v31, v14, v17, v31
	v_pk_fma_f16 v32, v14, v40, v32
	v_pk_fma_f16 v33, v14, v18, v33
	v_pk_fma_f16 v34, v14, v41, v34
	v_pk_fma_f16 v12, v14, v19, v12
	v_pk_fma_f16 v13, v15, v13, v35
	v_pk_fma_f16 v14, v15, v16, v8
	v_pk_fma_f16 v16, v15, v39, v36
	v_pk_fma_f16 v17, v15, v17, v9
	v_pk_fma_f16 v35, v15, v40, v37
	v_pk_fma_f16 v18, v15, v18, v10
	v_pk_fma_f16 v36, v15, v41, v38
	v_pk_fma_f16 v15, v15, v19, v11
	ds_read2_b64 v[8:11], v190 offset0:56 offset1:84
	s_waitcnt lgkmcnt(2)
	v_mul_u32_u24_sdwa v19, v20, s78 dst_sel:DWORD dst_unused:UNUSED_PAD src0_sel:WORD_0 src1_sel:DWORD
	v_mul_u32_u24_sdwa v20, v20, s78 dst_sel:DWORD dst_unused:UNUSED_PAD src0_sel:WORD_1 src1_sel:DWORD
	v_mul_u32_u24_sdwa v37, v21, s78 dst_sel:DWORD dst_unused:UNUSED_PAD src0_sel:WORD_0 src1_sel:DWORD
	v_mul_u32_u24_sdwa v21, v21, s78 dst_sel:DWORD dst_unused:UNUSED_PAD src0_sel:WORD_1 src1_sel:DWORD
	;; [unrolled: 2-line block ×4, first 2 shown]
	s_waitcnt lgkmcnt(0)
	v_pk_fma_f16 v28, v8, v19, v28
	v_pk_fma_f16 v29, v8, v20, v29
	;; [unrolled: 1-line block ×16, first 2 shown]
	v_mul_u32_u24_sdwa v15, v24, s78 dst_sel:DWORD dst_unused:UNUSED_PAD src0_sel:WORD_0 src1_sel:DWORD
	v_mul_u32_u24_sdwa v20, v24, s78 dst_sel:DWORD dst_unused:UNUSED_PAD src0_sel:WORD_1 src1_sel:DWORD
	v_mul_u32_u24_sdwa v21, v25, s78 dst_sel:DWORD dst_unused:UNUSED_PAD src0_sel:WORD_0 src1_sel:DWORD
	v_mul_u32_u24_sdwa v22, v25, s78 dst_sel:DWORD dst_unused:UNUSED_PAD src0_sel:WORD_1 src1_sel:DWORD
	;; [unrolled: 2-line block ×4, first 2 shown]
	v_pk_fma_f16 v27, v10, v15, v28
	v_pk_fma_f16 v28, v10, v20, v29
	;; [unrolled: 1-line block ×6, first 2 shown]
	ds_read_b128 v[12:15], v175 offset:320
	v_pk_fma_f16 v30, v10, v22, v31
	v_pk_fma_f16 v31, v10, v23, v32
	;; [unrolled: 1-line block ×10, first 2 shown]
	ds_read2_b64 v[8:11], v190 offset0:112 offset1:140
	ds_read_b128 v[16:19], v175 offset:336
	s_waitcnt lgkmcnt(2)
	v_mul_u32_u24_sdwa v36, v12, s78 dst_sel:DWORD dst_unused:UNUSED_PAD src0_sel:WORD_0 src1_sel:DWORD
	v_mul_u32_u24_sdwa v12, v12, s78 dst_sel:DWORD dst_unused:UNUSED_PAD src0_sel:WORD_1 src1_sel:DWORD
	v_mul_u32_u24_sdwa v37, v13, s78 dst_sel:DWORD dst_unused:UNUSED_PAD src0_sel:WORD_0 src1_sel:DWORD
	v_mul_u32_u24_sdwa v13, v13, s78 dst_sel:DWORD dst_unused:UNUSED_PAD src0_sel:WORD_1 src1_sel:DWORD
	;; [unrolled: 2-line block ×4, first 2 shown]
	s_waitcnt lgkmcnt(1)
	v_pk_fma_f16 v27, v8, v36, v27
	v_pk_fma_f16 v28, v8, v12, v28
	;; [unrolled: 1-line block ×16, first 2 shown]
	s_waitcnt lgkmcnt(0)
	v_mul_u32_u24_sdwa v15, v16, s78 dst_sel:DWORD dst_unused:UNUSED_PAD src0_sel:WORD_0 src1_sel:DWORD
	v_mul_u32_u24_sdwa v16, v16, s78 dst_sel:DWORD dst_unused:UNUSED_PAD src0_sel:WORD_1 src1_sel:DWORD
	v_mul_u32_u24_sdwa v23, v17, s78 dst_sel:DWORD dst_unused:UNUSED_PAD src0_sel:WORD_0 src1_sel:DWORD
	v_mul_u32_u24_sdwa v17, v17, s78 dst_sel:DWORD dst_unused:UNUSED_PAD src0_sel:WORD_1 src1_sel:DWORD
	;; [unrolled: 2-line block ×4, first 2 shown]
	v_pk_fma_f16 v26, v10, v15, v27
	v_pk_fma_f16 v27, v10, v16, v28
	;; [unrolled: 1-line block ×11, first 2 shown]
	ds_read_b128 v[12:15], v175 offset:352
	v_pk_fma_f16 v31, v10, v18, v32
	v_pk_fma_f16 v32, v10, v25, v33
	v_pk_fma_f16 v33, v10, v19, v8
	v_pk_fma_f16 v22, v11, v25, v22
	v_pk_fma_f16 v25, v11, v19, v9
	ds_read2_b64 v[8:11], v190 offset0:168 offset1:196
	ds_read_b128 v[16:19], v175 offset:368
	s_waitcnt lgkmcnt(2)
	v_mul_u32_u24_sdwa v36, v12, s78 dst_sel:DWORD dst_unused:UNUSED_PAD src0_sel:WORD_0 src1_sel:DWORD
	v_mul_u32_u24_sdwa v12, v12, s78 dst_sel:DWORD dst_unused:UNUSED_PAD src0_sel:WORD_1 src1_sel:DWORD
	v_mul_u32_u24_sdwa v37, v13, s78 dst_sel:DWORD dst_unused:UNUSED_PAD src0_sel:WORD_0 src1_sel:DWORD
	v_mul_u32_u24_sdwa v13, v13, s78 dst_sel:DWORD dst_unused:UNUSED_PAD src0_sel:WORD_1 src1_sel:DWORD
	v_mul_u32_u24_sdwa v38, v14, s78 dst_sel:DWORD dst_unused:UNUSED_PAD src0_sel:WORD_0 src1_sel:DWORD
	v_mul_u32_u24_sdwa v14, v14, s78 dst_sel:DWORD dst_unused:UNUSED_PAD src0_sel:WORD_1 src1_sel:DWORD
	v_mul_u32_u24_sdwa v39, v15, s78 dst_sel:DWORD dst_unused:UNUSED_PAD src0_sel:WORD_0 src1_sel:DWORD
	v_mul_u32_u24_sdwa v15, v15, s78 dst_sel:DWORD dst_unused:UNUSED_PAD src0_sel:WORD_1 src1_sel:DWORD
	s_waitcnt lgkmcnt(1)
	v_pk_fma_f16 v26, v8, v36, v26
	v_pk_fma_f16 v27, v8, v12, v27
	v_pk_fma_f16 v28, v8, v37, v28
	v_pk_fma_f16 v29, v8, v13, v29
	v_pk_fma_f16 v30, v8, v38, v30
	v_pk_fma_f16 v31, v8, v14, v31
	v_pk_fma_f16 v32, v8, v39, v32
	v_pk_fma_f16 v8, v8, v15, v33
	v_pk_fma_f16 v33, v9, v36, v34
	v_pk_fma_f16 v12, v9, v12, v35
	v_pk_fma_f16 v20, v9, v37, v20
	v_pk_fma_f16 v13, v9, v13, v23
	v_pk_fma_f16 v21, v9, v38, v21
	v_pk_fma_f16 v14, v9, v14, v24
	v_pk_fma_f16 v22, v9, v39, v22
	v_pk_fma_f16 v9, v9, v15, v25
	s_waitcnt lgkmcnt(0)
	v_mul_u32_u24_sdwa v15, v16, s78 dst_sel:DWORD dst_unused:UNUSED_PAD src0_sel:WORD_0 src1_sel:DWORD
	v_mul_u32_u24_sdwa v16, v16, s78 dst_sel:DWORD dst_unused:UNUSED_PAD src0_sel:WORD_1 src1_sel:DWORD
	v_mul_u32_u24_sdwa v23, v17, s78 dst_sel:DWORD dst_unused:UNUSED_PAD src0_sel:WORD_0 src1_sel:DWORD
	v_mul_u32_u24_sdwa v17, v17, s78 dst_sel:DWORD dst_unused:UNUSED_PAD src0_sel:WORD_1 src1_sel:DWORD
	v_mul_u32_u24_sdwa v24, v18, s78 dst_sel:DWORD dst_unused:UNUSED_PAD src0_sel:WORD_0 src1_sel:DWORD
	v_mul_u32_u24_sdwa v18, v18, s78 dst_sel:DWORD dst_unused:UNUSED_PAD src0_sel:WORD_1 src1_sel:DWORD
	v_mul_u32_u24_sdwa v25, v19, s78 dst_sel:DWORD dst_unused:UNUSED_PAD src0_sel:WORD_0 src1_sel:DWORD
	v_mul_u32_u24_sdwa v19, v19, s78 dst_sel:DWORD dst_unused:UNUSED_PAD src0_sel:WORD_1 src1_sel:DWORD
	v_pk_fma_f16 v26, v10, v15, v26
	v_pk_fma_f16 v28, v10, v23, v28
	v_pk_fma_f16 v30, v10, v24, v30
	v_pk_fma_f16 v33, v11, v15, v33
	v_pk_fma_f16 v35, v11, v16, v12
	v_pk_fma_f16 v20, v11, v23, v20
	v_pk_fma_f16 v23, v11, v17, v13
	v_pk_fma_f16 v21, v11, v24, v21
	v_pk_fma_f16 v24, v11, v18, v14
	ds_read_b128 v[12:15], v175 offset:384
	v_pk_fma_f16 v27, v10, v16, v27
	v_pk_fma_f16 v29, v10, v17, v29
	v_pk_fma_f16 v31, v10, v18, v31
	v_pk_fma_f16 v32, v10, v25, v32
	v_pk_fma_f16 v34, v10, v19, v8
	v_pk_fma_f16 v22, v11, v25, v22
	v_pk_fma_f16 v25, v11, v19, v9
	ds_read2_b64 v[8:11], v190 offset0:224 offset1:252
	ds_read_b128 v[16:19], v175 offset:400
	s_waitcnt lgkmcnt(2)
	v_mul_u32_u24_sdwa v36, v12, s78 dst_sel:DWORD dst_unused:UNUSED_PAD src0_sel:WORD_0 src1_sel:DWORD
	v_mul_u32_u24_sdwa v12, v12, s78 dst_sel:DWORD dst_unused:UNUSED_PAD src0_sel:WORD_1 src1_sel:DWORD
	v_mul_u32_u24_sdwa v37, v13, s78 dst_sel:DWORD dst_unused:UNUSED_PAD src0_sel:WORD_0 src1_sel:DWORD
	v_mul_u32_u24_sdwa v13, v13, s78 dst_sel:DWORD dst_unused:UNUSED_PAD src0_sel:WORD_1 src1_sel:DWORD
	v_mul_u32_u24_sdwa v38, v14, s78 dst_sel:DWORD dst_unused:UNUSED_PAD src0_sel:WORD_0 src1_sel:DWORD
	v_mul_u32_u24_sdwa v14, v14, s78 dst_sel:DWORD dst_unused:UNUSED_PAD src0_sel:WORD_1 src1_sel:DWORD
	v_mul_u32_u24_sdwa v39, v15, s78 dst_sel:DWORD dst_unused:UNUSED_PAD src0_sel:WORD_0 src1_sel:DWORD
	v_mul_u32_u24_sdwa v15, v15, s78 dst_sel:DWORD dst_unused:UNUSED_PAD src0_sel:WORD_1 src1_sel:DWORD
	s_waitcnt lgkmcnt(1)
	v_pk_fma_f16 v26, v8, v36, v26
	v_pk_fma_f16 v27, v8, v12, v27
	v_pk_fma_f16 v28, v8, v37, v28
	v_pk_fma_f16 v29, v8, v13, v29
	v_pk_fma_f16 v30, v8, v38, v30
	v_pk_fma_f16 v31, v8, v14, v31
	v_pk_fma_f16 v32, v8, v39, v32
	v_pk_fma_f16 v8, v8, v15, v34
	v_pk_fma_f16 v33, v9, v36, v33
	v_pk_fma_f16 v12, v9, v12, v35
	v_pk_fma_f16 v20, v9, v37, v20
	v_pk_fma_f16 v13, v9, v13, v23
	v_pk_fma_f16 v21, v9, v38, v21
	v_pk_fma_f16 v14, v9, v14, v24
	v_pk_fma_f16 v22, v9, v39, v22
	v_pk_fma_f16 v9, v9, v15, v25
	s_waitcnt lgkmcnt(0)
	v_mul_u32_u24_sdwa v15, v16, s78 dst_sel:DWORD dst_unused:UNUSED_PAD src0_sel:WORD_0 src1_sel:DWORD
	v_mul_u32_u24_sdwa v16, v16, s78 dst_sel:DWORD dst_unused:UNUSED_PAD src0_sel:WORD_1 src1_sel:DWORD
	v_mul_u32_u24_sdwa v23, v17, s78 dst_sel:DWORD dst_unused:UNUSED_PAD src0_sel:WORD_0 src1_sel:DWORD
	v_mul_u32_u24_sdwa v17, v17, s78 dst_sel:DWORD dst_unused:UNUSED_PAD src0_sel:WORD_1 src1_sel:DWORD
	v_mul_u32_u24_sdwa v24, v18, s78 dst_sel:DWORD dst_unused:UNUSED_PAD src0_sel:WORD_0 src1_sel:DWORD
	v_mul_u32_u24_sdwa v18, v18, s78 dst_sel:DWORD dst_unused:UNUSED_PAD src0_sel:WORD_1 src1_sel:DWORD
	v_mul_u32_u24_sdwa v25, v19, s78 dst_sel:DWORD dst_unused:UNUSED_PAD src0_sel:WORD_0 src1_sel:DWORD
	v_mul_u32_u24_sdwa v19, v19, s78 dst_sel:DWORD dst_unused:UNUSED_PAD src0_sel:WORD_1 src1_sel:DWORD
	v_pk_fma_f16 v26, v10, v15, v26
	v_pk_fma_f16 v28, v10, v23, v28
	v_pk_fma_f16 v30, v10, v24, v30
	v_pk_fma_f16 v33, v11, v15, v33
	v_pk_fma_f16 v35, v11, v16, v12
	v_pk_fma_f16 v20, v11, v23, v20
	v_pk_fma_f16 v23, v11, v17, v13
	v_pk_fma_f16 v21, v11, v24, v21
	v_pk_fma_f16 v24, v11, v18, v14
	ds_read_b128 v[12:15], v175 offset:416
	v_pk_fma_f16 v27, v10, v16, v27
	v_pk_fma_f16 v29, v10, v17, v29
	v_pk_fma_f16 v31, v10, v18, v31
	v_pk_fma_f16 v32, v10, v25, v32
	v_pk_fma_f16 v34, v10, v19, v8
	v_pk_fma_f16 v22, v11, v25, v22
	v_pk_fma_f16 v25, v11, v19, v9
	ds_read2_b64 v[8:11], v189 offset0:24 offset1:52
	ds_read_b128 v[16:19], v175 offset:432
	s_waitcnt lgkmcnt(2)
	v_mul_u32_u24_sdwa v36, v12, s78 dst_sel:DWORD dst_unused:UNUSED_PAD src0_sel:WORD_0 src1_sel:DWORD
	v_mul_u32_u24_sdwa v12, v12, s78 dst_sel:DWORD dst_unused:UNUSED_PAD src0_sel:WORD_1 src1_sel:DWORD
	v_mul_u32_u24_sdwa v37, v13, s78 dst_sel:DWORD dst_unused:UNUSED_PAD src0_sel:WORD_0 src1_sel:DWORD
	v_mul_u32_u24_sdwa v13, v13, s78 dst_sel:DWORD dst_unused:UNUSED_PAD src0_sel:WORD_1 src1_sel:DWORD
	v_mul_u32_u24_sdwa v38, v14, s78 dst_sel:DWORD dst_unused:UNUSED_PAD src0_sel:WORD_0 src1_sel:DWORD
	v_mul_u32_u24_sdwa v14, v14, s78 dst_sel:DWORD dst_unused:UNUSED_PAD src0_sel:WORD_1 src1_sel:DWORD
	v_mul_u32_u24_sdwa v39, v15, s78 dst_sel:DWORD dst_unused:UNUSED_PAD src0_sel:WORD_0 src1_sel:DWORD
	v_mul_u32_u24_sdwa v15, v15, s78 dst_sel:DWORD dst_unused:UNUSED_PAD src0_sel:WORD_1 src1_sel:DWORD
	s_waitcnt lgkmcnt(1)
	v_pk_fma_f16 v26, v8, v36, v26
	v_pk_fma_f16 v27, v8, v12, v27
	v_pk_fma_f16 v28, v8, v37, v28
	v_pk_fma_f16 v29, v8, v13, v29
	v_pk_fma_f16 v30, v8, v38, v30
	v_pk_fma_f16 v31, v8, v14, v31
	v_pk_fma_f16 v32, v8, v39, v32
	v_pk_fma_f16 v8, v8, v15, v34
	v_pk_fma_f16 v33, v9, v36, v33
	v_pk_fma_f16 v12, v9, v12, v35
	v_pk_fma_f16 v20, v9, v37, v20
	v_pk_fma_f16 v13, v9, v13, v23
	v_pk_fma_f16 v21, v9, v38, v21
	v_pk_fma_f16 v14, v9, v14, v24
	v_pk_fma_f16 v22, v9, v39, v22
	v_pk_fma_f16 v9, v9, v15, v25
	s_waitcnt lgkmcnt(0)
	v_mul_u32_u24_sdwa v15, v16, s78 dst_sel:DWORD dst_unused:UNUSED_PAD src0_sel:WORD_0 src1_sel:DWORD
	v_mul_u32_u24_sdwa v16, v16, s78 dst_sel:DWORD dst_unused:UNUSED_PAD src0_sel:WORD_1 src1_sel:DWORD
	v_mul_u32_u24_sdwa v23, v17, s78 dst_sel:DWORD dst_unused:UNUSED_PAD src0_sel:WORD_0 src1_sel:DWORD
	v_mul_u32_u24_sdwa v17, v17, s78 dst_sel:DWORD dst_unused:UNUSED_PAD src0_sel:WORD_1 src1_sel:DWORD
	v_mul_u32_u24_sdwa v24, v18, s78 dst_sel:DWORD dst_unused:UNUSED_PAD src0_sel:WORD_0 src1_sel:DWORD
	v_mul_u32_u24_sdwa v18, v18, s78 dst_sel:DWORD dst_unused:UNUSED_PAD src0_sel:WORD_1 src1_sel:DWORD
	v_mul_u32_u24_sdwa v25, v19, s78 dst_sel:DWORD dst_unused:UNUSED_PAD src0_sel:WORD_0 src1_sel:DWORD
	v_mul_u32_u24_sdwa v19, v19, s78 dst_sel:DWORD dst_unused:UNUSED_PAD src0_sel:WORD_1 src1_sel:DWORD
	v_pk_fma_f16 v26, v10, v15, v26
	v_pk_fma_f16 v28, v10, v23, v28
	v_pk_fma_f16 v30, v10, v24, v30
	v_pk_fma_f16 v33, v11, v15, v33
	v_pk_fma_f16 v35, v11, v16, v12
	v_pk_fma_f16 v20, v11, v23, v20
	v_pk_fma_f16 v23, v11, v17, v13
	v_pk_fma_f16 v21, v11, v24, v21
	v_pk_fma_f16 v24, v11, v18, v14
	ds_read_b128 v[12:15], v175 offset:448
	v_pk_fma_f16 v27, v10, v16, v27
	v_pk_fma_f16 v29, v10, v17, v29
	v_pk_fma_f16 v31, v10, v18, v31
	v_pk_fma_f16 v32, v10, v25, v32
	;; [unrolled: 1-line block ×5, first 2 shown]
	ds_read2_b64 v[8:11], v189 offset0:80 offset1:108
	ds_read_b128 v[16:19], v175 offset:464
	s_waitcnt lgkmcnt(2)
	v_mul_u32_u24_sdwa v36, v12, s78 dst_sel:DWORD dst_unused:UNUSED_PAD src0_sel:WORD_0 src1_sel:DWORD
	v_mul_u32_u24_sdwa v12, v12, s78 dst_sel:DWORD dst_unused:UNUSED_PAD src0_sel:WORD_1 src1_sel:DWORD
	v_mul_u32_u24_sdwa v37, v13, s78 dst_sel:DWORD dst_unused:UNUSED_PAD src0_sel:WORD_0 src1_sel:DWORD
	v_mul_u32_u24_sdwa v13, v13, s78 dst_sel:DWORD dst_unused:UNUSED_PAD src0_sel:WORD_1 src1_sel:DWORD
	v_mul_u32_u24_sdwa v38, v14, s78 dst_sel:DWORD dst_unused:UNUSED_PAD src0_sel:WORD_0 src1_sel:DWORD
	v_mul_u32_u24_sdwa v14, v14, s78 dst_sel:DWORD dst_unused:UNUSED_PAD src0_sel:WORD_1 src1_sel:DWORD
	v_mul_u32_u24_sdwa v39, v15, s78 dst_sel:DWORD dst_unused:UNUSED_PAD src0_sel:WORD_0 src1_sel:DWORD
	v_mul_u32_u24_sdwa v15, v15, s78 dst_sel:DWORD dst_unused:UNUSED_PAD src0_sel:WORD_1 src1_sel:DWORD
	s_waitcnt lgkmcnt(1)
	v_pk_fma_f16 v26, v8, v36, v26
	v_pk_fma_f16 v27, v8, v12, v27
	;; [unrolled: 1-line block ×16, first 2 shown]
	s_waitcnt lgkmcnt(0)
	v_mul_u32_u24_sdwa v15, v16, s78 dst_sel:DWORD dst_unused:UNUSED_PAD src0_sel:WORD_0 src1_sel:DWORD
	v_mul_u32_u24_sdwa v16, v16, s78 dst_sel:DWORD dst_unused:UNUSED_PAD src0_sel:WORD_1 src1_sel:DWORD
	v_mul_u32_u24_sdwa v23, v17, s78 dst_sel:DWORD dst_unused:UNUSED_PAD src0_sel:WORD_0 src1_sel:DWORD
	v_mul_u32_u24_sdwa v17, v17, s78 dst_sel:DWORD dst_unused:UNUSED_PAD src0_sel:WORD_1 src1_sel:DWORD
	v_mul_u32_u24_sdwa v24, v18, s78 dst_sel:DWORD dst_unused:UNUSED_PAD src0_sel:WORD_0 src1_sel:DWORD
	v_mul_u32_u24_sdwa v18, v18, s78 dst_sel:DWORD dst_unused:UNUSED_PAD src0_sel:WORD_1 src1_sel:DWORD
	v_mul_u32_u24_sdwa v25, v19, s78 dst_sel:DWORD dst_unused:UNUSED_PAD src0_sel:WORD_0 src1_sel:DWORD
	v_mul_u32_u24_sdwa v19, v19, s78 dst_sel:DWORD dst_unused:UNUSED_PAD src0_sel:WORD_1 src1_sel:DWORD
	v_pk_fma_f16 v26, v10, v15, v26
	v_pk_fma_f16 v27, v10, v16, v27
	;; [unrolled: 1-line block ×14, first 2 shown]
	ds_read_b128 v[12:15], v175 offset:480
	v_pk_fma_f16 v22, v11, v25, v22
	v_pk_fma_f16 v25, v11, v19, v9
	ds_read2_b64 v[8:11], v189 offset0:136 offset1:164
	ds_read_b128 v[16:19], v175 offset:496
	s_waitcnt lgkmcnt(0)
	s_barrier
	s_load_dword s14, s[50:51], 0x4
	v_mul_u32_u24_sdwa v36, v12, s78 dst_sel:DWORD dst_unused:UNUSED_PAD src0_sel:WORD_0 src1_sel:DWORD
	v_mul_u32_u24_sdwa v12, v12, s78 dst_sel:DWORD dst_unused:UNUSED_PAD src0_sel:WORD_1 src1_sel:DWORD
	v_mul_u32_u24_sdwa v37, v13, s78 dst_sel:DWORD dst_unused:UNUSED_PAD src0_sel:WORD_0 src1_sel:DWORD
	v_mul_u32_u24_sdwa v13, v13, s78 dst_sel:DWORD dst_unused:UNUSED_PAD src0_sel:WORD_1 src1_sel:DWORD
	;; [unrolled: 2-line block ×4, first 2 shown]
	s_waitcnt lgkmcnt(0)
	s_lshl_b32 s14, s14, 5
	v_pk_fma_f16 v26, v8, v36, v26
	v_pk_fma_f16 v27, v8, v12, v27
	;; [unrolled: 1-line block ×16, first 2 shown]
	v_mul_u32_u24_sdwa v15, v16, s78 dst_sel:DWORD dst_unused:UNUSED_PAD src0_sel:WORD_0 src1_sel:DWORD
	v_mul_u32_u24_sdwa v16, v16, s78 dst_sel:DWORD dst_unused:UNUSED_PAD src0_sel:WORD_1 src1_sel:DWORD
	v_mul_u32_u24_sdwa v23, v17, s78 dst_sel:DWORD dst_unused:UNUSED_PAD src0_sel:WORD_0 src1_sel:DWORD
	v_mul_u32_u24_sdwa v17, v17, s78 dst_sel:DWORD dst_unused:UNUSED_PAD src0_sel:WORD_1 src1_sel:DWORD
	;; [unrolled: 2-line block ×4, first 2 shown]
	s_add_i32 s2, s14, s2
	v_pk_fma_f32 v[106:107], v[106:107], v[146:147], v[138:139]
	v_pk_fma_f32 v[108:109], v[108:109], v[144:145], v[136:137]
	;; [unrolled: 1-line block ×4, first 2 shown]
	v_pk_fma_f16 v176, v10, v15, v26
	v_pk_fma_f16 v166, v10, v16, v27
	;; [unrolled: 1-line block ×15, first 2 shown]
	s_cmp_ge_i32 s2, s70
	v_pk_fma_f16 v153, v11, v19, v9
	s_cbranch_scc1 .LBB17_46
; %bb.36:                               ;   in Loop: Header=BB17_19 Depth=1
	v_mov_b32_e32 v8, v0
	v_mov_b32_e32 v15, v1
	;; [unrolled: 1-line block ×8, first 2 shown]
	s_branch .LBB17_19
.LBB17_37:                              ;   in Loop: Header=BB17_19 Depth=1
	global_load_dwordx4 v[0:3], v[4:5], off offset:96
	s_waitcnt vmcnt(0)
	ds_write_b128 v170, v[0:3]
	s_or_b64 exec, exec, s[16:17]
	v_lshl_add_u64 v[0:1], v[116:117], 2, s[14:15]
	s_and_saveexec_b64 s[16:17], s[4:5]
	s_cbranch_execz .LBB17_21
.LBB17_38:                              ;   in Loop: Header=BB17_19 Depth=1
	v_lshl_add_u64 v[2:3], v[0:1], 0, v[118:119]
	global_load_dwordx4 v[16:19], v[2:3], off offset:64
	s_waitcnt vmcnt(0)
	ds_write_b128 v171, v[16:19]
	s_or_b64 exec, exec, s[16:17]
	v_lshl_add_u64 v[2:3], v[120:121], 2, s[14:15]
	s_and_saveexec_b64 s[14:15], s[6:7]
	s_cbranch_execnz .LBB17_22
	s_branch .LBB17_23
.LBB17_39:                              ;   in Loop: Header=BB17_19 Depth=1
	global_load_dwordx4 v[22:25], v[4:5], off offset:208
	s_waitcnt vmcnt(0)
	ds_write_b128 v170, v[22:25]
	s_or_b64 exec, exec, s[14:15]
	s_and_saveexec_b64 s[14:15], s[4:5]
	s_cbranch_execz .LBB17_25
.LBB17_40:                              ;   in Loop: Header=BB17_19 Depth=1
	v_lshl_add_u64 v[0:1], v[0:1], 0, v[118:119]
	global_load_dwordx4 v[22:25], v[0:1], off offset:176
	s_waitcnt vmcnt(0)
	ds_write_b128 v171, v[22:25]
	s_or_b64 exec, exec, s[14:15]
	s_and_saveexec_b64 s[14:15], s[6:7]
	s_cbranch_execnz .LBB17_26
	s_branch .LBB17_27
.LBB17_41:                              ;   in Loop: Header=BB17_19 Depth=1
	v_lshl_add_u64 v[16:17], v[122:123], 2, s[14:15]
	v_lshl_add_u64 v[16:17], v[16:17], 0, v[118:119]
	global_load_dwordx4 v[16:19], v[16:17], off offset:192
	s_waitcnt vmcnt(0)
	ds_write_b128 v177, v[16:19]
	s_or_b64 exec, exec, s[16:17]
	s_and_saveexec_b64 s[16:17], s[10:11]
	s_cbranch_execz .LBB17_29
.LBB17_42:                              ;   in Loop: Header=BB17_19 Depth=1
	v_lshl_add_u64 v[16:17], v[124:125], 2, s[14:15]
	v_mov_b32_e32 v131, v119
	v_lshl_add_u64 v[16:17], v[16:17], 0, v[130:131]
	global_load_dwordx4 v[16:19], v[16:17], off offset:128
	s_waitcnt vmcnt(0)
	ds_write_b128 v178, v[16:19]
	s_or_b64 exec, exec, s[16:17]
	v_lshlrev_b32_e32 v140, 2, v126
	s_and_saveexec_b64 s[16:17], s[12:13]
	s_cbranch_execnz .LBB17_30
	s_branch .LBB17_31
.LBB17_43:                              ;   in Loop: Header=BB17_19 Depth=1
	v_lshl_add_u64 v[194:195], v[122:123], 2, s[52:53]
	v_lshl_add_u64 v[194:195], v[194:195], 0, v[118:119]
	global_load_dwordx4 v[194:197], v[194:195], off offset:192
	s_waitcnt vmcnt(0)
	ds_write_b128 v177, v[194:197]
	s_or_b64 exec, exec, s[54:55]
	s_and_saveexec_b64 s[54:55], s[10:11]
	s_cbranch_execz .LBB17_33
.LBB17_44:                              ;   in Loop: Header=BB17_19 Depth=1
	v_lshl_add_u64 v[194:195], v[124:125], 2, s[52:53]
	v_mov_b32_e32 v131, v119
	v_lshl_add_u64 v[194:195], v[194:195], 0, v[130:131]
	global_load_dwordx4 v[194:197], v[194:195], off offset:128
	s_waitcnt vmcnt(0)
	ds_write_b128 v178, v[194:197]
	s_or_b64 exec, exec, s[54:55]
	s_and_saveexec_b64 s[54:55], s[12:13]
	s_cbranch_execnz .LBB17_34
	s_branch .LBB17_35
.LBB17_45:
	v_mov_b32_e32 v107, 0
	v_mov_b32_e32 v176, 0
	;; [unrolled: 1-line block ×32, first 2 shown]
.LBB17_46:
	v_cmp_lt_i32_e32 vcc, v184, v183
	s_cmp_lg_u64 s[56:57], 0
	s_cselect_b64 s[4:5], -1, 0
	v_cndmask_b32_e32 v8, v163, v184, vcc
	v_lshlrev_b32_e32 v17, 2, v8
	ds_bpermute_b32 v12, v17, v110
	ds_bpermute_b32 v13, v17, v111
	v_cmp_lt_i32_e32 vcc, v188, v183
	ds_bpermute_b32 v8, v17, v112
	ds_bpermute_b32 v9, v17, v113
	v_cndmask_b32_e32 v10, v163, v188, vcc
	v_cmp_lt_i32_e32 vcc, v187, v183
	v_lshlrev_b32_e32 v23, 2, v10
	s_waitcnt lgkmcnt(2)
	v_pk_add_f32 v[12:13], v[110:111], v[12:13]
	v_cndmask_b32_e32 v10, v163, v187, vcc
	v_cmp_lt_i32_e32 vcc, v186, v183
	ds_bpermute_b32 v15, v23, v13
	v_lshlrev_b32_e32 v24, 2, v10
	v_cndmask_b32_e32 v14, v163, v186, vcc
	v_lshlrev_b32_e32 v25, 2, v14
	ds_bpermute_b32 v14, v23, v12
	ds_bpermute_b32 v18, v17, v106
	;; [unrolled: 1-line block ×3, first 2 shown]
	s_waitcnt lgkmcnt(4)
	v_pk_add_f32 v[8:9], v[112:113], v[8:9]
	v_cmp_lt_i32_e32 vcc, v185, v183
	s_waitcnt lgkmcnt(2)
	v_pk_add_f32 v[12:13], v[12:13], v[14:15]
	ds_bpermute_b32 v14, v24, v12
	ds_bpermute_b32 v15, v24, v13
	s_waitcnt lgkmcnt(2)
	v_pk_add_f32 v[18:19], v[106:107], v[18:19]
	ds_bpermute_b32 v10, v23, v8
	ds_bpermute_b32 v11, v23, v9
	v_cndmask_b32_e32 v16, v163, v185, vcc
	s_waitcnt lgkmcnt(2)
	v_pk_add_f32 v[12:13], v[12:13], v[14:15]
	ds_bpermute_b32 v14, v17, v108
	ds_bpermute_b32 v15, v17, v109
	;; [unrolled: 1-line block ×3, first 2 shown]
	v_lshlrev_b32_e32 v27, 2, v16
	ds_bpermute_b32 v16, v25, v12
	ds_bpermute_b32 v17, v25, v13
	s_waitcnt lgkmcnt(3)
	v_pk_add_f32 v[14:15], v[108:109], v[14:15]
	ds_bpermute_b32 v20, v23, v14
	ds_bpermute_b32 v21, v23, v15
	;; [unrolled: 1-line block ×3, first 2 shown]
	v_pk_add_f32 v[8:9], v[8:9], v[10:11]
	ds_bpermute_b32 v10, v24, v8
	ds_bpermute_b32 v11, v24, v9
	s_waitcnt lgkmcnt(3)
	v_pk_add_f32 v[14:15], v[14:15], v[20:21]
	s_waitcnt lgkmcnt(2)
	v_pk_add_f32 v[18:19], v[18:19], v[22:23]
	v_pk_add_f32 v[12:13], v[12:13], v[16:17]
	ds_bpermute_b32 v16, v24, v14
	ds_bpermute_b32 v17, v24, v15
	;; [unrolled: 1-line block ×4, first 2 shown]
	s_waitcnt lgkmcnt(4)
	v_pk_add_f32 v[8:9], v[8:9], v[10:11]
	ds_bpermute_b32 v10, v25, v8
	s_waitcnt lgkmcnt(3)
	v_pk_add_f32 v[14:15], v[14:15], v[16:17]
	ds_bpermute_b32 v11, v25, v9
	;; [unrolled: 3-line block ×3, first 2 shown]
	ds_bpermute_b32 v17, v25, v15
	ds_bpermute_b32 v20, v25, v18
	;; [unrolled: 1-line block ×3, first 2 shown]
	s_waitcnt lgkmcnt(4)
	v_pk_add_f32 v[8:9], v[8:9], v[10:11]
	ds_bpermute_b32 v10, v27, v8
	s_waitcnt lgkmcnt(3)
	v_pk_add_f32 v[14:15], v[14:15], v[16:17]
	ds_bpermute_b32 v11, v27, v9
	;; [unrolled: 3-line block ×3, first 2 shown]
	ds_bpermute_b32 v23, v27, v13
	ds_bpermute_b32 v16, v27, v14
	;; [unrolled: 1-line block ×5, first 2 shown]
	s_cmp_eq_u32 s3, 0
	s_cselect_b64 s[6:7], -1, 0
	s_and_b64 s[4:5], s[6:7], s[4:5]
	s_waitcnt lgkmcnt(6)
	v_pk_add_f32 v[24:25], v[8:9], v[10:11]
	s_waitcnt lgkmcnt(4)
	v_pk_add_f32 v[22:23], v[12:13], v[22:23]
	;; [unrolled: 2-line block ×4, first 2 shown]
	s_and_b64 vcc, exec, s[4:5]
	s_cbranch_vccz .LBB17_48
; %bb.47:
	s_ashr_i32 s69, s68, 31
	s_lshl_b64 s[4:5], s[68:69], 2
	s_add_u32 s4, s56, s4
	s_addc_u32 s5, s57, s5
	v_mov_b32_e32 v8, 0
	global_load_dwordx4 v[14:17], v8, s[4:5]
	v_max_f32_e32 v8, v0, v0
	v_max_f32_e32 v9, v1, v1
	s_mov_b32 s5, 0x3fb8aa3b
	v_max_f32_e32 v10, v2, v2
	s_mov_b32 s2, 0xc2ce8ed0
	s_mov_b32 s4, 0x42b17218
	v_mov_b32_e32 v32, 0x7f800000
	s_waitcnt vmcnt(0)
	v_max_f32_e32 v12, v14, v14
	v_max_f32_e32 v8, v8, v12
	;; [unrolled: 1-line block ×3, first 2 shown]
	v_sub_f32_e32 v0, v0, v8
	v_max_f32_e32 v9, v9, v13
	v_sub_f32_e32 v11, v14, v8
	v_mul_f32_e32 v26, 0x3fb8aa3b, v0
	v_max_f32_e32 v33, v16, v16
	v_sub_f32_e32 v1, v1, v9
	v_mul_f32_e32 v29, 0x3fb8aa3b, v11
	v_fma_f32 v36, v0, s5, -v26
	v_rndne_f32_e32 v37, v26
	v_max_f32_e32 v10, v10, v33
	v_sub_f32_e32 v27, v15, v9
	v_mul_f32_e32 v30, 0x3fb8aa3b, v1
	v_fma_f32 v38, v11, s5, -v29
	v_rndne_f32_e32 v39, v29
	v_fmac_f32_e32 v36, 0x32a5705f, v0
	v_sub_f32_e32 v26, v26, v37
	v_sub_f32_e32 v2, v2, v10
	v_mul_f32_e32 v31, 0x3fb8aa3b, v27
	v_fma_f32 v40, v1, s5, -v30
	v_rndne_f32_e32 v41, v30
	v_fmac_f32_e32 v38, 0x32a5705f, v11
	v_sub_f32_e32 v29, v29, v39
	v_add_f32_e32 v26, v26, v36
	v_mul_f32_e32 v34, 0x3fb8aa3b, v2
	v_fma_f32 v42, v27, s5, -v31
	v_rndne_f32_e32 v43, v31
	v_cvt_i32_f32_e32 v37, v37
	v_fmac_f32_e32 v40, 0x32a5705f, v1
	v_sub_f32_e32 v30, v30, v41
	v_add_f32_e32 v29, v29, v38
	v_exp_f32_e32 v26, v26
	v_fma_f32 v44, v2, s5, -v34
	v_rndne_f32_e32 v45, v34
	v_cvt_i32_f32_e32 v39, v39
	v_fmac_f32_e32 v42, 0x32a5705f, v27
	v_sub_f32_e32 v31, v31, v43
	v_add_f32_e32 v30, v30, v40
	v_exp_f32_e32 v29, v29
	v_cvt_i32_f32_e32 v41, v41
	v_fmac_f32_e32 v44, 0x32a5705f, v2
	v_sub_f32_e32 v34, v34, v45
	v_add_f32_e32 v31, v31, v42
	v_exp_f32_e32 v30, v30
	v_cvt_i32_f32_e32 v43, v43
	v_add_f32_e32 v34, v34, v44
	v_exp_f32_e32 v31, v31
	v_cvt_i32_f32_e32 v45, v45
	v_exp_f32_e32 v34, v34
	v_ldexp_f32 v26, v26, v37
	v_cmp_ngt_f32_e32 vcc, s2, v0
	v_ldexp_f32 v29, v29, v39
	v_ldexp_f32 v30, v30, v41
	v_cndmask_b32_e32 v26, 0, v26, vcc
	v_cmp_ngt_f32_e32 vcc, s2, v11
	v_sub_f32_e32 v28, v16, v10
	v_ldexp_f32 v31, v31, v43
	v_cndmask_b32_e32 v29, 0, v29, vcc
	v_cmp_ngt_f32_e32 vcc, s2, v1
	v_mul_f32_e32 v35, 0x3fb8aa3b, v28
	v_ldexp_f32 v34, v34, v45
	v_cndmask_b32_e32 v30, 0, v30, vcc
	v_cmp_ngt_f32_e32 vcc, s2, v27
	v_fma_f32 v46, v28, s5, -v35
	v_rndne_f32_e32 v47, v35
	v_cndmask_b32_e32 v31, 0, v31, vcc
	v_cmp_ngt_f32_e32 vcc, s2, v2
	v_fmac_f32_e32 v46, 0x32a5705f, v28
	v_sub_f32_e32 v35, v35, v47
	v_cndmask_b32_e32 v34, 0, v34, vcc
	v_cmp_nlt_f32_e32 vcc, s4, v0
	v_add_f32_e32 v35, v35, v46
	v_cvt_i32_f32_e32 v47, v47
	v_cndmask_b32_e32 v0, v32, v26, vcc
	v_cmp_nlt_f32_e32 vcc, s4, v11
	v_cvt_f16_f32_e32 v11, v0
	v_exp_f32_e32 v35, v35
	v_cndmask_b32_e32 v26, v32, v29, vcc
	v_cmp_nlt_f32_e32 vcc, s4, v1
	v_mul_u32_u24_e32 v11, 0x10001, v11
	v_pk_mul_f16 v176, v176, v11
	v_cndmask_b32_e32 v1, v32, v30, vcc
	v_cmp_nlt_f32_e32 vcc, s4, v27
	v_pk_mul_f16 v180, v180, v11
	v_ldexp_f32 v11, v35, v47
	v_cndmask_b32_e32 v27, v32, v31, vcc
	v_cmp_nlt_f32_e32 vcc, s4, v2
	v_cvt_f16_f32_e32 v29, v1
	v_pk_fma_f32 v[24:25], v[24:25], v[0:1], v[26:27]
	v_cndmask_b32_e32 v2, v32, v34, vcc
	v_cmp_ngt_f32_e32 vcc, s2, v28
	v_max_f32_e32 v34, v17, v17
	v_mul_u32_u24_e32 v29, 0x10001, v29
	v_cndmask_b32_e32 v11, 0, v11, vcc
	v_cmp_nlt_f32_e32 vcc, s4, v28
	v_pk_mul_f16 v166, v166, v29
	v_pk_mul_f16 v167, v167, v29
	v_cndmask_b32_e32 v28, v32, v11, vcc
	v_max_f32_e32 v11, v3, v3
	v_max_f32_e32 v11, v11, v34
	v_sub_f32_e32 v3, v3, v11
	v_mul_f32_e32 v30, 0x3fb8aa3b, v3
	v_fma_f32 v31, v3, s5, -v30
	v_rndne_f32_e32 v35, v30
	v_fmac_f32_e32 v31, 0x32a5705f, v3
	v_sub_f32_e32 v30, v30, v35
	v_cvt_f16_f32_e32 v29, v2
	v_add_f32_e32 v30, v30, v31
	v_exp_f32_e32 v30, v30
	v_cvt_i32_f32_e32 v31, v35
	v_mul_u32_u24_e32 v29, 0x10001, v29
	v_pk_mul_f16 v164, v164, v29
	v_pk_mul_f16 v165, v165, v29
	v_ldexp_f32 v29, v30, v31
	v_sub_f32_e32 v30, v17, v11
	v_mul_f32_e32 v31, 0x3fb8aa3b, v30
	v_fma_f32 v35, v30, s5, -v31
	v_rndne_f32_e32 v36, v31
	v_fmac_f32_e32 v35, 0x32a5705f, v30
	v_sub_f32_e32 v31, v31, v36
	v_add_f32_e32 v31, v31, v35
	v_exp_f32_e32 v31, v31
	v_cvt_i32_f32_e32 v35, v36
	v_cmp_ngt_f32_e32 vcc, s2, v3
	s_nop 1
	v_cndmask_b32_e32 v29, 0, v29, vcc
	v_cmp_nlt_f32_e32 vcc, s4, v3
	s_nop 1
	v_cndmask_b32_e32 v3, v32, v29, vcc
	v_ldexp_f32 v29, v31, v35
	v_max_f32_e32 v31, v4, v4
	v_max_f32_e32 v12, v31, v12
	v_sub_f32_e32 v4, v4, v12
	v_mul_f32_e32 v31, 0x3fb8aa3b, v4
	v_fma_f32 v35, v4, s5, -v31
	v_rndne_f32_e32 v36, v31
	v_cmp_ngt_f32_e32 vcc, s2, v30
	v_fmac_f32_e32 v35, 0x32a5705f, v4
	v_sub_f32_e32 v31, v31, v36
	v_cndmask_b32_e32 v29, 0, v29, vcc
	v_cmp_nlt_f32_e32 vcc, s4, v30
	v_cvt_f16_f32_e32 v30, v3
	v_add_f32_e32 v31, v31, v35
	v_exp_f32_e32 v31, v31
	v_cvt_i32_f32_e32 v35, v36
	v_mul_u32_u24_e32 v30, 0x10001, v30
	v_sub_f32_e32 v14, v14, v12
	v_pk_mul_f16 v161, v161, v30
	v_pk_mul_f16 v162, v162, v30
	v_ldexp_f32 v30, v31, v35
	v_mul_f32_e32 v31, 0x3fb8aa3b, v14
	v_fma_f32 v35, v14, s5, -v31
	v_rndne_f32_e32 v36, v31
	v_fmac_f32_e32 v35, 0x32a5705f, v14
	v_sub_f32_e32 v31, v31, v36
	v_add_f32_e32 v31, v31, v35
	v_exp_f32_e32 v31, v31
	v_cvt_i32_f32_e32 v35, v36
	v_cndmask_b32_e32 v29, v32, v29, vcc
	v_cmp_ngt_f32_e32 vcc, s2, v4
	v_pk_fma_f32 v[22:23], v[22:23], v[2:3], v[28:29]
	s_nop 0
	v_cndmask_b32_e32 v30, 0, v30, vcc
	v_cmp_nlt_f32_e32 vcc, s4, v4
	s_nop 1
	v_cndmask_b32_e32 v4, v32, v30, vcc
	v_ldexp_f32 v30, v31, v35
	v_max_f32_e32 v31, v5, v5
	v_max_f32_e32 v13, v31, v13
	v_sub_f32_e32 v5, v5, v13
	v_mul_f32_e32 v31, 0x3fb8aa3b, v5
	v_fma_f32 v35, v5, s5, -v31
	v_rndne_f32_e32 v36, v31
	v_cmp_ngt_f32_e32 vcc, s2, v14
	v_fmac_f32_e32 v35, 0x32a5705f, v5
	v_sub_f32_e32 v31, v31, v36
	v_cndmask_b32_e32 v30, 0, v30, vcc
	v_cmp_nlt_f32_e32 vcc, s4, v14
	v_cvt_f16_f32_e32 v14, v4
	v_add_f32_e32 v31, v31, v35
	v_exp_f32_e32 v31, v31
	v_cvt_i32_f32_e32 v35, v36
	v_mul_u32_u24_e32 v14, 0x10001, v14
	v_sub_f32_e32 v15, v15, v13
	v_pk_mul_f16 v159, v159, v14
	v_pk_mul_f16 v160, v160, v14
	v_ldexp_f32 v14, v31, v35
	v_mul_f32_e32 v31, 0x3fb8aa3b, v15
	v_fma_f32 v35, v15, s5, -v31
	v_rndne_f32_e32 v36, v31
	v_fmac_f32_e32 v35, 0x32a5705f, v15
	v_sub_f32_e32 v31, v31, v36
	v_add_f32_e32 v31, v31, v35
	v_exp_f32_e32 v31, v31
	v_cvt_i32_f32_e32 v35, v36
	v_cndmask_b32_e32 v30, v32, v30, vcc
	v_cmp_ngt_f32_e32 vcc, s2, v5
	s_nop 1
	v_cndmask_b32_e32 v14, 0, v14, vcc
	v_cmp_nlt_f32_e32 vcc, s4, v5
	s_nop 1
	v_cndmask_b32_e32 v5, v32, v14, vcc
	v_ldexp_f32 v14, v31, v35
	v_cmp_ngt_f32_e32 vcc, s2, v15
	s_nop 1
	v_cndmask_b32_e32 v14, 0, v14, vcc
	v_cmp_nlt_f32_e32 vcc, s4, v15
	v_cvt_f16_f32_e32 v15, v5
	v_mul_u32_u24_e32 v15, 0x10001, v15
	v_cndmask_b32_e32 v31, v32, v14, vcc
	v_max_f32_e32 v14, v6, v6
	v_max_f32_e32 v14, v14, v33
	v_sub_f32_e32 v6, v6, v14
	v_mul_f32_e32 v33, 0x3fb8aa3b, v6
	v_fma_f32 v35, v6, s5, -v33
	v_rndne_f32_e32 v36, v33
	v_fmac_f32_e32 v35, 0x32a5705f, v6
	v_sub_f32_e32 v33, v33, v36
	v_add_f32_e32 v33, v33, v35
	v_exp_f32_e32 v33, v33
	v_cvt_i32_f32_e32 v35, v36
	v_sub_f32_e32 v16, v16, v14
	v_pk_mul_f16 v157, v157, v15
	v_pk_mul_f16 v158, v158, v15
	v_ldexp_f32 v15, v33, v35
	v_mul_f32_e32 v33, 0x3fb8aa3b, v16
	v_fma_f32 v35, v16, s5, -v33
	v_rndne_f32_e32 v36, v33
	v_fmac_f32_e32 v35, 0x32a5705f, v16
	v_sub_f32_e32 v33, v33, v36
	v_add_f32_e32 v33, v33, v35
	v_exp_f32_e32 v33, v33
	v_cvt_i32_f32_e32 v35, v36
	v_cmp_ngt_f32_e32 vcc, s2, v6
	v_pk_fma_f32 v[20:21], v[20:21], v[4:5], v[30:31]
	s_nop 0
	v_cndmask_b32_e32 v15, 0, v15, vcc
	v_cmp_nlt_f32_e32 vcc, s4, v6
	s_nop 1
	v_cndmask_b32_e32 v6, v32, v15, vcc
	v_ldexp_f32 v15, v33, v35
	v_cmp_ngt_f32_e32 vcc, s2, v16
	v_cvt_f16_f32_e32 v33, v6
	v_mul_u32_u24_e32 v33, 0x10001, v33
	v_cndmask_b32_e32 v15, 0, v15, vcc
	v_cmp_nlt_f32_e32 vcc, s4, v16
	v_pk_mul_f16 v155, v155, v33
	v_pk_mul_f16 v156, v156, v33
	v_cndmask_b32_e32 v16, v32, v15, vcc
	v_max_f32_e32 v15, v7, v7
	v_max_f32_e32 v15, v15, v34
	v_sub_f32_e32 v7, v7, v15
	v_mul_f32_e32 v34, 0x3fb8aa3b, v7
	v_fma_f32 v35, v7, s5, -v34
	v_rndne_f32_e32 v36, v34
	v_fmac_f32_e32 v35, 0x32a5705f, v7
	v_sub_f32_e32 v34, v34, v36
	v_add_f32_e32 v34, v34, v35
	v_exp_f32_e32 v34, v34
	v_cvt_i32_f32_e32 v35, v36
	v_sub_f32_e32 v17, v17, v15
	v_cmp_ngt_f32_e32 vcc, s2, v7
	v_ldexp_f32 v33, v34, v35
	v_mul_f32_e32 v34, 0x3fb8aa3b, v17
	v_fma_f32 v35, v17, s5, -v34
	v_rndne_f32_e32 v36, v34
	v_fmac_f32_e32 v35, 0x32a5705f, v17
	v_sub_f32_e32 v34, v34, v36
	v_add_f32_e32 v34, v34, v35
	v_exp_f32_e32 v34, v34
	v_cvt_i32_f32_e32 v35, v36
	v_cndmask_b32_e32 v33, 0, v33, vcc
	v_cmp_nlt_f32_e32 vcc, s4, v7
	s_nop 1
	v_cndmask_b32_e32 v7, v32, v33, vcc
	v_ldexp_f32 v33, v34, v35
	v_cvt_f16_f32_e32 v34, v7
	v_cmp_ngt_f32_e32 vcc, s2, v17
	s_nop 1
	v_cndmask_b32_e32 v33, 0, v33, vcc
	v_cmp_nlt_f32_e32 vcc, s4, v17
	s_nop 1
	v_cndmask_b32_e32 v17, v32, v33, vcc
	v_mul_u32_u24_e32 v32, 0x10001, v34
	v_pk_fma_f32 v[18:19], v[18:19], v[6:7], v[16:17]
	v_mov_b64_e32 v[0:1], v[8:9]
	v_pk_mul_f16 v152, v152, v32
	v_pk_mul_f16 v153, v153, v32
	v_mov_b64_e32 v[2:3], v[10:11]
	v_mov_b64_e32 v[4:5], v[12:13]
	;; [unrolled: 1-line block ×3, first 2 shown]
.LBB17_48:
	scratch_load_dword v31, off, off        ; 4-byte Folded Reload
	scratch_load_dword v8, off, off offset:4 ; 4-byte Folded Reload
	v_lshlrev_b32_e32 v30, 2, v150
	s_waitcnt vmcnt(0)
	v_lshlrev_b32_e32 v9, 1, v8
	v_add_u32_e32 v8, s33, v9
	v_cmp_gt_i32_e32 vcc, s66, v8
	s_and_saveexec_b64 s[4:5], vcc
	s_cbranch_execz .LBB17_97
; %bb.49:
	s_load_dword s2, s[0:1], 0xd4
	v_mov_b32_e32 v8, 1.0
	s_waitcnt lgkmcnt(0)
	s_cmp_lg_u32 s2, 1
	s_cselect_b64 s[0:1], -1, 0
	s_cmp_eq_u32 s2, 1
	s_cselect_b64 s[6:7], -1, 0
	s_and_b64 vcc, exec, s[0:1]
	s_cbranch_vccnz .LBB17_51
; %bb.50:
	v_div_scale_f32 v8, s[4:5], v24, v24, 1.0
	v_rcp_f32_e32 v10, v8
	v_div_scale_f32 v11, vcc, 1.0, v24, 1.0
	v_fma_f32 v12, -v8, v10, 1.0
	v_fmac_f32_e32 v10, v12, v10
	v_mul_f32_e32 v12, v11, v10
	v_fma_f32 v13, -v8, v12, v11
	v_fmac_f32_e32 v12, v13, v10
	v_fma_f32 v8, -v8, v12, v11
	v_div_fmas_f32 v8, v8, v10, v12
	v_div_fixup_f32 v8, v8, v24, 1.0
.LBB17_51:
	s_mul_i32 s8, s74, s66
	s_add_i32 s8, s8, s33
	v_add_u32_e32 v9, s8, v9
	v_mul_lo_u32 v12, v9, s67
	v_add_u32_e32 v9, s68, v12
	v_mul_lo_u32 v9, s2, v9
	v_add_u32_e32 v10, s3, v9
	s_and_saveexec_b64 s[4:5], s[48:49]
	s_cbranch_execz .LBB17_53
; %bb.52:
	v_cvt_f32_f16_sdwa v17, v176 dst_sel:DWORD dst_unused:UNUSED_PAD src0_sel:WORD_1
	v_cvt_f32_f16_e32 v16, v176
	v_cvt_f32_f16_sdwa v27, v180 dst_sel:DWORD dst_unused:UNUSED_PAD src0_sel:WORD_1
	v_cvt_f32_f16_e32 v26, v180
	s_movk_i32 s9, 0x70
	v_mad_u64_u32 v[14:15], s[10:11], v10, s9, v[30:31]
	v_mov_b32_e32 v15, 0
	v_lshl_add_u64 v[28:29], v[14:15], 2, s[60:61]
	v_pk_mul_f32 v[14:15], v[8:9], v[16:17] op_sel_hi:[0,1]
	v_pk_mul_f32 v[16:17], v[8:9], v[26:27] op_sel_hi:[0,1]
	global_store_dwordx4 v[28:29], v[14:17], off
.LBB17_53:
	s_or_b64 exec, exec, s[4:5]
	v_cmp_eq_u32_e32 vcc, 0, v150
	s_and_b64 s[4:5], vcc, s[0:1]
	s_and_saveexec_b64 s[0:1], s[4:5]
	s_cbranch_execz .LBB17_55
; %bb.54:
	v_ashrrev_i32_e32 v11, 31, v10
	v_lshl_add_u64 v[8:9], v[10:11], 3, s[62:63]
	v_mov_b32_e32 v10, v0
	v_mov_b32_e32 v11, v24
	global_store_dwordx2 v[8:9], v[10:11], off
.LBB17_55:
	s_or_b64 exec, exec, s[0:1]
	v_cndmask_b32_e64 v0, 0, 1, s[6:7]
	v_cmp_ne_u32_e64 s[0:1], 1, v0
	s_andn2_b64 vcc, exec, s[6:7]
	v_mov_b32_e32 v0, 1.0
	s_cbranch_vccnz .LBB17_57
; %bb.56:
	v_div_scale_f32 v0, s[6:7], v25, v25, 1.0
	v_rcp_f32_e32 v8, v0
	v_div_scale_f32 v9, vcc, 1.0, v25, 1.0
	v_fma_f32 v10, -v0, v8, 1.0
	v_fmac_f32_e32 v8, v10, v8
	v_mul_f32_e32 v10, v9, v8
	v_fma_f32 v11, -v0, v10, v9
	v_fmac_f32_e32 v10, v11, v8
	v_fma_f32 v0, -v0, v10, v9
	v_div_fmas_f32 v0, v0, v8, v10
	v_div_fixup_f32 v0, v0, v25, 1.0
.LBB17_57:
	s_add_i32 s11, s68, 1
	v_add_u32_e32 v8, s11, v12
	v_mul_lo_u32 v8, s2, v8
	v_add_u32_e32 v8, s3, v8
	s_and_saveexec_b64 s[6:7], s[48:49]
	s_cbranch_execnz .LBB17_98
; %bb.58:
	s_or_b64 exec, exec, s[6:7]
	s_and_saveexec_b64 s[6:7], s[4:5]
	s_cbranch_execnz .LBB17_99
.LBB17_59:
	s_or_b64 exec, exec, s[6:7]
	s_and_b64 vcc, exec, s[0:1]
	v_mov_b32_e32 v8, 1.0
	s_cbranch_vccnz .LBB17_61
.LBB17_60:
	v_div_scale_f32 v0, s[6:7], v22, v22, 1.0
	v_rcp_f32_e32 v1, v0
	v_div_scale_f32 v8, vcc, 1.0, v22, 1.0
	v_fma_f32 v9, -v0, v1, 1.0
	v_fmac_f32_e32 v1, v9, v1
	v_mul_f32_e32 v9, v8, v1
	v_fma_f32 v10, -v0, v9, v8
	v_fmac_f32_e32 v9, v10, v1
	v_fma_f32 v0, -v0, v9, v8
	v_div_fmas_f32 v0, v0, v1, v9
	v_div_fixup_f32 v8, v0, v22, 1.0
.LBB17_61:
	s_add_i32 s10, s68, 2
	v_add_u32_e32 v0, s10, v12
	v_mul_lo_u32 v0, s2, v0
	v_add_u32_e32 v0, s3, v0
	s_and_saveexec_b64 s[6:7], s[48:49]
	s_cbranch_execnz .LBB17_100
; %bb.62:
	s_or_b64 exec, exec, s[6:7]
	s_and_saveexec_b64 s[6:7], s[4:5]
	s_cbranch_execnz .LBB17_101
.LBB17_63:
	s_or_b64 exec, exec, s[6:7]
	s_and_b64 vcc, exec, s[0:1]
	v_mov_b32_e32 v2, 1.0
	s_cbranch_vccnz .LBB17_65
.LBB17_64:
	v_div_scale_f32 v0, s[6:7], v23, v23, 1.0
	v_rcp_f32_e32 v1, v0
	v_div_scale_f32 v2, vcc, 1.0, v23, 1.0
	v_fma_f32 v8, -v0, v1, 1.0
	v_fmac_f32_e32 v1, v8, v1
	v_mul_f32_e32 v8, v2, v1
	v_fma_f32 v9, -v0, v8, v2
	v_fmac_f32_e32 v8, v9, v1
	v_fma_f32 v0, -v0, v8, v2
	v_div_fmas_f32 v0, v0, v1, v8
	v_div_fixup_f32 v2, v0, v23, 1.0
.LBB17_65:
	s_add_i32 s9, s68, 3
	v_add_u32_e32 v0, s9, v12
	v_mul_lo_u32 v0, s2, v0
	v_add_u32_e32 v0, s3, v0
	s_and_saveexec_b64 s[6:7], s[48:49]
	s_cbranch_execz .LBB17_67
; %bb.66:
	v_cvt_f32_f16_sdwa v11, v161 dst_sel:DWORD dst_unused:UNUSED_PAD src0_sel:WORD_1
	v_cvt_f32_f16_e32 v10, v161
	v_cvt_f32_f16_sdwa v13, v162 dst_sel:DWORD dst_unused:UNUSED_PAD src0_sel:WORD_1
	v_cvt_f32_f16_e32 v12, v162
	s_movk_i32 s12, 0x70
	v_mad_u64_u32 v[8:9], s[12:13], v0, s12, v[30:31]
	v_mov_b32_e32 v9, 0
	v_lshl_add_u64 v[14:15], v[8:9], 2, s[60:61]
	v_pk_mul_f32 v[8:9], v[2:3], v[10:11] op_sel_hi:[0,1]
	v_pk_mul_f32 v[10:11], v[2:3], v[12:13] op_sel_hi:[0,1]
	global_store_dwordx4 v[14:15], v[8:11], off
.LBB17_67:
	s_or_b64 exec, exec, s[6:7]
	s_and_saveexec_b64 s[6:7], s[4:5]
	s_cbranch_execz .LBB17_69
; %bb.68:
	v_ashrrev_i32_e32 v1, 31, v0
	v_lshl_add_u64 v[0:1], v[0:1], 3, s[62:63]
	v_mov_b32_e32 v22, v3
	global_store_dwordx2 v[0:1], v[22:23], off
.LBB17_69:
	s_or_b64 exec, exec, s[6:7]
	v_add_u32_e32 v0, s33, v31
	v_cmp_gt_i32_e32 vcc, s66, v0
	s_and_b64 exec, exec, vcc
	s_cbranch_execz .LBB17_97
; %bb.70:
	s_and_b64 vcc, exec, s[0:1]
	v_mov_b32_e32 v2, 1.0
	s_cbranch_vccnz .LBB17_72
; %bb.71:
	v_div_scale_f32 v0, s[6:7], v20, v20, 1.0
	v_rcp_f32_e32 v1, v0
	v_div_scale_f32 v2, vcc, 1.0, v20, 1.0
	v_fma_f32 v3, -v0, v1, 1.0
	v_fmac_f32_e32 v1, v3, v1
	v_mul_f32_e32 v3, v2, v1
	v_fma_f32 v8, -v0, v3, v2
	v_fmac_f32_e32 v3, v8, v1
	v_fma_f32 v0, -v0, v3, v2
	v_div_fmas_f32 v0, v0, v1, v3
	v_div_fixup_f32 v2, v0, v20, 1.0
.LBB17_72:
	v_add_u32_e32 v0, s8, v31
	v_mul_lo_u32 v0, v0, s67
	v_add_u32_e32 v0, s68, v0
	v_mul_lo_u32 v0, s2, v0
	v_add_u32_e32 v0, s3, v0
	s_and_saveexec_b64 s[6:7], s[48:49]
	s_cbranch_execz .LBB17_74
; %bb.73:
	v_cvt_f32_f16_sdwa v11, v159 dst_sel:DWORD dst_unused:UNUSED_PAD src0_sel:WORD_1
	v_cvt_f32_f16_e32 v10, v159
	v_cvt_f32_f16_sdwa v13, v160 dst_sel:DWORD dst_unused:UNUSED_PAD src0_sel:WORD_1
	v_cvt_f32_f16_e32 v12, v160
	s_movk_i32 s12, 0x70
	v_mad_u64_u32 v[8:9], s[12:13], v0, s12, v[30:31]
	v_mov_b32_e32 v9, 0
	v_lshl_add_u64 v[14:15], v[8:9], 2, s[60:61]
	v_pk_mul_f32 v[8:9], v[2:3], v[10:11] op_sel_hi:[0,1]
	v_pk_mul_f32 v[10:11], v[2:3], v[12:13] op_sel_hi:[0,1]
	global_store_dwordx4 v[14:15], v[8:11], off
.LBB17_74:
	s_or_b64 exec, exec, s[6:7]
	s_and_saveexec_b64 s[6:7], s[4:5]
	s_cbranch_execz .LBB17_76
; %bb.75:
	v_ashrrev_i32_e32 v1, 31, v0
	v_lshl_add_u64 v[0:1], v[0:1], 3, s[62:63]
	v_mov_b32_e32 v2, v4
	v_mov_b32_e32 v3, v20
	global_store_dwordx2 v[0:1], v[2:3], off
.LBB17_76:
	s_or_b64 exec, exec, s[6:7]
	scratch_load_dword v0, off, off offset:8 ; 4-byte Folded Reload
	s_waitcnt vmcnt(0)
	v_lshrrev_b32_e32 v0, 2, v0
	v_add_u32_e32 v1, s33, v0
	v_cmp_gt_i32_e32 vcc, s66, v1
	s_and_b64 exec, exec, vcc
	s_cbranch_execz .LBB17_97
; %bb.77:
	s_and_b64 vcc, exec, s[0:1]
	v_mov_b32_e32 v2, 1.0
	s_cbranch_vccnz .LBB17_79
; %bb.78:
	v_div_scale_f32 v1, s[6:7], v21, v21, 1.0
	v_rcp_f32_e32 v2, v1
	v_div_scale_f32 v3, vcc, 1.0, v21, 1.0
	v_fma_f32 v4, -v1, v2, 1.0
	v_fmac_f32_e32 v2, v4, v2
	v_mul_f32_e32 v4, v3, v2
	v_fma_f32 v8, -v1, v4, v3
	v_fmac_f32_e32 v4, v8, v2
	v_fma_f32 v1, -v1, v4, v3
	v_div_fmas_f32 v1, v1, v2, v4
	v_div_fixup_f32 v2, v1, v21, 1.0
.LBB17_79:
	v_add_u32_e32 v0, s8, v0
	v_mul_lo_u32 v0, v0, s67
	v_add_u32_e32 v0, s11, v0
	v_mul_lo_u32 v0, s2, v0
	v_add_u32_e32 v0, s3, v0
	s_and_saveexec_b64 s[6:7], s[48:49]
	s_cbranch_execz .LBB17_81
; %bb.80:
	v_cvt_f32_f16_sdwa v11, v157 dst_sel:DWORD dst_unused:UNUSED_PAD src0_sel:WORD_1
	v_cvt_f32_f16_e32 v10, v157
	v_cvt_f32_f16_sdwa v13, v158 dst_sel:DWORD dst_unused:UNUSED_PAD src0_sel:WORD_1
	v_cvt_f32_f16_e32 v12, v158
	s_movk_i32 s11, 0x70
	v_mad_u64_u32 v[8:9], s[12:13], v0, s11, v[30:31]
	v_mov_b32_e32 v9, 0
	v_lshl_add_u64 v[14:15], v[8:9], 2, s[60:61]
	v_pk_mul_f32 v[8:9], v[2:3], v[10:11] op_sel_hi:[0,1]
	v_pk_mul_f32 v[10:11], v[2:3], v[12:13] op_sel_hi:[0,1]
	global_store_dwordx4 v[14:15], v[8:11], off
.LBB17_81:
	s_or_b64 exec, exec, s[6:7]
	s_and_saveexec_b64 s[6:7], s[4:5]
	s_cbranch_execz .LBB17_83
; %bb.82:
	v_ashrrev_i32_e32 v1, 31, v0
	v_lshl_add_u64 v[0:1], v[0:1], 3, s[62:63]
	v_mov_b32_e32 v20, v5
	global_store_dwordx2 v[0:1], v[20:21], off
.LBB17_83:
	s_or_b64 exec, exec, s[6:7]
	scratch_load_dword v0, off, off offset:12 ; 4-byte Folded Reload
	s_waitcnt vmcnt(0)
	v_lshrrev_b32_e32 v0, 2, v0
	v_add_u32_e32 v1, s33, v0
	v_cmp_gt_i32_e32 vcc, s66, v1
	s_and_b64 exec, exec, vcc
	s_cbranch_execz .LBB17_97
; %bb.84:
	s_and_b64 vcc, exec, s[0:1]
	v_mov_b32_e32 v2, 1.0
	s_cbranch_vccnz .LBB17_86
; %bb.85:
	v_div_scale_f32 v1, s[6:7], v18, v18, 1.0
	v_rcp_f32_e32 v2, v1
	v_div_scale_f32 v3, vcc, 1.0, v18, 1.0
	v_fma_f32 v4, -v1, v2, 1.0
	v_fmac_f32_e32 v2, v4, v2
	v_mul_f32_e32 v4, v3, v2
	v_fma_f32 v5, -v1, v4, v3
	v_fmac_f32_e32 v4, v5, v2
	v_fma_f32 v1, -v1, v4, v3
	v_div_fmas_f32 v1, v1, v2, v4
	v_div_fixup_f32 v2, v1, v18, 1.0
.LBB17_86:
	v_add_u32_e32 v0, s8, v0
	v_mul_lo_u32 v0, v0, s67
	v_add_u32_e32 v0, s10, v0
	v_mul_lo_u32 v0, s2, v0
	v_add_u32_e32 v0, s3, v0
	s_and_saveexec_b64 s[6:7], s[48:49]
	s_cbranch_execz .LBB17_88
; %bb.87:
	v_cvt_f32_f16_sdwa v9, v155 dst_sel:DWORD dst_unused:UNUSED_PAD src0_sel:WORD_1
	v_cvt_f32_f16_e32 v8, v155
	v_cvt_f32_f16_sdwa v11, v156 dst_sel:DWORD dst_unused:UNUSED_PAD src0_sel:WORD_1
	v_cvt_f32_f16_e32 v10, v156
	s_movk_i32 s10, 0x70
	v_mad_u64_u32 v[4:5], s[10:11], v0, s10, v[30:31]
	v_mov_b32_e32 v5, 0
	v_lshl_add_u64 v[4:5], v[4:5], 2, s[60:61]
	v_pk_mul_f32 v[8:9], v[2:3], v[8:9] op_sel_hi:[0,1]
	v_pk_mul_f32 v[10:11], v[2:3], v[10:11] op_sel_hi:[0,1]
	global_store_dwordx4 v[4:5], v[8:11], off
.LBB17_88:
	s_or_b64 exec, exec, s[6:7]
	s_and_saveexec_b64 s[6:7], s[4:5]
	s_cbranch_execz .LBB17_90
; %bb.89:
	v_ashrrev_i32_e32 v1, 31, v0
	v_lshl_add_u64 v[0:1], v[0:1], 3, s[62:63]
	v_mov_b32_e32 v2, v6
	v_mov_b32_e32 v3, v18
	global_store_dwordx2 v[0:1], v[2:3], off
.LBB17_90:
	s_or_b64 exec, exec, s[6:7]
	scratch_load_dword v0, off, off offset:16 ; 4-byte Folded Reload
	s_waitcnt vmcnt(0)
	v_lshrrev_b32_e32 v0, 2, v0
	v_add_u32_e32 v1, s33, v0
	v_cmp_gt_i32_e32 vcc, s66, v1
	s_and_b64 exec, exec, vcc
	s_cbranch_execz .LBB17_97
; %bb.91:
	s_and_b64 vcc, exec, s[0:1]
	v_mov_b32_e32 v2, 1.0
	s_cbranch_vccnz .LBB17_93
; %bb.92:
	v_div_scale_f32 v1, s[0:1], v19, v19, 1.0
	v_rcp_f32_e32 v2, v1
	v_div_scale_f32 v3, vcc, 1.0, v19, 1.0
	v_fma_f32 v4, -v1, v2, 1.0
	v_fmac_f32_e32 v2, v4, v2
	v_mul_f32_e32 v4, v3, v2
	v_fma_f32 v5, -v1, v4, v3
	v_fmac_f32_e32 v4, v5, v2
	v_fma_f32 v1, -v1, v4, v3
	v_div_fmas_f32 v1, v1, v2, v4
	v_div_fixup_f32 v2, v1, v19, 1.0
.LBB17_93:
	v_add_u32_e32 v0, s8, v0
	v_mul_lo_u32 v0, v0, s67
	v_add_u32_e32 v0, s9, v0
	v_mul_lo_u32 v0, s2, v0
	v_add_u32_e32 v0, s3, v0
	s_and_saveexec_b64 s[0:1], s[48:49]
	s_cbranch_execz .LBB17_95
; %bb.94:
	v_cvt_f32_f16_sdwa v9, v152 dst_sel:DWORD dst_unused:UNUSED_PAD src0_sel:WORD_1
	v_cvt_f32_f16_e32 v8, v152
	v_cvt_f32_f16_sdwa v11, v153 dst_sel:DWORD dst_unused:UNUSED_PAD src0_sel:WORD_1
	v_cvt_f32_f16_e32 v10, v153
	s_movk_i32 s2, 0x70
	v_mad_u64_u32 v[4:5], s[2:3], v0, s2, v[30:31]
	v_mov_b32_e32 v5, 0
	v_lshl_add_u64 v[4:5], v[4:5], 2, s[60:61]
	v_pk_mul_f32 v[8:9], v[2:3], v[8:9] op_sel_hi:[0,1]
	v_pk_mul_f32 v[10:11], v[2:3], v[10:11] op_sel_hi:[0,1]
	global_store_dwordx4 v[4:5], v[8:11], off
.LBB17_95:
	s_or_b64 exec, exec, s[0:1]
	s_and_b64 exec, exec, s[4:5]
	s_cbranch_execz .LBB17_97
; %bb.96:
	v_ashrrev_i32_e32 v1, 31, v0
	v_lshl_add_u64 v[0:1], v[0:1], 3, s[62:63]
	v_mov_b32_e32 v18, v7
	global_store_dwordx2 v[0:1], v[18:19], off
.LBB17_97:
	s_endpgm
.LBB17_98:
	v_cvt_f32_f16_sdwa v15, v166 dst_sel:DWORD dst_unused:UNUSED_PAD src0_sel:WORD_1
	v_cvt_f32_f16_e32 v14, v166
	v_cvt_f32_f16_sdwa v17, v167 dst_sel:DWORD dst_unused:UNUSED_PAD src0_sel:WORD_1
	v_cvt_f32_f16_e32 v16, v167
	s_movk_i32 s9, 0x70
	v_mad_u64_u32 v[10:11], s[12:13], v8, s9, v[30:31]
	v_mov_b32_e32 v11, 0
	v_lshl_add_u64 v[10:11], v[10:11], 2, s[60:61]
	v_pk_mul_f32 v[14:15], v[0:1], v[14:15] op_sel_hi:[0,1]
	v_pk_mul_f32 v[16:17], v[0:1], v[16:17] op_sel_hi:[0,1]
	global_store_dwordx4 v[10:11], v[14:17], off
	s_or_b64 exec, exec, s[6:7]
	s_and_saveexec_b64 s[6:7], s[4:5]
	s_cbranch_execz .LBB17_59
.LBB17_99:
	v_ashrrev_i32_e32 v9, 31, v8
	v_lshl_add_u64 v[8:9], v[8:9], 3, s[62:63]
	v_mov_b32_e32 v24, v1
	global_store_dwordx2 v[8:9], v[24:25], off
	s_or_b64 exec, exec, s[6:7]
	s_and_b64 vcc, exec, s[0:1]
	v_mov_b32_e32 v8, 1.0
	s_cbranch_vccz .LBB17_60
	s_branch .LBB17_61
.LBB17_100:
	v_cvt_f32_f16_sdwa v15, v164 dst_sel:DWORD dst_unused:UNUSED_PAD src0_sel:WORD_1
	v_cvt_f32_f16_e32 v14, v164
	v_cvt_f32_f16_sdwa v17, v165 dst_sel:DWORD dst_unused:UNUSED_PAD src0_sel:WORD_1
	v_cvt_f32_f16_e32 v16, v165
	s_movk_i32 s9, 0x70
	v_mad_u64_u32 v[10:11], s[12:13], v0, s9, v[30:31]
	v_mov_b32_e32 v11, 0
	v_lshl_add_u64 v[10:11], v[10:11], 2, s[60:61]
	v_pk_mul_f32 v[14:15], v[8:9], v[14:15] op_sel_hi:[0,1]
	v_pk_mul_f32 v[16:17], v[8:9], v[16:17] op_sel_hi:[0,1]
	global_store_dwordx4 v[10:11], v[14:17], off
	s_or_b64 exec, exec, s[6:7]
	s_and_saveexec_b64 s[6:7], s[4:5]
	s_cbranch_execz .LBB17_63
.LBB17_101:
	v_ashrrev_i32_e32 v1, 31, v0
	v_lshl_add_u64 v[0:1], v[0:1], 3, s[62:63]
	v_mov_b32_e32 v8, v2
	v_mov_b32_e32 v9, v22
	global_store_dwordx2 v[0:1], v[8:9], off
	s_or_b64 exec, exec, s[6:7]
	s_and_b64 vcc, exec, s[0:1]
	v_mov_b32_e32 v2, 1.0
	s_cbranch_vccz .LBB17_64
	s_branch .LBB17_65
	.section	.rodata,"a",@progbits
	.p2align	6, 0x0
	.amdhsa_kernel _ZL15flash_attn_tileILi112ELi112ELi16ELi4ELb0EEvPKcS1_S1_S1_S1_PKiPfP15HIP_vector_typeIfLj2EEffffjfiS5_IjLj3EEiiiiiiiiiiiliiliiiiil
		.amdhsa_group_segment_fixed_size 22592
		.amdhsa_private_segment_fixed_size 24
		.amdhsa_kernarg_size 464
		.amdhsa_user_sgpr_count 2
		.amdhsa_user_sgpr_dispatch_ptr 0
		.amdhsa_user_sgpr_queue_ptr 0
		.amdhsa_user_sgpr_kernarg_segment_ptr 1
		.amdhsa_user_sgpr_dispatch_id 0
		.amdhsa_user_sgpr_kernarg_preload_length 0
		.amdhsa_user_sgpr_kernarg_preload_offset 0
		.amdhsa_user_sgpr_private_segment_size 0
		.amdhsa_uses_dynamic_stack 0
		.amdhsa_enable_private_segment 1
		.amdhsa_system_sgpr_workgroup_id_x 1
		.amdhsa_system_sgpr_workgroup_id_y 1
		.amdhsa_system_sgpr_workgroup_id_z 1
		.amdhsa_system_sgpr_workgroup_info 0
		.amdhsa_system_vgpr_workitem_id 1
		.amdhsa_next_free_vgpr 256
		.amdhsa_next_free_sgpr 79
		.amdhsa_accum_offset 256
		.amdhsa_reserve_vcc 1
		.amdhsa_float_round_mode_32 0
		.amdhsa_float_round_mode_16_64 0
		.amdhsa_float_denorm_mode_32 3
		.amdhsa_float_denorm_mode_16_64 3
		.amdhsa_dx10_clamp 1
		.amdhsa_ieee_mode 1
		.amdhsa_fp16_overflow 0
		.amdhsa_tg_split 0
		.amdhsa_exception_fp_ieee_invalid_op 0
		.amdhsa_exception_fp_denorm_src 0
		.amdhsa_exception_fp_ieee_div_zero 0
		.amdhsa_exception_fp_ieee_overflow 0
		.amdhsa_exception_fp_ieee_underflow 0
		.amdhsa_exception_fp_ieee_inexact 0
		.amdhsa_exception_int_div_zero 0
	.end_amdhsa_kernel
	.section	.text._ZL15flash_attn_tileILi112ELi112ELi16ELi4ELb0EEvPKcS1_S1_S1_S1_PKiPfP15HIP_vector_typeIfLj2EEffffjfiS5_IjLj3EEiiiiiiiiiiiliiliiiiil,"axG",@progbits,_ZL15flash_attn_tileILi112ELi112ELi16ELi4ELb0EEvPKcS1_S1_S1_S1_PKiPfP15HIP_vector_typeIfLj2EEffffjfiS5_IjLj3EEiiiiiiiiiiiliiliiiiil,comdat
.Lfunc_end17:
	.size	_ZL15flash_attn_tileILi112ELi112ELi16ELi4ELb0EEvPKcS1_S1_S1_S1_PKiPfP15HIP_vector_typeIfLj2EEffffjfiS5_IjLj3EEiiiiiiiiiiiliiliiiiil, .Lfunc_end17-_ZL15flash_attn_tileILi112ELi112ELi16ELi4ELb0EEvPKcS1_S1_S1_S1_PKiPfP15HIP_vector_typeIfLj2EEffffjfiS5_IjLj3EEiiiiiiiiiiiliiliiiiil
                                        ; -- End function
	.set _ZL15flash_attn_tileILi112ELi112ELi16ELi4ELb0EEvPKcS1_S1_S1_S1_PKiPfP15HIP_vector_typeIfLj2EEffffjfiS5_IjLj3EEiiiiiiiiiiiliiliiiiil.num_vgpr, 256
	.set _ZL15flash_attn_tileILi112ELi112ELi16ELi4ELb0EEvPKcS1_S1_S1_S1_PKiPfP15HIP_vector_typeIfLj2EEffffjfiS5_IjLj3EEiiiiiiiiiiiliiliiiiil.num_agpr, 0
	.set _ZL15flash_attn_tileILi112ELi112ELi16ELi4ELb0EEvPKcS1_S1_S1_S1_PKiPfP15HIP_vector_typeIfLj2EEffffjfiS5_IjLj3EEiiiiiiiiiiiliiliiiiil.numbered_sgpr, 79
	.set _ZL15flash_attn_tileILi112ELi112ELi16ELi4ELb0EEvPKcS1_S1_S1_S1_PKiPfP15HIP_vector_typeIfLj2EEffffjfiS5_IjLj3EEiiiiiiiiiiiliiliiiiil.num_named_barrier, 0
	.set _ZL15flash_attn_tileILi112ELi112ELi16ELi4ELb0EEvPKcS1_S1_S1_S1_PKiPfP15HIP_vector_typeIfLj2EEffffjfiS5_IjLj3EEiiiiiiiiiiiliiliiiiil.private_seg_size, 24
	.set _ZL15flash_attn_tileILi112ELi112ELi16ELi4ELb0EEvPKcS1_S1_S1_S1_PKiPfP15HIP_vector_typeIfLj2EEffffjfiS5_IjLj3EEiiiiiiiiiiiliiliiiiil.uses_vcc, 1
	.set _ZL15flash_attn_tileILi112ELi112ELi16ELi4ELb0EEvPKcS1_S1_S1_S1_PKiPfP15HIP_vector_typeIfLj2EEffffjfiS5_IjLj3EEiiiiiiiiiiiliiliiiiil.uses_flat_scratch, 0
	.set _ZL15flash_attn_tileILi112ELi112ELi16ELi4ELb0EEvPKcS1_S1_S1_S1_PKiPfP15HIP_vector_typeIfLj2EEffffjfiS5_IjLj3EEiiiiiiiiiiiliiliiiiil.has_dyn_sized_stack, 0
	.set _ZL15flash_attn_tileILi112ELi112ELi16ELi4ELb0EEvPKcS1_S1_S1_S1_PKiPfP15HIP_vector_typeIfLj2EEffffjfiS5_IjLj3EEiiiiiiiiiiiliiliiiiil.has_recursion, 0
	.set _ZL15flash_attn_tileILi112ELi112ELi16ELi4ELb0EEvPKcS1_S1_S1_S1_PKiPfP15HIP_vector_typeIfLj2EEffffjfiS5_IjLj3EEiiiiiiiiiiiliiliiiiil.has_indirect_call, 0
	.section	.AMDGPU.csdata,"",@progbits
; Kernel info:
; codeLenInByte = 28036
; TotalNumSgprs: 85
; NumVgprs: 256
; NumAgprs: 0
; TotalNumVgprs: 256
; ScratchSize: 24
; MemoryBound: 0
; FloatMode: 240
; IeeeMode: 1
; LDSByteSize: 22592 bytes/workgroup (compile time only)
; SGPRBlocks: 10
; VGPRBlocks: 31
; NumSGPRsForWavesPerEU: 85
; NumVGPRsForWavesPerEU: 256
; AccumOffset: 256
; Occupancy: 2
; WaveLimiterHint : 1
; COMPUTE_PGM_RSRC2:SCRATCH_EN: 1
; COMPUTE_PGM_RSRC2:USER_SGPR: 2
; COMPUTE_PGM_RSRC2:TRAP_HANDLER: 0
; COMPUTE_PGM_RSRC2:TGID_X_EN: 1
; COMPUTE_PGM_RSRC2:TGID_Y_EN: 1
; COMPUTE_PGM_RSRC2:TGID_Z_EN: 1
; COMPUTE_PGM_RSRC2:TIDIG_COMP_CNT: 1
; COMPUTE_PGM_RSRC3_GFX90A:ACCUM_OFFSET: 63
; COMPUTE_PGM_RSRC3_GFX90A:TG_SPLIT: 0
	.section	.text._ZL25flash_attn_mask_to_KV_maxILi16EEvPK7__half2Piiii,"axG",@progbits,_ZL25flash_attn_mask_to_KV_maxILi16EEvPK7__half2Piiii,comdat
	.globl	_ZL25flash_attn_mask_to_KV_maxILi16EEvPK7__half2Piiii ; -- Begin function _ZL25flash_attn_mask_to_KV_maxILi16EEvPK7__half2Piiii
	.p2align	8
	.type	_ZL25flash_attn_mask_to_KV_maxILi16EEvPK7__half2Piiii,@function
_ZL25flash_attn_mask_to_KV_maxILi16EEvPK7__half2Piiii: ; @_ZL25flash_attn_mask_to_KV_maxILi16EEvPK7__half2Piiii
; %bb.0:
	s_load_dwordx4 s[4:7], s[0:1], 0x0
	v_cmp_gt_u32_e32 vcc, 32, v0
	s_and_saveexec_b64 s[8:9], vcc
; %bb.1:
	v_lshlrev_b32_e32 v1, 2, v0
	v_mov_b32_e32 v2, 1
	ds_write_b32 v1, v2
; %bb.2:
	s_or_b64 exec, exec, s[8:9]
	s_load_dwordx4 s[8:11], s[0:1], 0x10
	s_load_dword s33, s[0:1], 0x20
	v_and_b32_e32 v2, 31, v0
	v_lshlrev_b32_e32 v6, 2, v2
	v_lshrrev_b32_e32 v1, 3, v0
	s_waitcnt lgkmcnt(0)
	s_mul_i32 s1, s2, s9
	s_mul_i32 s0, s10, s3
	s_lshl_b32 s1, s1, 4
	s_add_i32 s0, s0, s1
	s_ashr_i32 s1, s0, 31
	s_lshl_b64 s[0:1], s[0:1], 2
	s_add_u32 s10, s4, s0
	s_addc_u32 s11, s5, s1
	v_cmp_eq_u32_e64 s[0:1], 0, v2
	v_mbcnt_lo_u32_b32 v2, -1, 0
	s_lshl_b32 s8, s8, 8
	s_mov_b64 s[12:13], 0
	v_mov_b32_e32 v3, 0
	s_movk_i32 s74, 0x204
	v_mbcnt_hi_u32_b32 v7, -1, v2
	s_barrier
                                        ; implicit-def: $sgpr4_sgpr5
	s_branch .LBB18_5
.LBB18_3:                               ;   in Loop: Header=BB18_5 Depth=1
	s_or_b64 exec, exec, s[14:15]
	s_waitcnt lgkmcnt(0)
	s_barrier
	ds_read_b32 v10, v6
	s_waitcnt lgkmcnt(0)
	s_barrier
	ds_bpermute_b32 v2, v2, v10
	v_cmp_ne_u32_e32 vcc, 0, v10
	s_waitcnt lgkmcnt(0)
	v_cmp_ne_u32_e64 s[4:5], 0, v2
	s_and_b64 s[4:5], vcc, s[4:5]
	s_nop 0
	v_cndmask_b32_e64 v2, 0, 1, s[4:5]
	ds_bpermute_b32 v2, v4, v2
	s_waitcnt lgkmcnt(0)
	v_cmp_ne_u32_e32 vcc, 0, v2
	s_and_b64 s[4:5], vcc, s[4:5]
	v_cndmask_b32_e64 v2, 0, 1, s[4:5]
	ds_bpermute_b32 v2, v5, v2
	s_waitcnt lgkmcnt(0)
	v_cmp_ne_u32_e32 vcc, 0, v2
	s_and_b64 s[4:5], vcc, s[4:5]
	;; [unrolled: 5-line block ×3, first 2 shown]
	v_cndmask_b32_e64 v2, 0, 1, s[4:5]
	ds_bpermute_b32 v2, v9, v2
	s_xor_b64 s[4:5], s[4:5], -1
	s_waitcnt lgkmcnt(0)
	v_cmp_eq_u32_e32 vcc, 0, v2
	s_or_b64 s[4:5], vcc, s[4:5]
.LBB18_4:                               ;   in Loop: Header=BB18_5 Depth=1
	s_and_b64 s[14:15], exec, s[4:5]
	s_or_b64 s[12:13], s[14:15], s[12:13]
	v_mov_b32_e32 v2, s8
	s_mov_b32 s8, s75
	s_andn2_b64 exec, exec, s[12:13]
	s_cbranch_execz .LBB18_68
.LBB18_5:                               ; =>This Inner Loop Header: Depth=1
	s_add_i32 s75, s8, 0xffffff00
	s_or_b64 s[4:5], s[4:5], exec
	s_cmp_lt_i32 s75, 0
	s_cbranch_scc1 .LBB18_4
; %bb.6:                                ;   in Loop: Header=BB18_5 Depth=1
	s_lshr_b32 s4, s75, 1
	v_add_u32_e32 v2, s4, v0
	v_lshl_add_u64 v[4:5], v[2:3], 2, s[10:11]
	global_load_dword v4, v[4:5], off
	v_mov_b32_e32 v5, 0
	s_waitcnt vmcnt(0)
	v_cmp_class_f16_e64 s[4:5], v4, s74
	v_cmp_class_f16_sdwa s[14:15], v4, s74 src0_sel:WORD_1 src1_sel:DWORD
	s_and_b64 s[14:15], s[4:5], s[14:15]
	s_and_saveexec_b64 s[4:5], s[14:15]
	s_cbranch_execz .LBB18_66
; %bb.7:                                ;   in Loop: Header=BB18_5 Depth=1
	v_add_u32_e32 v4, s9, v2
	v_ashrrev_i32_e32 v5, 31, v4
	v_lshl_add_u64 v[8:9], v[4:5], 2, s[10:11]
	global_load_dword v2, v[8:9], off
	v_mov_b32_e32 v5, 0
	s_waitcnt vmcnt(0)
	v_cmp_class_f16_e64 s[16:17], v2, s74
	s_and_saveexec_b64 s[14:15], s[16:17]
	s_cbranch_execz .LBB18_65
; %bb.8:                                ;   in Loop: Header=BB18_5 Depth=1
	v_cmp_class_f16_sdwa s[18:19], v2, s74 src0_sel:WORD_1 src1_sel:DWORD
	v_mov_b32_e32 v5, 0
	s_and_saveexec_b64 s[16:17], s[18:19]
	s_cbranch_execz .LBB18_64
; %bb.9:                                ;   in Loop: Header=BB18_5 Depth=1
	v_add_u32_e32 v4, s9, v4
	v_ashrrev_i32_e32 v5, 31, v4
	v_lshl_add_u64 v[8:9], v[4:5], 2, s[10:11]
	global_load_dword v2, v[8:9], off
	v_mov_b32_e32 v5, 0
	s_waitcnt vmcnt(0)
	v_cmp_class_f16_e64 s[20:21], v2, s74
	s_and_saveexec_b64 s[18:19], s[20:21]
	s_cbranch_execz .LBB18_63
; %bb.10:                               ;   in Loop: Header=BB18_5 Depth=1
	v_cmp_class_f16_sdwa s[22:23], v2, s74 src0_sel:WORD_1 src1_sel:DWORD
	v_mov_b32_e32 v5, 0
	s_and_saveexec_b64 s[20:21], s[22:23]
	s_cbranch_execz .LBB18_62
; %bb.11:                               ;   in Loop: Header=BB18_5 Depth=1
	v_add_u32_e32 v4, s9, v4
	v_ashrrev_i32_e32 v5, 31, v4
	v_lshl_add_u64 v[8:9], v[4:5], 2, s[10:11]
	global_load_dword v2, v[8:9], off
	v_mov_b32_e32 v5, 0
	s_waitcnt vmcnt(0)
	v_cmp_class_f16_e64 s[24:25], v2, s74
	s_and_saveexec_b64 s[22:23], s[24:25]
	s_cbranch_execz .LBB18_61
; %bb.12:                               ;   in Loop: Header=BB18_5 Depth=1
	v_cmp_class_f16_sdwa s[26:27], v2, s74 src0_sel:WORD_1 src1_sel:DWORD
	v_mov_b32_e32 v5, 0
	s_and_saveexec_b64 s[24:25], s[26:27]
	s_cbranch_execz .LBB18_60
; %bb.13:                               ;   in Loop: Header=BB18_5 Depth=1
	;; [unrolled: 15-line block ×13, first 2 shown]
	v_add_u32_e32 v4, s9, v4
	v_ashrrev_i32_e32 v5, 31, v4
	v_lshl_add_u64 v[4:5], v[4:5], 2, s[10:11]
	global_load_dword v2, v[4:5], off
	v_mov_b32_e32 v5, 0
	s_waitcnt vmcnt(0)
	v_cmp_class_f16_e64 s[76:77], v2, s74
	s_and_saveexec_b64 s[72:73], s[76:77]
; %bb.36:                               ;   in Loop: Header=BB18_5 Depth=1
	v_cmp_class_f16_sdwa s[76:77], v2, s74 src0_sel:WORD_1 src1_sel:DWORD
	s_nop 1
	v_cndmask_b32_e64 v5, 0, 1, s[76:77]
; %bb.37:                               ;   in Loop: Header=BB18_5 Depth=1
	s_or_b64 exec, exec, s[72:73]
.LBB18_38:                              ;   in Loop: Header=BB18_5 Depth=1
	s_or_b64 exec, exec, s[70:71]
.LBB18_39:                              ;   in Loop: Header=BB18_5 Depth=1
	s_or_b64 exec, exec, s[68:69]
.LBB18_40:                              ;   in Loop: Header=BB18_5 Depth=1
	s_or_b64 exec, exec, s[66:67]
.LBB18_41:                              ;   in Loop: Header=BB18_5 Depth=1
	s_or_b64 exec, exec, s[64:65]
.LBB18_42:                              ;   in Loop: Header=BB18_5 Depth=1
	s_or_b64 exec, exec, s[62:63]
.LBB18_43:                              ;   in Loop: Header=BB18_5 Depth=1
	s_or_b64 exec, exec, s[60:61]
.LBB18_44:                              ;   in Loop: Header=BB18_5 Depth=1
	s_or_b64 exec, exec, s[58:59]
.LBB18_45:                              ;   in Loop: Header=BB18_5 Depth=1
	s_or_b64 exec, exec, s[56:57]
.LBB18_46:                              ;   in Loop: Header=BB18_5 Depth=1
	s_or_b64 exec, exec, s[54:55]
.LBB18_47:                              ;   in Loop: Header=BB18_5 Depth=1
	s_or_b64 exec, exec, s[52:53]
.LBB18_48:                              ;   in Loop: Header=BB18_5 Depth=1
	s_or_b64 exec, exec, s[50:51]
.LBB18_49:                              ;   in Loop: Header=BB18_5 Depth=1
	s_or_b64 exec, exec, s[48:49]
.LBB18_50:                              ;   in Loop: Header=BB18_5 Depth=1
	s_or_b64 exec, exec, s[46:47]
.LBB18_51:                              ;   in Loop: Header=BB18_5 Depth=1
	s_or_b64 exec, exec, s[44:45]
.LBB18_52:                              ;   in Loop: Header=BB18_5 Depth=1
	s_or_b64 exec, exec, s[42:43]
.LBB18_53:                              ;   in Loop: Header=BB18_5 Depth=1
	s_or_b64 exec, exec, s[40:41]
.LBB18_54:                              ;   in Loop: Header=BB18_5 Depth=1
	s_or_b64 exec, exec, s[38:39]
.LBB18_55:                              ;   in Loop: Header=BB18_5 Depth=1
	s_or_b64 exec, exec, s[36:37]
.LBB18_56:                              ;   in Loop: Header=BB18_5 Depth=1
	s_or_b64 exec, exec, s[34:35]
.LBB18_57:                              ;   in Loop: Header=BB18_5 Depth=1
	s_or_b64 exec, exec, s[30:31]
.LBB18_58:                              ;   in Loop: Header=BB18_5 Depth=1
	s_or_b64 exec, exec, s[28:29]
.LBB18_59:                              ;   in Loop: Header=BB18_5 Depth=1
	s_or_b64 exec, exec, s[26:27]
.LBB18_60:                              ;   in Loop: Header=BB18_5 Depth=1
	s_or_b64 exec, exec, s[24:25]
.LBB18_61:                              ;   in Loop: Header=BB18_5 Depth=1
	s_or_b64 exec, exec, s[22:23]
.LBB18_62:                              ;   in Loop: Header=BB18_5 Depth=1
	s_or_b64 exec, exec, s[20:21]
.LBB18_63:                              ;   in Loop: Header=BB18_5 Depth=1
	s_or_b64 exec, exec, s[18:19]
.LBB18_64:                              ;   in Loop: Header=BB18_5 Depth=1
	s_or_b64 exec, exec, s[16:17]
.LBB18_65:                              ;   in Loop: Header=BB18_5 Depth=1
	s_or_b64 exec, exec, s[14:15]
.LBB18_66:                              ;   in Loop: Header=BB18_5 Depth=1
	s_or_b64 exec, exec, s[4:5]
	v_and_b32_e32 v2, 0x60, v7
	v_add_u32_e32 v9, 32, v2
	v_xor_b32_e32 v2, 16, v7
	v_cmp_lt_i32_e32 vcc, v2, v9
	v_xor_b32_e32 v11, 1, v7
	s_nop 0
	v_cndmask_b32_e32 v2, v7, v2, vcc
	v_lshlrev_b32_e32 v2, 2, v2
	ds_bpermute_b32 v4, v2, v5
	v_cmp_ne_u32_e32 vcc, 0, v5
	s_waitcnt lgkmcnt(0)
	v_cmp_ne_u32_e64 s[4:5], 0, v4
	v_xor_b32_e32 v4, 8, v7
	s_and_b64 s[4:5], vcc, s[4:5]
	v_cmp_lt_i32_e32 vcc, v4, v9
	v_cndmask_b32_e64 v5, 0, 1, s[4:5]
	s_nop 0
	v_cndmask_b32_e32 v4, v7, v4, vcc
	v_lshlrev_b32_e32 v4, 2, v4
	ds_bpermute_b32 v5, v4, v5
	s_waitcnt lgkmcnt(0)
	v_cmp_ne_u32_e32 vcc, 0, v5
	v_xor_b32_e32 v5, 4, v7
	s_and_b64 s[4:5], vcc, s[4:5]
	v_cmp_lt_i32_e32 vcc, v5, v9
	v_cndmask_b32_e64 v8, 0, 1, s[4:5]
	s_nop 0
	v_cndmask_b32_e32 v5, v7, v5, vcc
	v_lshlrev_b32_e32 v5, 2, v5
	ds_bpermute_b32 v8, v5, v8
	s_waitcnt lgkmcnt(0)
	v_cmp_ne_u32_e32 vcc, 0, v8
	;; [unrolled: 10-line block ×3, first 2 shown]
	s_and_b64 s[4:5], vcc, s[4:5]
	v_cmp_lt_i32_e32 vcc, v11, v9
	v_cndmask_b32_e64 v10, 0, 1, s[4:5]
	s_nop 0
	v_cndmask_b32_e32 v9, v7, v11, vcc
	v_lshlrev_b32_e32 v9, 2, v9
	ds_bpermute_b32 v10, v9, v10
	s_and_saveexec_b64 s[14:15], s[0:1]
	s_cbranch_execz .LBB18_3
; %bb.67:                               ;   in Loop: Header=BB18_5 Depth=1
	s_waitcnt lgkmcnt(0)
	v_cmp_ne_u32_e32 vcc, 0, v10
	s_and_b64 s[4:5], vcc, s[4:5]
	v_cndmask_b32_e64 v10, 0, 1, s[4:5]
	ds_write_b32 v1, v10
	s_branch .LBB18_3
.LBB18_68:
	s_or_b64 exec, exec, s[12:13]
	v_cmp_eq_u32_e32 vcc, 0, v0
	s_and_saveexec_b64 s[0:1], vcc
	s_cbranch_execz .LBB18_70
; %bb.69:
	s_mul_i32 s0, s33, s3
	s_add_i32 s0, s0, s2
	s_ashr_i32 s1, s0, 31
	s_lshl_b64 s[0:1], s[0:1], 2
	s_add_u32 s0, s6, s0
	s_addc_u32 s1, s7, s1
	v_mov_b32_e32 v0, 0
	global_store_dword v0, v2, s[0:1]
.LBB18_70:
	s_endpgm
	.section	.rodata,"a",@progbits
	.p2align	6, 0x0
	.amdhsa_kernel _ZL25flash_attn_mask_to_KV_maxILi16EEvPK7__half2Piiii
		.amdhsa_group_segment_fixed_size 128
		.amdhsa_private_segment_fixed_size 0
		.amdhsa_kernarg_size 288
		.amdhsa_user_sgpr_count 2
		.amdhsa_user_sgpr_dispatch_ptr 0
		.amdhsa_user_sgpr_queue_ptr 0
		.amdhsa_user_sgpr_kernarg_segment_ptr 1
		.amdhsa_user_sgpr_dispatch_id 0
		.amdhsa_user_sgpr_kernarg_preload_length 0
		.amdhsa_user_sgpr_kernarg_preload_offset 0
		.amdhsa_user_sgpr_private_segment_size 0
		.amdhsa_uses_dynamic_stack 0
		.amdhsa_enable_private_segment 0
		.amdhsa_system_sgpr_workgroup_id_x 1
		.amdhsa_system_sgpr_workgroup_id_y 1
		.amdhsa_system_sgpr_workgroup_id_z 0
		.amdhsa_system_sgpr_workgroup_info 0
		.amdhsa_system_vgpr_workitem_id 0
		.amdhsa_next_free_vgpr 12
		.amdhsa_next_free_sgpr 78
		.amdhsa_accum_offset 12
		.amdhsa_reserve_vcc 1
		.amdhsa_float_round_mode_32 0
		.amdhsa_float_round_mode_16_64 0
		.amdhsa_float_denorm_mode_32 3
		.amdhsa_float_denorm_mode_16_64 3
		.amdhsa_dx10_clamp 1
		.amdhsa_ieee_mode 1
		.amdhsa_fp16_overflow 0
		.amdhsa_tg_split 0
		.amdhsa_exception_fp_ieee_invalid_op 0
		.amdhsa_exception_fp_denorm_src 0
		.amdhsa_exception_fp_ieee_div_zero 0
		.amdhsa_exception_fp_ieee_overflow 0
		.amdhsa_exception_fp_ieee_underflow 0
		.amdhsa_exception_fp_ieee_inexact 0
		.amdhsa_exception_int_div_zero 0
	.end_amdhsa_kernel
	.section	.text._ZL25flash_attn_mask_to_KV_maxILi16EEvPK7__half2Piiii,"axG",@progbits,_ZL25flash_attn_mask_to_KV_maxILi16EEvPK7__half2Piiii,comdat
.Lfunc_end18:
	.size	_ZL25flash_attn_mask_to_KV_maxILi16EEvPK7__half2Piiii, .Lfunc_end18-_ZL25flash_attn_mask_to_KV_maxILi16EEvPK7__half2Piiii
                                        ; -- End function
	.set _ZL25flash_attn_mask_to_KV_maxILi16EEvPK7__half2Piiii.num_vgpr, 12
	.set _ZL25flash_attn_mask_to_KV_maxILi16EEvPK7__half2Piiii.num_agpr, 0
	.set _ZL25flash_attn_mask_to_KV_maxILi16EEvPK7__half2Piiii.numbered_sgpr, 78
	.set _ZL25flash_attn_mask_to_KV_maxILi16EEvPK7__half2Piiii.num_named_barrier, 0
	.set _ZL25flash_attn_mask_to_KV_maxILi16EEvPK7__half2Piiii.private_seg_size, 0
	.set _ZL25flash_attn_mask_to_KV_maxILi16EEvPK7__half2Piiii.uses_vcc, 1
	.set _ZL25flash_attn_mask_to_KV_maxILi16EEvPK7__half2Piiii.uses_flat_scratch, 0
	.set _ZL25flash_attn_mask_to_KV_maxILi16EEvPK7__half2Piiii.has_dyn_sized_stack, 0
	.set _ZL25flash_attn_mask_to_KV_maxILi16EEvPK7__half2Piiii.has_recursion, 0
	.set _ZL25flash_attn_mask_to_KV_maxILi16EEvPK7__half2Piiii.has_indirect_call, 0
	.section	.AMDGPU.csdata,"",@progbits
; Kernel info:
; codeLenInByte = 1900
; TotalNumSgprs: 84
; NumVgprs: 12
; NumAgprs: 0
; TotalNumVgprs: 12
; ScratchSize: 0
; MemoryBound: 0
; FloatMode: 240
; IeeeMode: 1
; LDSByteSize: 128 bytes/workgroup (compile time only)
; SGPRBlocks: 10
; VGPRBlocks: 1
; NumSGPRsForWavesPerEU: 84
; NumVGPRsForWavesPerEU: 12
; AccumOffset: 12
; Occupancy: 8
; WaveLimiterHint : 0
; COMPUTE_PGM_RSRC2:SCRATCH_EN: 0
; COMPUTE_PGM_RSRC2:USER_SGPR: 2
; COMPUTE_PGM_RSRC2:TRAP_HANDLER: 0
; COMPUTE_PGM_RSRC2:TGID_X_EN: 1
; COMPUTE_PGM_RSRC2:TGID_Y_EN: 1
; COMPUTE_PGM_RSRC2:TGID_Z_EN: 0
; COMPUTE_PGM_RSRC2:TIDIG_COMP_CNT: 0
; COMPUTE_PGM_RSRC3_GFX90A:ACCUM_OFFSET: 2
; COMPUTE_PGM_RSRC3_GFX90A:TG_SPLIT: 0
	.section	.text._ZL33flash_attn_stream_k_fixup_uniformILi112ELi16ELi4EEvPfPK15HIP_vector_typeIfLj2EEiiiiiiS1_IjLj3EES5_S5_,"axG",@progbits,_ZL33flash_attn_stream_k_fixup_uniformILi112ELi16ELi4EEvPfPK15HIP_vector_typeIfLj2EEiiiiiiS1_IjLj3EES5_S5_,comdat
	.globl	_ZL33flash_attn_stream_k_fixup_uniformILi112ELi16ELi4EEvPfPK15HIP_vector_typeIfLj2EEiiiiiiS1_IjLj3EES5_S5_ ; -- Begin function _ZL33flash_attn_stream_k_fixup_uniformILi112ELi16ELi4EEvPfPK15HIP_vector_typeIfLj2EEiiiiiiS1_IjLj3EES5_S5_
	.p2align	8
	.type	_ZL33flash_attn_stream_k_fixup_uniformILi112ELi16ELi4EEvPfPK15HIP_vector_typeIfLj2EEiiiiiiS1_IjLj3EES5_S5_,@function
_ZL33flash_attn_stream_k_fixup_uniformILi112ELi16ELi4EEvPfPK15HIP_vector_typeIfLj2EEiiiiiiS1_IjLj3EES5_S5_: ; @_ZL33flash_attn_stream_k_fixup_uniformILi112ELi16ELi4EEvPfPK15HIP_vector_typeIfLj2EEiiiiiiS1_IjLj3EES5_S5_
; %bb.0:
	s_load_dwordx8 s[8:15], s[0:1], 0x1c
	s_load_dwordx2 s[6:7], s[0:1], 0x10
	s_load_dwordx4 s[16:19], s[0:1], 0x3c
	s_waitcnt lgkmcnt(0)
	s_mul_hi_u32 s5, s11, s2
	s_add_i32 s5, s2, s5
	s_lshr_b32 s5, s5, s12
	s_mul_i32 s11, s5, s13
	s_sub_i32 s12, s2, s11
	s_mul_hi_u32 s11, s12, s14
	s_add_i32 s11, s12, s11
	s_lshr_b32 s11, s11, s15
	s_mul_i32 s13, s11, s16
	s_sub_i32 s12, s12, s13
	;; [unrolled: 5-line block ×3, first 2 shown]
	s_lshl_b32 s12, s16, 4
	s_lshl_b32 s17, s13, 2
	s_add_i32 s12, s12, s3
	s_cmp_lt_i32 s12, s6
	s_cselect_b64 s[12:13], -1, 0
	s_add_i32 s17, s17, s4
	s_cmp_lt_i32 s17, s9
	s_cselect_b64 s[14:15], -1, 0
	s_and_b64 s[12:13], s[12:13], s[14:15]
	s_andn2_b64 vcc, exec, s[12:13]
	s_cbranch_vccnz .LBB19_6
; %bb.1:
	s_load_dwordx4 s[12:15], s[0:1], 0x0
	s_mul_i32 s0, s5, s6
	s_mul_i32 s11, s11, s9
	s_add_i32 s0, s0, s3
	s_mul_i32 s0, s0, s7
	s_add_i32 s5, s17, s11
	;; [unrolled: 2-line block ×3, first 2 shown]
	s_mulk_i32 s1, 0x700
	s_mulk_i32 s0, 0x70
	s_add_i32 s0, s0, s1
	v_add_u32_e32 v4, s0, v0
	s_waitcnt lgkmcnt(0)
	v_mov_b32_e32 v2, s12
	v_mov_b32_e32 v3, s13
	v_ashrrev_i32_e32 v5, 31, v4
	v_lshl_add_u64 v[2:3], v[4:5], 2, v[2:3]
	global_load_dword v5, v[2:3], off
	s_mul_i32 s5, s10, s2
	s_lshl_b32 s11, s3, 2
	s_add_i32 s9, s5, s10
	s_add_i32 s0, s11, s4
	s_lshl_b32 s1, s9, 6
	s_add_i32 s0, s0, s1
	s_sub_i32 s0, s0, 64
	s_ashr_i32 s1, s0, 31
	s_lshl_b64 s[0:1], s[0:1], 3
	s_add_u32 s0, s14, s0
	s_addc_u32 s1, s15, s1
	s_load_dword s12, s[0:1], 0x4
	s_add_i32 s6, s9, -2
	s_cmp_lt_i32 s6, s5
	s_cbranch_scc1 .LBB19_4
; %bb.2:
	s_lshl_b32 s6, s8, 8
	s_ashr_i32 s7, s6, 31
	s_lshl_b64 s[6:7], s[6:7], 2
	s_add_u32 s6, s14, s6
	s_addc_u32 s7, s15, s7
	s_add_i32 s2, s2, 1
	s_load_dword s0, s[0:1], 0x0
	s_mul_i32 s1, s10, s2
	s_lshl_b32 s2, s1, 6
	s_add_i32 s2, s4, s2
	s_mulk_i32 s3, 0x1c0
	s_mulk_i32 s4, 0x70
	s_lshl_b32 s8, s8, 6
	s_mulk_i32 s1, 0x1c00
	s_add_i32 s3, s4, s3
	s_add_i32 s2, s2, s8
	;; [unrolled: 1-line block ×4, first 2 shown]
	v_add_u32_e32 v0, s3, v0
	s_add_i32 s9, s9, -1
	s_addk_i32 s2, 0xff80
	v_add_u32_e32 v0, 0xffffc800, v0
	s_waitcnt lgkmcnt(0)
	v_mov_b32_e32 v7, s0
	v_mov_b32_e32 v4, s12
	s_mov_b32 s4, 0x3fb8aa3b
	s_mov_b32 s8, 0xc2ce8ed0
	;; [unrolled: 1-line block ×3, first 2 shown]
	v_mov_b32_e32 v6, 0x7f800000
	s_mov_b32 s11, 0xc1a00000
.LBB19_3:                               ; =>This Inner Loop Header: Depth=1
	v_ashrrev_i32_e32 v1, 31, v0
	v_lshl_add_u64 v[8:9], v[0:1], 2, s[6:7]
	global_load_dword v9, v[8:9], off
	s_ashr_i32 s3, s2, 31
	s_lshl_b64 s[0:1], s[2:3], 3
	s_add_u32 s0, s14, s0
	s_addc_u32 s1, s15, s1
	s_load_dwordx2 s[0:1], s[0:1], 0x0
	v_max_f32_e32 v1, v7, v7
	s_add_i32 s9, s9, -1
	s_sub_i32 s2, s2, 64
	v_add_u32_e32 v0, 0xffffe400, v0
	s_waitcnt lgkmcnt(0)
	v_max_f32_e64 v10, s0, s0
	v_max_f32_e32 v1, v1, v10
	v_sub_f32_e32 v11, s0, v1
	v_sub_f32_e32 v10, v7, v1
	v_mul_f32_e32 v12, 0x3fb8aa3b, v11
	v_mov_b32_e32 v7, v1
	v_mul_f32_e32 v1, 0x3fb8aa3b, v10
	v_fma_f32 v15, v11, s4, -v12
	v_rndne_f32_e32 v16, v12
	v_fma_f32 v13, v10, s4, -v1
	v_rndne_f32_e32 v14, v1
	v_fmac_f32_e32 v15, 0x32a5705f, v11
	v_sub_f32_e32 v12, v12, v16
	v_fmac_f32_e32 v13, 0x32a5705f, v10
	v_sub_f32_e32 v1, v1, v14
	v_add_f32_e32 v12, v12, v15
	v_cvt_i32_f32_e32 v16, v16
	v_add_f32_e32 v1, v1, v13
	v_exp_f32_e32 v12, v12
	v_cvt_i32_f32_e32 v14, v14
	v_exp_f32_e32 v1, v1
	v_cmp_ngt_f32_e32 vcc, s8, v11
	v_ldexp_f32 v12, v12, v16
	v_mov_b32_e32 v8, s1
	v_ldexp_f32 v1, v1, v14
	v_cmp_ngt_f32_e64 s[0:1], s8, v10
	v_cndmask_b32_e32 v12, 0, v12, vcc
	v_cmp_nlt_f32_e32 vcc, s10, v11
	v_cndmask_b32_e64 v1, 0, v1, s[0:1]
	v_cmp_nlt_f32_e64 s[0:1], s10, v10
	v_cndmask_b32_e32 v12, v6, v12, vcc
	v_cmp_le_f32_e32 vcc, s11, v11
	v_cndmask_b32_e64 v1, v6, v1, s[0:1]
	v_cmp_le_f32_e64 s[0:1], s11, v10
	v_cndmask_b32_e32 v12, 0, v12, vcc
	s_cmp_le_i32 s9, s5
	v_cndmask_b32_e64 v10, 0, v1, s[0:1]
	s_waitcnt vmcnt(0)
	v_pk_mul_f32 v[8:9], v[8:9], v[12:13] op_sel_hi:[1,0]
	s_nop 0
	v_pk_fma_f32 v[4:5], v[4:5], v[10:11], v[8:9] op_sel_hi:[1,0,1]
	s_cbranch_scc0 .LBB19_3
	s_branch .LBB19_5
.LBB19_4:
	s_waitcnt lgkmcnt(0)
	v_mov_b32_e32 v4, s12
.LBB19_5:
	s_waitcnt vmcnt(0)
	v_div_scale_f32 v0, s[0:1], v4, v4, v5
	v_rcp_f32_e32 v1, v0
	v_div_scale_f32 v6, vcc, v5, v4, v5
	v_fma_f32 v7, -v0, v1, 1.0
	v_fmac_f32_e32 v1, v7, v1
	v_mul_f32_e32 v7, v6, v1
	v_fma_f32 v8, -v0, v7, v6
	v_fmac_f32_e32 v7, v8, v1
	v_fma_f32 v0, -v0, v7, v6
	v_div_fmas_f32 v0, v0, v1, v7
	v_div_fixup_f32 v0, v0, v4, v5
	global_store_dword v[2:3], v0, off
.LBB19_6:
	s_endpgm
	.section	.rodata,"a",@progbits
	.p2align	6, 0x0
	.amdhsa_kernel _ZL33flash_attn_stream_k_fixup_uniformILi112ELi16ELi4EEvPfPK15HIP_vector_typeIfLj2EEiiiiiiS1_IjLj3EES5_S5_
		.amdhsa_group_segment_fixed_size 0
		.amdhsa_private_segment_fixed_size 0
		.amdhsa_kernarg_size 76
		.amdhsa_user_sgpr_count 2
		.amdhsa_user_sgpr_dispatch_ptr 0
		.amdhsa_user_sgpr_queue_ptr 0
		.amdhsa_user_sgpr_kernarg_segment_ptr 1
		.amdhsa_user_sgpr_dispatch_id 0
		.amdhsa_user_sgpr_kernarg_preload_length 0
		.amdhsa_user_sgpr_kernarg_preload_offset 0
		.amdhsa_user_sgpr_private_segment_size 0
		.amdhsa_uses_dynamic_stack 0
		.amdhsa_enable_private_segment 0
		.amdhsa_system_sgpr_workgroup_id_x 1
		.amdhsa_system_sgpr_workgroup_id_y 1
		.amdhsa_system_sgpr_workgroup_id_z 1
		.amdhsa_system_sgpr_workgroup_info 0
		.amdhsa_system_vgpr_workitem_id 0
		.amdhsa_next_free_vgpr 17
		.amdhsa_next_free_sgpr 20
		.amdhsa_accum_offset 20
		.amdhsa_reserve_vcc 1
		.amdhsa_float_round_mode_32 0
		.amdhsa_float_round_mode_16_64 0
		.amdhsa_float_denorm_mode_32 3
		.amdhsa_float_denorm_mode_16_64 3
		.amdhsa_dx10_clamp 1
		.amdhsa_ieee_mode 1
		.amdhsa_fp16_overflow 0
		.amdhsa_tg_split 0
		.amdhsa_exception_fp_ieee_invalid_op 0
		.amdhsa_exception_fp_denorm_src 0
		.amdhsa_exception_fp_ieee_div_zero 0
		.amdhsa_exception_fp_ieee_overflow 0
		.amdhsa_exception_fp_ieee_underflow 0
		.amdhsa_exception_fp_ieee_inexact 0
		.amdhsa_exception_int_div_zero 0
	.end_amdhsa_kernel
	.section	.text._ZL33flash_attn_stream_k_fixup_uniformILi112ELi16ELi4EEvPfPK15HIP_vector_typeIfLj2EEiiiiiiS1_IjLj3EES5_S5_,"axG",@progbits,_ZL33flash_attn_stream_k_fixup_uniformILi112ELi16ELi4EEvPfPK15HIP_vector_typeIfLj2EEiiiiiiS1_IjLj3EES5_S5_,comdat
.Lfunc_end19:
	.size	_ZL33flash_attn_stream_k_fixup_uniformILi112ELi16ELi4EEvPfPK15HIP_vector_typeIfLj2EEiiiiiiS1_IjLj3EES5_S5_, .Lfunc_end19-_ZL33flash_attn_stream_k_fixup_uniformILi112ELi16ELi4EEvPfPK15HIP_vector_typeIfLj2EEiiiiiiS1_IjLj3EES5_S5_
                                        ; -- End function
	.set _ZL33flash_attn_stream_k_fixup_uniformILi112ELi16ELi4EEvPfPK15HIP_vector_typeIfLj2EEiiiiiiS1_IjLj3EES5_S5_.num_vgpr, 17
	.set _ZL33flash_attn_stream_k_fixup_uniformILi112ELi16ELi4EEvPfPK15HIP_vector_typeIfLj2EEiiiiiiS1_IjLj3EES5_S5_.num_agpr, 0
	.set _ZL33flash_attn_stream_k_fixup_uniformILi112ELi16ELi4EEvPfPK15HIP_vector_typeIfLj2EEiiiiiiS1_IjLj3EES5_S5_.numbered_sgpr, 20
	.set _ZL33flash_attn_stream_k_fixup_uniformILi112ELi16ELi4EEvPfPK15HIP_vector_typeIfLj2EEiiiiiiS1_IjLj3EES5_S5_.num_named_barrier, 0
	.set _ZL33flash_attn_stream_k_fixup_uniformILi112ELi16ELi4EEvPfPK15HIP_vector_typeIfLj2EEiiiiiiS1_IjLj3EES5_S5_.private_seg_size, 0
	.set _ZL33flash_attn_stream_k_fixup_uniformILi112ELi16ELi4EEvPfPK15HIP_vector_typeIfLj2EEiiiiiiS1_IjLj3EES5_S5_.uses_vcc, 1
	.set _ZL33flash_attn_stream_k_fixup_uniformILi112ELi16ELi4EEvPfPK15HIP_vector_typeIfLj2EEiiiiiiS1_IjLj3EES5_S5_.uses_flat_scratch, 0
	.set _ZL33flash_attn_stream_k_fixup_uniformILi112ELi16ELi4EEvPfPK15HIP_vector_typeIfLj2EEiiiiiiS1_IjLj3EES5_S5_.has_dyn_sized_stack, 0
	.set _ZL33flash_attn_stream_k_fixup_uniformILi112ELi16ELi4EEvPfPK15HIP_vector_typeIfLj2EEiiiiiiS1_IjLj3EES5_S5_.has_recursion, 0
	.set _ZL33flash_attn_stream_k_fixup_uniformILi112ELi16ELi4EEvPfPK15HIP_vector_typeIfLj2EEiiiiiiS1_IjLj3EES5_S5_.has_indirect_call, 0
	.section	.AMDGPU.csdata,"",@progbits
; Kernel info:
; codeLenInByte = 832
; TotalNumSgprs: 26
; NumVgprs: 17
; NumAgprs: 0
; TotalNumVgprs: 17
; ScratchSize: 0
; MemoryBound: 0
; FloatMode: 240
; IeeeMode: 1
; LDSByteSize: 0 bytes/workgroup (compile time only)
; SGPRBlocks: 3
; VGPRBlocks: 2
; NumSGPRsForWavesPerEU: 26
; NumVGPRsForWavesPerEU: 17
; AccumOffset: 20
; Occupancy: 8
; WaveLimiterHint : 0
; COMPUTE_PGM_RSRC2:SCRATCH_EN: 0
; COMPUTE_PGM_RSRC2:USER_SGPR: 2
; COMPUTE_PGM_RSRC2:TRAP_HANDLER: 0
; COMPUTE_PGM_RSRC2:TGID_X_EN: 1
; COMPUTE_PGM_RSRC2:TGID_Y_EN: 1
; COMPUTE_PGM_RSRC2:TGID_Z_EN: 1
; COMPUTE_PGM_RSRC2:TIDIG_COMP_CNT: 0
; COMPUTE_PGM_RSRC3_GFX90A:ACCUM_OFFSET: 4
; COMPUTE_PGM_RSRC3_GFX90A:TG_SPLIT: 0
	.section	.text._ZL33flash_attn_stream_k_fixup_generalILi112ELi16ELi4EEvPfPK15HIP_vector_typeIfLj2EEiiiiS1_IjLj3EES5_S5_S5_,"axG",@progbits,_ZL33flash_attn_stream_k_fixup_generalILi112ELi16ELi4EEvPfPK15HIP_vector_typeIfLj2EEiiiiS1_IjLj3EES5_S5_S5_,comdat
	.globl	_ZL33flash_attn_stream_k_fixup_generalILi112ELi16ELi4EEvPfPK15HIP_vector_typeIfLj2EEiiiiS1_IjLj3EES5_S5_S5_ ; -- Begin function _ZL33flash_attn_stream_k_fixup_generalILi112ELi16ELi4EEvPfPK15HIP_vector_typeIfLj2EEiiiiS1_IjLj3EES5_S5_S5_
	.p2align	8
	.type	_ZL33flash_attn_stream_k_fixup_generalILi112ELi16ELi4EEvPfPK15HIP_vector_typeIfLj2EEiiiiS1_IjLj3EES5_S5_S5_,@function
_ZL33flash_attn_stream_k_fixup_generalILi112ELi16ELi4EEvPfPK15HIP_vector_typeIfLj2EEiiiiS1_IjLj3EES5_S5_S5_: ; @_ZL33flash_attn_stream_k_fixup_generalILi112ELi16ELi4EEvPfPK15HIP_vector_typeIfLj2EEiiiiS1_IjLj3EES5_S5_S5_
; %bb.0:
	s_load_dwordx4 s[8:11], s[0:1], 0x10
	s_load_dword s22, s[0:1], 0x50
	s_mov_b32 s12, 0
	s_waitcnt lgkmcnt(0)
	s_mul_hi_i32 s13, s11, s2
	s_cmp_lg_u64 s[12:13], 0
	s_mul_i32 s5, s11, s2
	s_cbranch_scc0 .LBB20_20
; %bb.1:
	s_add_u32 s6, s22, 0
	s_addc_u32 s7, 0, 0
	s_xor_b64 s[6:7], s[6:7], 0
	v_cvt_f32_u32_e32 v1, s6
	v_cvt_f32_u32_e32 v2, s7
	s_sub_u32 s12, 0, s6
	s_subb_u32 s18, 0, s7
	v_fmamk_f32 v1, v2, 0x4f800000, v1
	v_rcp_f32_e32 v1, v1
	s_nop 0
	v_mul_f32_e32 v1, 0x5f7ffffc, v1
	v_mul_f32_e32 v2, 0x2f800000, v1
	v_trunc_f32_e32 v2, v2
	v_fmamk_f32 v1, v2, 0xcf800000, v1
	v_cvt_u32_f32_e32 v2, v2
	v_cvt_u32_f32_e32 v1, v1
	v_readfirstlane_b32 s19, v2
	v_readfirstlane_b32 s14, v1
	s_mul_i32 s15, s12, s19
	s_mul_hi_u32 s21, s12, s14
	s_mul_i32 s20, s18, s14
	s_add_i32 s15, s21, s15
	s_add_i32 s15, s15, s20
	s_mul_i32 s23, s12, s14
	s_mul_i32 s21, s14, s15
	s_mul_hi_u32 s24, s14, s23
	s_mul_hi_u32 s20, s14, s15
	s_add_u32 s21, s24, s21
	s_addc_u32 s20, 0, s20
	s_mul_hi_u32 s25, s19, s23
	s_mul_i32 s23, s19, s23
	s_add_u32 s21, s21, s23
	s_mul_hi_u32 s24, s19, s15
	s_addc_u32 s20, s20, s25
	s_addc_u32 s21, s24, 0
	s_mul_i32 s15, s19, s15
	s_add_u32 s15, s20, s15
	s_addc_u32 s20, 0, s21
	s_add_u32 s21, s14, s15
	s_cselect_b64 s[14:15], -1, 0
	s_cmp_lg_u64 s[14:15], 0
	s_addc_u32 s19, s19, s20
	s_mul_i32 s14, s12, s19
	s_mul_hi_u32 s15, s12, s21
	s_add_i32 s14, s15, s14
	s_mul_i32 s18, s18, s21
	s_add_i32 s14, s14, s18
	s_mul_i32 s12, s12, s21
	s_mul_hi_u32 s18, s19, s12
	s_mul_i32 s20, s19, s12
	s_mul_i32 s24, s21, s14
	s_mul_hi_u32 s12, s21, s12
	s_mul_hi_u32 s23, s21, s14
	s_add_u32 s12, s12, s24
	s_addc_u32 s23, 0, s23
	s_add_u32 s12, s12, s20
	s_mul_hi_u32 s15, s19, s14
	s_addc_u32 s12, s23, s18
	s_addc_u32 s15, s15, 0
	s_mul_i32 s14, s19, s14
	s_add_u32 s12, s12, s14
	s_addc_u32 s18, 0, s15
	s_add_u32 s20, s21, s12
	s_cselect_b64 s[14:15], -1, 0
	s_cmp_lg_u64 s[14:15], 0
	s_addc_u32 s18, s19, s18
	s_ashr_i32 s14, s13, 31
	s_add_u32 s12, s5, s14
	s_mov_b32 s15, s14
	s_addc_u32 s13, s13, s14
	s_xor_b64 s[12:13], s[12:13], s[14:15]
	s_mul_i32 s21, s12, s18
	s_mul_hi_u32 s23, s12, s20
	s_mul_hi_u32 s19, s12, s18
	s_add_u32 s21, s23, s21
	s_addc_u32 s19, 0, s19
	s_mul_hi_u32 s24, s13, s20
	s_mul_i32 s20, s13, s20
	s_add_u32 s20, s21, s20
	s_mul_hi_u32 s23, s13, s18
	s_addc_u32 s19, s19, s24
	s_addc_u32 s20, s23, 0
	s_mul_i32 s18, s13, s18
	s_add_u32 s23, s19, s18
	s_addc_u32 s24, 0, s20
	s_mul_i32 s18, s6, s24
	s_mul_hi_u32 s19, s6, s23
	s_add_i32 s18, s19, s18
	s_mul_i32 s19, s7, s23
	s_add_i32 s25, s18, s19
	s_sub_i32 s20, s13, s25
	s_mul_i32 s18, s6, s23
	s_sub_u32 s12, s12, s18
	s_cselect_b64 s[18:19], -1, 0
	s_cmp_lg_u64 s[18:19], 0
	s_subb_u32 s26, s20, s7
	s_sub_u32 s27, s12, s6
	s_cselect_b64 s[20:21], -1, 0
	s_cmp_lg_u64 s[20:21], 0
	s_subb_u32 s20, s26, 0
	s_cmp_ge_u32 s20, s7
	s_cselect_b32 s21, -1, 0
	s_cmp_ge_u32 s27, s6
	s_cselect_b32 s26, -1, 0
	s_cmp_eq_u32 s20, s7
	s_cselect_b32 s20, s26, s21
	s_add_u32 s21, s23, 1
	s_addc_u32 s26, s24, 0
	s_add_u32 s27, s23, 2
	s_addc_u32 s28, s24, 0
	s_cmp_lg_u32 s20, 0
	s_cselect_b32 s20, s27, s21
	s_cselect_b32 s21, s28, s26
	s_cmp_lg_u64 s[18:19], 0
	s_subb_u32 s13, s13, s25
	s_cmp_ge_u32 s13, s7
	s_cselect_b32 s18, -1, 0
	s_cmp_ge_u32 s12, s6
	s_cselect_b32 s6, -1, 0
	s_cmp_eq_u32 s13, s7
	s_cselect_b32 s6, s6, s18
	s_cmp_lg_u32 s6, 0
	s_cselect_b32 s7, s21, s24
	s_cselect_b32 s6, s20, s23
	s_xor_b64 s[12:13], s[14:15], 0
	s_xor_b64 s[6:7], s[6:7], s[12:13]
	s_sub_u32 s6, s6, s12
	s_load_dwordx4 s[12:15], s[0:1], 0x44
	s_cbranch_execnz .LBB20_3
.LBB20_2:
	v_cvt_f32_u32_e32 v1, s22
	s_sub_i32 s6, 0, s22
	v_rcp_iflag_f32_e32 v1, v1
	s_nop 0
	v_mul_f32_e32 v1, 0x4f7ffffe, v1
	v_cvt_u32_f32_e32 v1, v1
	s_nop 0
	v_readfirstlane_b32 s7, v1
	s_mul_i32 s6, s6, s7
	s_mul_hi_u32 s6, s7, s6
	s_add_i32 s7, s7, s6
	s_mul_hi_u32 s6, s5, s7
	s_waitcnt lgkmcnt(0)
	s_mul_i32 s15, s6, s22
	s_sub_i32 s5, s5, s15
	s_add_i32 s7, s6, 1
	s_sub_i32 s15, s5, s22
	s_cmp_ge_u32 s5, s22
	s_cselect_b32 s6, s7, s6
	s_cselect_b32 s5, s15, s5
	s_add_i32 s7, s6, 1
	s_cmp_ge_u32 s5, s22
	s_cselect_b32 s6, s7, s6
.LBB20_3:
	s_add_i32 s5, s2, 1
	s_mul_hi_i32 s21, s11, s5
	s_mov_b32 s20, 0
	s_cmp_lg_u64 s[20:21], 0
	s_mul_i32 s5, s11, s5
	s_cbranch_scc0 .LBB20_21
; %bb.4:
	s_add_u32 s16, s22, 0
	s_addc_u32 s17, 0, 0
	s_xor_b64 s[18:19], s[16:17], 0
	v_cvt_f32_u32_e32 v1, s18
	v_cvt_f32_u32_e32 v2, s19
	s_sub_u32 s7, 0, s18
	s_waitcnt lgkmcnt(0)
	s_subb_u32 s15, 0, s19
	v_fmamk_f32 v1, v2, 0x4f800000, v1
	v_rcp_f32_e32 v1, v1
	s_nop 0
	v_mul_f32_e32 v1, 0x5f7ffffc, v1
	v_mul_f32_e32 v2, 0x2f800000, v1
	v_trunc_f32_e32 v2, v2
	v_fmamk_f32 v1, v2, 0xcf800000, v1
	v_cvt_u32_f32_e32 v2, v2
	v_cvt_u32_f32_e32 v1, v1
	v_readfirstlane_b32 s20, v2
	v_readfirstlane_b32 s23, v1
	s_mul_i32 s24, s7, s20
	s_mul_hi_u32 s26, s7, s23
	s_mul_i32 s25, s15, s23
	s_add_i32 s24, s26, s24
	s_add_i32 s24, s24, s25
	s_mul_i32 s27, s7, s23
	s_mul_i32 s26, s23, s24
	s_mul_hi_u32 s28, s23, s27
	s_mul_hi_u32 s25, s23, s24
	s_add_u32 s26, s28, s26
	s_addc_u32 s25, 0, s25
	s_mul_hi_u32 s29, s20, s27
	s_mul_i32 s27, s20, s27
	s_add_u32 s26, s26, s27
	s_mul_hi_u32 s28, s20, s24
	s_addc_u32 s25, s25, s29
	s_addc_u32 s26, s28, 0
	s_mul_i32 s24, s20, s24
	s_add_u32 s24, s25, s24
	s_addc_u32 s26, 0, s26
	s_add_u32 s23, s23, s24
	s_cselect_b64 s[24:25], -1, 0
	s_cmp_lg_u64 s[24:25], 0
	s_addc_u32 s20, s20, s26
	s_mul_i32 s24, s7, s20
	s_mul_hi_u32 s25, s7, s23
	s_add_i32 s24, s25, s24
	s_mul_i32 s15, s15, s23
	s_add_i32 s24, s24, s15
	s_mul_i32 s7, s7, s23
	s_mul_hi_u32 s25, s20, s7
	s_mul_i32 s26, s20, s7
	s_mul_i32 s28, s23, s24
	s_mul_hi_u32 s7, s23, s7
	s_mul_hi_u32 s27, s23, s24
	s_add_u32 s7, s7, s28
	s_addc_u32 s27, 0, s27
	s_add_u32 s7, s7, s26
	s_mul_hi_u32 s15, s20, s24
	s_addc_u32 s7, s27, s25
	s_addc_u32 s15, s15, 0
	s_mul_i32 s24, s20, s24
	s_add_u32 s7, s7, s24
	s_addc_u32 s15, 0, s15
	s_add_u32 s7, s23, s7
	s_cselect_b64 s[24:25], -1, 0
	s_cmp_lg_u64 s[24:25], 0
	s_addc_u32 s15, s20, s15
	s_ashr_i32 s24, s21, 31
	s_add_u32 s20, s5, s24
	s_mov_b32 s25, s24
	s_addc_u32 s21, s21, s24
	s_xor_b64 s[20:21], s[20:21], s[24:25]
	s_mul_i32 s26, s20, s15
	s_mul_hi_u32 s27, s20, s7
	s_mul_hi_u32 s23, s20, s15
	s_add_u32 s26, s27, s26
	s_addc_u32 s23, 0, s23
	s_mul_hi_u32 s28, s21, s7
	s_mul_i32 s7, s21, s7
	s_add_u32 s7, s26, s7
	s_mul_hi_u32 s27, s21, s15
	s_addc_u32 s7, s23, s28
	s_addc_u32 s23, s27, 0
	s_mul_i32 s15, s21, s15
	s_add_u32 s7, s7, s15
	s_addc_u32 s15, 0, s23
	s_mul_i32 s23, s18, s15
	s_mul_hi_u32 s26, s18, s7
	s_add_i32 s23, s26, s23
	s_mul_i32 s26, s19, s7
	s_add_i32 s23, s23, s26
	s_sub_i32 s28, s21, s23
	s_mul_i32 s26, s18, s7
	s_sub_u32 s20, s20, s26
	s_cselect_b64 s[26:27], -1, 0
	s_cmp_lg_u64 s[26:27], 0
	s_subb_u32 s30, s28, s19
	s_sub_u32 s31, s20, s18
	s_cselect_b64 s[28:29], -1, 0
	s_cmp_lg_u64 s[28:29], 0
	s_subb_u32 s28, s30, 0
	s_cmp_ge_u32 s28, s19
	s_cselect_b32 s29, -1, 0
	s_cmp_ge_u32 s31, s18
	s_cselect_b32 s30, -1, 0
	s_cmp_eq_u32 s28, s19
	s_cselect_b32 s28, s30, s29
	s_add_u32 s29, s7, 1
	s_addc_u32 s30, s15, 0
	s_add_u32 s31, s7, 2
	s_addc_u32 s33, s15, 0
	s_cmp_lg_u32 s28, 0
	s_cselect_b32 s28, s31, s29
	s_cselect_b32 s29, s33, s30
	s_cmp_lg_u64 s[26:27], 0
	s_subb_u32 s21, s21, s23
	s_cmp_ge_u32 s21, s19
	s_cselect_b32 s23, -1, 0
	s_cmp_ge_u32 s20, s18
	s_cselect_b32 s18, -1, 0
	s_cmp_eq_u32 s21, s19
	s_cselect_b32 s18, s18, s23
	s_cmp_lg_u32 s18, 0
	s_cselect_b32 s19, s29, s15
	s_cselect_b32 s18, s28, s7
	s_xor_b64 s[20:21], s[24:25], 0
	s_xor_b64 s[18:19], s[18:19], s[20:21]
	s_sub_u32 s18, s18, s20
	s_cbranch_execnz .LBB20_6
.LBB20_5:
	v_cvt_f32_u32_e32 v1, s22
	s_sub_i32 s7, 0, s22
	v_rcp_iflag_f32_e32 v1, v1
	s_nop 0
	v_mul_f32_e32 v1, 0x4f7ffffe, v1
	v_cvt_u32_f32_e32 v1, v1
	s_waitcnt lgkmcnt(0)
	v_readfirstlane_b32 s15, v1
	s_mul_i32 s7, s7, s15
	s_mul_hi_u32 s7, s15, s7
	s_add_i32 s15, s15, s7
	s_mul_hi_u32 s7, s5, s15
	s_mul_i32 s16, s7, s22
	s_sub_i32 s5, s5, s16
	s_add_i32 s15, s7, 1
	s_sub_i32 s16, s5, s22
	s_cmp_ge_u32 s5, s22
	s_cselect_b32 s7, s15, s7
	s_cselect_b32 s5, s16, s5
	s_add_i32 s15, s7, 1
	s_cmp_ge_u32 s5, s22
	s_cselect_b32 s18, s15, s7
.LBB20_6:
	s_cmp_eq_u32 s6, s18
	s_waitcnt lgkmcnt(0)
	s_mul_hi_u32 s5, s6, s12
	s_cselect_b64 s[16:17], -1, 0
	s_add_i32 s5, s5, s6
	s_lshr_b32 s7, s5, s13
	s_mul_i32 s5, s7, s14
	s_cmp_eq_u32 s5, s6
	s_mul_hi_u32 s5, s18, s12
	s_cselect_b64 s[20:21], -1, 0
	s_add_i32 s5, s5, s18
	s_lshr_b32 s5, s5, s13
	s_cmp_eq_u32 s7, s5
	s_mul_i32 s5, s5, s14
	s_cselect_b64 s[24:25], -1, 0
	s_cmp_lg_u32 s5, s18
	s_cselect_b64 s[18:19], -1, 0
	s_and_b64 s[18:19], s[24:25], s[18:19]
	s_or_b64 s[16:17], s[16:17], s[20:21]
	s_or_b64 s[16:17], s[16:17], s[18:19]
	s_and_b64 vcc, exec, s[16:17]
	s_cbranch_vccnz .LBB20_23
; %bb.7:
	s_load_dwordx8 s[24:31], s[0:1], 0x20
	s_load_dword s5, s[0:1], 0x40
	s_waitcnt lgkmcnt(0)
	s_mul_hi_u32 s15, s6, s24
	s_add_i32 s15, s15, s6
	s_lshr_b32 s20, s15, s25
	s_mul_i32 s15, s20, s26
	s_sub_i32 s15, s6, s15
	s_mul_hi_u32 s16, s15, s27
	s_add_i32 s16, s15, s16
	s_lshr_b32 s21, s16, s28
	s_mul_i32 s16, s21, s29
	s_sub_i32 s15, s15, s16
	;; [unrolled: 5-line block ×3, first 2 shown]
	s_mul_hi_u32 s15, s5, s12
	s_add_i32 s5, s5, s15
	s_lshr_b32 s23, s5, s13
	s_lshl_b32 s5, s23, 4
	s_lshl_b32 s24, s16, 2
	s_add_i32 s5, s5, s3
	s_cmp_lt_i32 s5, s8
	s_cselect_b64 s[16:17], -1, 0
	s_add_i32 s24, s24, s4
	s_cmp_lt_i32 s24, s10
	s_cselect_b64 s[18:19], -1, 0
	s_and_b64 s[16:17], s[16:17], s[18:19]
	s_andn2_b64 vcc, exec, s[16:17]
	s_cbranch_vccnz .LBB20_23
; %bb.8:
	s_load_dwordx4 s[16:19], s[0:1], 0x0
	s_mov_b32 s0, 0
	s_lshl_b32 s15, s3, 2
	s_lshl_b32 s26, s22, 8
	s_mov_b32 s27, s0
	s_add_i32 s15, s15, s4
	s_lshl_b64 s[4:5], s[26:27], 2
	s_waitcnt lgkmcnt(0)
	s_add_u32 s4, s18, s4
	s_mul_i32 s1, s20, s8
	s_addc_u32 s5, s19, s5
	s_mul_i32 s21, s21, s10
	s_add_i32 s1, s1, s3
	s_mul_i32 s1, s1, s9
	s_add_i32 s3, s24, s21
	;; [unrolled: 2-line block ×3, first 2 shown]
	s_mulk_i32 s8, 0x700
	s_mulk_i32 s1, 0x70
	s_add_i32 s8, s8, s1
	v_add_u32_e32 v4, s8, v0
	v_mov_b32_e32 v2, s16
	v_mov_b32_e32 v3, s17
	v_ashrrev_i32_e32 v5, 31, v4
	v_lshl_add_u64 v[2:3], v[4:5], 2, v[2:3]
	global_load_dword v1, v[2:3], off
	v_cvt_f32_u32_e32 v4, s22
	s_lshl_b32 s1, s2, 6
	s_add_i32 s8, s15, s1
	s_ashr_i32 s9, s8, 31
	s_lshl_b64 s[8:9], s[8:9], 3
	v_rcp_iflag_f32_e32 v4, v4
	s_add_u32 s8, s18, s8
	s_addc_u32 s9, s19, s9
	s_load_dwordx2 s[8:9], s[8:9], 0x0
	v_mul_f32_e32 v4, 0x4f7ffffe, v4
	v_cvt_u32_f32_e32 v7, v4
	s_mul_i32 s1, s15, 0x70
	s_add_i32 s21, s2, -1
	v_add_u32_e32 v6, s1, v0
	s_waitcnt lgkmcnt(0)
	v_mov_b32_e32 v0, s9
	v_mov_b32_e32 v9, s8
	s_mov_b32 s10, 0x3fb8aa3b
	s_mov_b32 s20, 0xc2ce8ed0
	;; [unrolled: 1-line block ×4, first 2 shown]
	v_mov_b32_e32 v8, 0x7f800000
	s_mul_hi_i32 s1, s21, s11
	s_cmp_lg_u64 s[0:1], 0
	s_mul_i32 s16, s21, s11
	s_cbranch_scc0 .LBB20_19
.LBB20_9:
	s_add_u32 s2, s22, 0
	s_addc_u32 s3, 0, 0
	s_xor_b64 s[2:3], s[2:3], 0
	v_cvt_f32_u32_e32 v4, s2
	v_cvt_f32_u32_e32 v5, s3
	s_sub_u32 s17, 0, s2
	s_subb_u32 s25, 0, s3
	v_fmac_f32_e32 v4, 0x4f800000, v5
	v_rcp_f32_e32 v4, v4
	s_nop 0
	v_mul_f32_e32 v4, 0x5f7ffffc, v4
	v_mul_f32_e32 v5, 0x2f800000, v4
	v_trunc_f32_e32 v5, v5
	v_fmac_f32_e32 v4, 0xcf800000, v5
	v_cvt_u32_f32_e32 v5, v5
	v_cvt_u32_f32_e32 v4, v4
	v_readfirstlane_b32 s26, v5
	v_readfirstlane_b32 s8, v4
	s_mul_i32 s9, s17, s26
	s_mul_hi_u32 s28, s17, s8
	s_mul_i32 s27, s25, s8
	s_add_i32 s9, s28, s9
	s_mul_i32 s29, s17, s8
	s_add_i32 s9, s9, s27
	s_mul_i32 s28, s8, s9
	s_mul_hi_u32 s30, s8, s29
	s_mul_hi_u32 s27, s8, s9
	s_add_u32 s28, s30, s28
	s_addc_u32 s27, 0, s27
	s_mul_hi_u32 s31, s26, s29
	s_mul_i32 s29, s26, s29
	s_add_u32 s28, s28, s29
	s_mul_hi_u32 s30, s26, s9
	s_addc_u32 s27, s27, s31
	s_addc_u32 s28, s30, 0
	s_mul_i32 s9, s26, s9
	s_add_u32 s9, s27, s9
	s_addc_u32 s27, 0, s28
	s_add_u32 s28, s8, s9
	s_cselect_b64 s[8:9], -1, 0
	s_cmp_lg_u64 s[8:9], 0
	s_addc_u32 s26, s26, s27
	s_mul_i32 s8, s17, s26
	s_mul_hi_u32 s9, s17, s28
	s_add_i32 s8, s9, s8
	s_mul_i32 s25, s25, s28
	s_add_i32 s8, s8, s25
	s_mul_i32 s17, s17, s28
	s_mul_hi_u32 s25, s26, s17
	s_mul_i32 s27, s26, s17
	s_mul_i32 s30, s28, s8
	s_mul_hi_u32 s17, s28, s17
	s_mul_hi_u32 s29, s28, s8
	s_add_u32 s17, s17, s30
	s_addc_u32 s29, 0, s29
	s_add_u32 s17, s17, s27
	s_mul_hi_u32 s9, s26, s8
	s_addc_u32 s17, s29, s25
	s_addc_u32 s9, s9, 0
	s_mul_i32 s8, s26, s8
	s_add_u32 s8, s17, s8
	s_addc_u32 s17, 0, s9
	s_add_u32 s25, s28, s8
	s_cselect_b64 s[8:9], -1, 0
	s_cmp_lg_u64 s[8:9], 0
	s_addc_u32 s17, s26, s17
	s_ashr_i32 s8, s1, 31
	s_add_u32 s26, s16, s8
	s_mov_b32 s9, s8
	s_addc_u32 s27, s1, s8
	s_xor_b64 s[26:27], s[26:27], s[8:9]
	s_mul_i32 s28, s26, s17
	s_mul_hi_u32 s29, s26, s25
	s_mul_hi_u32 s1, s26, s17
	s_add_u32 s28, s29, s28
	s_addc_u32 s1, 0, s1
	s_mul_hi_u32 s30, s27, s25
	s_mul_i32 s25, s27, s25
	s_add_u32 s25, s28, s25
	s_mul_hi_u32 s29, s27, s17
	s_addc_u32 s1, s1, s30
	s_addc_u32 s25, s29, 0
	s_mul_i32 s17, s27, s17
	s_add_u32 s1, s1, s17
	s_addc_u32 s17, 0, s25
	s_mul_i32 s25, s2, s17
	s_mul_hi_u32 s28, s2, s1
	s_add_i32 s25, s28, s25
	s_mul_i32 s28, s3, s1
	s_add_i32 s25, s25, s28
	s_sub_i32 s30, s27, s25
	s_mul_i32 s28, s2, s1
	s_sub_u32 s26, s26, s28
	s_cselect_b64 s[28:29], -1, 0
	s_cmp_lg_u64 s[28:29], 0
	s_subb_u32 s33, s30, s3
	s_sub_u32 s34, s26, s2
	s_cselect_b64 s[30:31], -1, 0
	s_cmp_lg_u64 s[30:31], 0
	s_subb_u32 s30, s33, 0
	s_cmp_ge_u32 s30, s3
	s_cselect_b32 s31, -1, 0
	s_cmp_ge_u32 s34, s2
	s_cselect_b32 s33, -1, 0
	s_cmp_eq_u32 s30, s3
	s_cselect_b32 s30, s33, s31
	s_add_u32 s31, s1, 1
	s_addc_u32 s33, s17, 0
	s_add_u32 s34, s1, 2
	s_addc_u32 s35, s17, 0
	s_cmp_lg_u32 s30, 0
	s_cselect_b32 s30, s34, s31
	s_cselect_b32 s31, s35, s33
	s_cmp_lg_u64 s[28:29], 0
	s_subb_u32 s25, s27, s25
	s_cmp_ge_u32 s25, s3
	s_cselect_b32 s27, -1, 0
	s_cmp_ge_u32 s26, s2
	s_cselect_b32 s2, -1, 0
	s_cmp_eq_u32 s25, s3
	s_cselect_b32 s2, s2, s27
	s_cmp_lg_u32 s2, 0
	s_cselect_b32 s3, s31, s17
	s_cselect_b32 s2, s30, s1
	s_xor_b64 s[8:9], s[8:9], 0
	s_xor_b64 s[2:3], s[2:3], s[8:9]
	s_sub_u32 s8, s2, s8
	s_cbranch_execnz .LBB20_11
.LBB20_10:
	s_sub_i32 s1, 0, s22
	v_readfirstlane_b32 s2, v7
	s_mul_i32 s1, s1, s2
	s_mul_hi_u32 s1, s2, s1
	s_add_i32 s2, s2, s1
	s_mul_hi_u32 s1, s16, s2
	s_mul_i32 s3, s1, s22
	s_sub_i32 s3, s16, s3
	s_add_i32 s2, s1, 1
	s_sub_i32 s8, s3, s22
	s_cmp_ge_u32 s3, s22
	s_cselect_b32 s1, s2, s1
	s_cselect_b32 s3, s8, s3
	s_add_i32 s2, s1, 1
	s_cmp_ge_u32 s3, s22
	s_cselect_b32 s8, s2, s1
.LBB20_11:
	s_cmp_lg_u32 s6, s8
	s_cbranch_scc0 .LBB20_15
; %bb.12:
	s_add_i32 s1, s21, s22
	s_lshl_b32 s1, s1, 6
	s_add_i32 s2, s1, s15
	s_mov_b32 s3, s0
	s_lshl_b64 s[2:3], s[2:3], 3
	s_add_u32 s16, s18, s2
	s_mul_hi_u32 s1, s8, s12
	s_addc_u32 s17, s19, s3
	s_add_i32 s1, s1, s8
	s_lshr_b32 s1, s1, s13
	s_mul_i32 s2, s1, s14
	s_cmp_eq_u32 s2, s8
	s_cselect_b64 s[2:3], -1, 0
	s_cmp_lt_u32 s1, s7
	s_cselect_b64 s[26:27], -1, 0
	s_or_b64 s[26:27], s[26:27], s[2:3]
	s_mov_b64 s[2:3], -1
	s_and_b64 vcc, exec, s[26:27]
	s_mov_b32 s1, s21
	s_mov_b32 s25, s6
	s_cbranch_vccnz .LBB20_14
; %bb.13:
	s_add_i32 s1, s21, -1
	s_mov_b64 s[2:3], 0
	s_mov_b32 s25, s8
.LBB20_14:
	s_mul_i32 s8, s21, 0x1c00
	v_add_u32_e32 v4, s8, v6
	v_ashrrev_i32_e32 v5, 31, v4
	v_lshl_add_u64 v[4:5], v[4:5], 2, s[4:5]
	global_load_dword v5, v[4:5], off
	s_load_dwordx2 s[8:9], s[16:17], 0x0
	v_max_f32_e32 v4, v9, v9
	s_waitcnt lgkmcnt(0)
	v_max_f32_e64 v10, s8, s8
	v_max_f32_e32 v10, v4, v10
	v_sub_f32_e32 v11, v9, v10
	v_sub_f32_e32 v13, s8, v10
	v_mul_f32_e32 v4, 0x3fb8aa3b, v11
	v_mul_f32_e32 v12, 0x3fb8aa3b, v13
	v_fma_f32 v14, v11, s10, -v4
	v_rndne_f32_e32 v15, v4
	v_fma_f32 v16, v13, s10, -v12
	v_rndne_f32_e32 v17, v12
	v_fmac_f32_e32 v14, 0x32a5705f, v11
	v_sub_f32_e32 v4, v4, v15
	v_fmac_f32_e32 v16, 0x32a5705f, v13
	v_sub_f32_e32 v12, v12, v17
	v_add_f32_e32 v4, v4, v14
	v_cvt_i32_f32_e32 v15, v15
	v_add_f32_e32 v12, v12, v16
	v_exp_f32_e32 v14, v4
	v_cvt_i32_f32_e32 v17, v17
	v_exp_f32_e32 v12, v12
	v_cmp_ngt_f32_e32 vcc, s20, v11
	v_ldexp_f32 v14, v14, v15
	v_mov_b32_e32 v4, s9
	v_ldexp_f32 v12, v12, v17
	v_cndmask_b32_e32 v14, 0, v14, vcc
	v_cmp_ngt_f32_e32 vcc, s20, v13
	s_nop 1
	v_cndmask_b32_e32 v12, 0, v12, vcc
	v_cmp_nlt_f32_e32 vcc, s23, v11
	s_nop 1
	v_cndmask_b32_e32 v14, v8, v14, vcc
	v_cmp_nlt_f32_e32 vcc, s23, v13
	s_nop 1
	v_cndmask_b32_e32 v15, v8, v12, vcc
	v_cmp_le_f32_e32 vcc, s24, v11
	s_nop 1
	v_cndmask_b32_e32 v12, 0, v14, vcc
	v_cmp_le_f32_e32 vcc, s24, v13
	s_nop 1
	v_cndmask_b32_e32 v14, 0, v15, vcc
	s_waitcnt vmcnt(0)
	v_pk_mul_f32 v[4:5], v[4:5], v[14:15] op_sel_hi:[1,0]
	s_nop 0
	v_pk_fma_f32 v[4:5], v[0:1], v[12:13], v[4:5] op_sel_hi:[1,0,1]
	s_cbranch_execz .LBB20_16
	s_branch .LBB20_17
.LBB20_15:
                                        ; implicit-def: $vgpr4_vgpr5
                                        ; implicit-def: $sgpr2_sgpr3
                                        ; implicit-def: $vgpr10
                                        ; implicit-def: $sgpr1
                                        ; implicit-def: $sgpr25
.LBB20_16:
	s_add_i32 s1, s21, -1
	s_mov_b64 s[2:3], 0
	s_mov_b32 s25, s6
	v_mov_b32_e32 v10, v9
	s_waitcnt vmcnt(0)
	v_mov_b64_e32 v[4:5], v[0:1]
.LBB20_17:
	s_andn2_b64 vcc, exec, s[2:3]
	s_cbranch_vccz .LBB20_22
; %bb.18:
	s_mov_b32 s6, s25
	s_mov_b32 s21, s1
	v_mov_b32_e32 v9, v10
	s_waitcnt vmcnt(0)
	v_mov_b64_e32 v[0:1], v[4:5]
	s_mul_hi_i32 s1, s21, s11
	s_cmp_lg_u64 s[0:1], 0
	s_mul_i32 s16, s21, s11
	s_cbranch_scc1 .LBB20_9
.LBB20_19:
                                        ; implicit-def: $sgpr8_sgpr9
	s_branch .LBB20_10
.LBB20_20:
                                        ; implicit-def: $sgpr6_sgpr7
	s_load_dwordx4 s[12:15], s[0:1], 0x44
	s_branch .LBB20_2
.LBB20_21:
                                        ; implicit-def: $sgpr18_sgpr19
	s_branch .LBB20_5
.LBB20_22:
	v_div_scale_f32 v0, s[0:1], v4, v4, v5
	s_waitcnt vmcnt(0)
	v_rcp_f32_e32 v1, v0
	v_div_scale_f32 v6, vcc, v5, v4, v5
	v_fma_f32 v7, -v0, v1, 1.0
	v_fmac_f32_e32 v1, v7, v1
	v_mul_f32_e32 v7, v6, v1
	v_fma_f32 v8, -v0, v7, v6
	v_fmac_f32_e32 v7, v8, v1
	v_fma_f32 v0, -v0, v7, v6
	v_div_fmas_f32 v0, v0, v1, v7
	v_div_fixup_f32 v0, v0, v4, v5
	global_store_dword v[2:3], v0, off
.LBB20_23:
	s_endpgm
	.section	.rodata,"a",@progbits
	.p2align	6, 0x0
	.amdhsa_kernel _ZL33flash_attn_stream_k_fixup_generalILi112ELi16ELi4EEvPfPK15HIP_vector_typeIfLj2EEiiiiS1_IjLj3EES5_S5_S5_
		.amdhsa_group_segment_fixed_size 0
		.amdhsa_private_segment_fixed_size 0
		.amdhsa_kernarg_size 336
		.amdhsa_user_sgpr_count 2
		.amdhsa_user_sgpr_dispatch_ptr 0
		.amdhsa_user_sgpr_queue_ptr 0
		.amdhsa_user_sgpr_kernarg_segment_ptr 1
		.amdhsa_user_sgpr_dispatch_id 0
		.amdhsa_user_sgpr_kernarg_preload_length 0
		.amdhsa_user_sgpr_kernarg_preload_offset 0
		.amdhsa_user_sgpr_private_segment_size 0
		.amdhsa_uses_dynamic_stack 0
		.amdhsa_enable_private_segment 0
		.amdhsa_system_sgpr_workgroup_id_x 1
		.amdhsa_system_sgpr_workgroup_id_y 1
		.amdhsa_system_sgpr_workgroup_id_z 1
		.amdhsa_system_sgpr_workgroup_info 0
		.amdhsa_system_vgpr_workitem_id 0
		.amdhsa_next_free_vgpr 18
		.amdhsa_next_free_sgpr 36
		.amdhsa_accum_offset 20
		.amdhsa_reserve_vcc 1
		.amdhsa_float_round_mode_32 0
		.amdhsa_float_round_mode_16_64 0
		.amdhsa_float_denorm_mode_32 3
		.amdhsa_float_denorm_mode_16_64 3
		.amdhsa_dx10_clamp 1
		.amdhsa_ieee_mode 1
		.amdhsa_fp16_overflow 0
		.amdhsa_tg_split 0
		.amdhsa_exception_fp_ieee_invalid_op 0
		.amdhsa_exception_fp_denorm_src 0
		.amdhsa_exception_fp_ieee_div_zero 0
		.amdhsa_exception_fp_ieee_overflow 0
		.amdhsa_exception_fp_ieee_underflow 0
		.amdhsa_exception_fp_ieee_inexact 0
		.amdhsa_exception_int_div_zero 0
	.end_amdhsa_kernel
	.section	.text._ZL33flash_attn_stream_k_fixup_generalILi112ELi16ELi4EEvPfPK15HIP_vector_typeIfLj2EEiiiiS1_IjLj3EES5_S5_S5_,"axG",@progbits,_ZL33flash_attn_stream_k_fixup_generalILi112ELi16ELi4EEvPfPK15HIP_vector_typeIfLj2EEiiiiS1_IjLj3EES5_S5_S5_,comdat
.Lfunc_end20:
	.size	_ZL33flash_attn_stream_k_fixup_generalILi112ELi16ELi4EEvPfPK15HIP_vector_typeIfLj2EEiiiiS1_IjLj3EES5_S5_S5_, .Lfunc_end20-_ZL33flash_attn_stream_k_fixup_generalILi112ELi16ELi4EEvPfPK15HIP_vector_typeIfLj2EEiiiiS1_IjLj3EES5_S5_S5_
                                        ; -- End function
	.set _ZL33flash_attn_stream_k_fixup_generalILi112ELi16ELi4EEvPfPK15HIP_vector_typeIfLj2EEiiiiS1_IjLj3EES5_S5_S5_.num_vgpr, 18
	.set _ZL33flash_attn_stream_k_fixup_generalILi112ELi16ELi4EEvPfPK15HIP_vector_typeIfLj2EEiiiiS1_IjLj3EES5_S5_S5_.num_agpr, 0
	.set _ZL33flash_attn_stream_k_fixup_generalILi112ELi16ELi4EEvPfPK15HIP_vector_typeIfLj2EEiiiiS1_IjLj3EES5_S5_S5_.numbered_sgpr, 36
	.set _ZL33flash_attn_stream_k_fixup_generalILi112ELi16ELi4EEvPfPK15HIP_vector_typeIfLj2EEiiiiS1_IjLj3EES5_S5_S5_.num_named_barrier, 0
	.set _ZL33flash_attn_stream_k_fixup_generalILi112ELi16ELi4EEvPfPK15HIP_vector_typeIfLj2EEiiiiS1_IjLj3EES5_S5_S5_.private_seg_size, 0
	.set _ZL33flash_attn_stream_k_fixup_generalILi112ELi16ELi4EEvPfPK15HIP_vector_typeIfLj2EEiiiiS1_IjLj3EES5_S5_S5_.uses_vcc, 1
	.set _ZL33flash_attn_stream_k_fixup_generalILi112ELi16ELi4EEvPfPK15HIP_vector_typeIfLj2EEiiiiS1_IjLj3EES5_S5_S5_.uses_flat_scratch, 0
	.set _ZL33flash_attn_stream_k_fixup_generalILi112ELi16ELi4EEvPfPK15HIP_vector_typeIfLj2EEiiiiS1_IjLj3EES5_S5_S5_.has_dyn_sized_stack, 0
	.set _ZL33flash_attn_stream_k_fixup_generalILi112ELi16ELi4EEvPfPK15HIP_vector_typeIfLj2EEiiiiS1_IjLj3EES5_S5_S5_.has_recursion, 0
	.set _ZL33flash_attn_stream_k_fixup_generalILi112ELi16ELi4EEvPfPK15HIP_vector_typeIfLj2EEiiiiS1_IjLj3EES5_S5_S5_.has_indirect_call, 0
	.section	.AMDGPU.csdata,"",@progbits
; Kernel info:
; codeLenInByte = 2944
; TotalNumSgprs: 42
; NumVgprs: 18
; NumAgprs: 0
; TotalNumVgprs: 18
; ScratchSize: 0
; MemoryBound: 0
; FloatMode: 240
; IeeeMode: 1
; LDSByteSize: 0 bytes/workgroup (compile time only)
; SGPRBlocks: 5
; VGPRBlocks: 2
; NumSGPRsForWavesPerEU: 42
; NumVGPRsForWavesPerEU: 18
; AccumOffset: 20
; Occupancy: 8
; WaveLimiterHint : 0
; COMPUTE_PGM_RSRC2:SCRATCH_EN: 0
; COMPUTE_PGM_RSRC2:USER_SGPR: 2
; COMPUTE_PGM_RSRC2:TRAP_HANDLER: 0
; COMPUTE_PGM_RSRC2:TGID_X_EN: 1
; COMPUTE_PGM_RSRC2:TGID_Y_EN: 1
; COMPUTE_PGM_RSRC2:TGID_Z_EN: 1
; COMPUTE_PGM_RSRC2:TIDIG_COMP_CNT: 0
; COMPUTE_PGM_RSRC3_GFX90A:ACCUM_OFFSET: 4
; COMPUTE_PGM_RSRC3_GFX90A:TG_SPLIT: 0
	.section	.text._ZL15flash_attn_tileILi112ELi112ELi8ELi4ELb0EEvPKcS1_S1_S1_S1_PKiPfP15HIP_vector_typeIfLj2EEffffjfiS5_IjLj3EEiiiiiiiiiiiliiliiiiil,"axG",@progbits,_ZL15flash_attn_tileILi112ELi112ELi8ELi4ELb0EEvPKcS1_S1_S1_S1_PKiPfP15HIP_vector_typeIfLj2EEffffjfiS5_IjLj3EEiiiiiiiiiiiliiliiiiil,comdat
	.globl	_ZL15flash_attn_tileILi112ELi112ELi8ELi4ELb0EEvPKcS1_S1_S1_S1_PKiPfP15HIP_vector_typeIfLj2EEffffjfiS5_IjLj3EEiiiiiiiiiiiliiliiiiil ; -- Begin function _ZL15flash_attn_tileILi112ELi112ELi8ELi4ELb0EEvPKcS1_S1_S1_S1_PKiPfP15HIP_vector_typeIfLj2EEffffjfiS5_IjLj3EEiiiiiiiiiiiliiliiiiil
	.p2align	8
	.type	_ZL15flash_attn_tileILi112ELi112ELi8ELi4ELb0EEvPKcS1_S1_S1_S1_PKiPfP15HIP_vector_typeIfLj2EEffffjfiS5_IjLj3EEiiiiiiiiiiiliiliiiiil,@function
_ZL15flash_attn_tileILi112ELi112ELi8ELi4ELb0EEvPKcS1_S1_S1_S1_PKiPfP15HIP_vector_typeIfLj2EEffffjfiS5_IjLj3EEiiiiiiiiiiiliiliiiiil: ; @_ZL15flash_attn_tileILi112ELi112ELi8ELi4ELb0EEvPKcS1_S1_S1_S1_PKiPfP15HIP_vector_typeIfLj2EEffffjfiS5_IjLj3EEiiiiiiiiiiiliiliiiiil
; %bb.0:
	s_load_dwordx4 s[52:55], s[0:1], 0x5c
	s_load_dwordx2 s[56:57], s[0:1], 0x80
	s_load_dwordx16 s[36:51], s[0:1], 0x0
	s_mov_b64 s[58:59], 0
	s_waitcnt lgkmcnt(0)
	s_ashr_i32 s5, s55, 31
	s_lshr_b32 s5, s5, 30
	s_add_i32 s5, s55, s5
	s_ashr_i32 s5, s5, 2
	v_cvt_f32_u32_e32 v1, s5
	s_sub_i32 s6, 0, s5
	v_rcp_iflag_f32_e32 v1, v1
	s_nop 0
	v_mul_f32_e32 v1, 0x4f7ffffe, v1
	v_cvt_u32_f32_e32 v1, v1
	s_nop 0
	v_readfirstlane_b32 s7, v1
	s_mul_i32 s6, s6, s7
	s_mul_hi_u32 s6, s7, s6
	s_add_i32 s7, s7, s6
	s_mul_hi_u32 s6, s4, s7
	s_mul_i32 s7, s6, s5
	s_sub_i32 s7, s4, s7
	s_add_i32 s8, s6, 1
	s_sub_i32 s9, s7, s5
	s_cmp_ge_u32 s7, s5
	s_cselect_b32 s6, s8, s6
	s_cselect_b32 s7, s9, s7
	s_add_i32 s8, s6, 1
	s_cmp_ge_u32 s7, s5
	s_cselect_b32 s33, s8, s6
	s_abs_i32 s5, s57
	v_cvt_f32_u32_e32 v1, s5
	s_sub_i32 s8, 0, s5
	s_abs_i32 s7, s55
	s_xor_b32 s6, s55, s57
	v_rcp_iflag_f32_e32 v1, v1
	s_lshl_b32 s4, s4, 2
	s_ashr_i32 s6, s6, 31
	v_mul_f32_e32 v1, 0x4f7ffffe, v1
	v_cvt_u32_f32_e32 v1, v1
	s_nop 0
	v_readfirstlane_b32 s9, v1
	s_mul_i32 s8, s8, s9
	s_mul_hi_u32 s8, s9, s8
	s_add_i32 s9, s9, s8
	s_mul_hi_u32 s8, s7, s9
	s_mul_i32 s9, s8, s5
	s_sub_i32 s7, s7, s9
	s_add_i32 s10, s8, 1
	s_sub_i32 s9, s7, s5
	s_cmp_ge_u32 s7, s5
	s_cselect_b32 s8, s10, s8
	s_cselect_b32 s7, s9, s7
	s_add_i32 s9, s8, 1
	s_cmp_ge_u32 s7, s5
	s_cselect_b32 s5, s9, s8
	s_xor_b32 s5, s5, s6
	s_sub_i32 s13, s5, s6
	s_abs_i32 s12, s13
	v_cvt_f32_u32_e32 v1, s12
	s_load_dwordx2 s[8:9], s[0:1], 0xb8
	s_mul_i32 s5, s33, s55
	s_cmp_eq_u64 s[42:43], 0
	v_rcp_iflag_f32_e32 v1, v1
	s_nop 0
	v_mul_f32_e32 v1, 0x4f7ffffe, v1
	v_cvt_u32_f32_e32 v1, v1
	s_nop 0
	v_readfirstlane_b32 s14, v1
	s_cbranch_scc1 .LBB21_2
; %bb.1:
	s_waitcnt lgkmcnt(0)
	s_abs_i32 s8, s8
	v_cvt_f32_u32_e32 v1, s8
	s_sub_i32 s15, 0, s8
	s_abs_i32 s11, s33
	s_ashr_i32 s10, s33, 31
	v_rcp_iflag_f32_e32 v1, v1
	s_load_dwordx2 s[6:7], s[0:1], 0xc8
	v_mul_f32_e32 v1, 0x4f7ffffe, v1
	v_cvt_u32_f32_e32 v1, v1
	s_nop 0
	v_readfirstlane_b32 s16, v1
	s_mul_i32 s15, s15, s16
	s_mul_hi_u32 s15, s16, s15
	s_add_i32 s16, s16, s15
	s_mul_hi_u32 s15, s11, s16
	s_mul_i32 s15, s15, s8
	s_sub_i32 s11, s11, s15
	s_sub_i32 s15, s11, s8
	s_cmp_ge_u32 s11, s8
	s_cselect_b32 s11, s15, s11
	s_sub_i32 s15, s11, s8
	s_cmp_ge_u32 s11, s8
	s_cselect_b32 s8, s15, s11
	s_xor_b32 s8, s8, s10
	s_sub_i32 s8, s8, s10
	s_ashr_i32 s10, s8, 31
	s_waitcnt lgkmcnt(0)
	s_mul_hi_u32 s11, s6, s8
	s_mul_i32 s10, s6, s10
	s_mul_i32 s7, s7, s8
	s_add_i32 s10, s11, s10
	s_add_i32 s10, s10, s7
	s_mul_i32 s6, s6, s8
	s_add_u32 s58, s42, s6
	s_addc_u32 s59, s43, s10
.LBB21_2:
	v_bfe_u32 v1, v0, 10, 10
	v_lshl_add_u32 v69, s2, 3, v1
	v_and_b32_e32 v70, 0x3ff, v0
	v_mul_hi_u32 v0, s52, v69
	v_add_u32_e32 v0, v69, v0
	v_lshrrev_b32_e32 v0, s53, v0
	v_mul_lo_u32 v0, v0, s54
	s_sub_i32 s34, s4, s5
	v_cmp_gt_u32_e64 s[30:31], 28, v70
	v_sub_u32_e32 v0, v69, v0
	v_lshlrev_b32_e32 v68, 2, v70
	v_lshlrev_b32_e32 v71, 3, v70
	s_and_saveexec_b64 s[10:11], s[30:31]
	s_cbranch_execz .LBB21_4
; %bb.3:
	s_load_dwordx4 s[4:7], s[0:1], 0x70
	s_waitcnt lgkmcnt(0)
	s_mul_i32 s7, s33, s6
	s_ashr_i32 s15, s7, 31
	s_mul_i32 s8, s34, s5
	s_add_u32 s7, s36, s7
	s_addc_u32 s15, s37, s15
	s_ashr_i32 s17, s8, 31
	s_add_u32 s16, s7, s8
	s_mov_b32 s6, s4
	s_addc_u32 s17, s15, s17
	s_ashr_i32 s7, s4, 31
	s_lshr_b64 s[18:19], s[6:7], 2
	s_lshr_b32 s4, s7, 2
	v_mad_u64_u32 v[2:3], s[6:7], s18, v0, 0
	v_mov_b32_e32 v4, v3
	v_mad_u64_u32 v[4:5], s[6:7], s4, v0, v[4:5]
	v_mov_b32_e32 v3, v4
	v_lshl_add_u64 v[2:3], v[2:3], 2, s[16:17]
	v_lshlrev_b32_e32 v4, 2, v68
	v_mov_b32_e32 v5, 0
	s_ashr_i32 s7, s5, 31
	s_mov_b32 s6, s5
	v_lshl_add_u64 v[14:15], v[2:3], 0, v[4:5]
	s_lshr_b64 s[16:17], s[6:7], 2
	s_and_b32 s6, s5, -4
	global_load_dwordx4 v[2:5], v[14:15], off
	v_lshl_add_u64 v[6:7], v[14:15], 0, s[6:7]
	v_lshl_add_u64 v[10:11], s[16:17], 3, v[14:15]
	v_mad_u64_u32 v[14:15], s[4:5], s16, 12, v[14:15]
	global_load_dwordx4 v[6:9], v[6:7], off
	v_mov_b32_e32 v16, v15
	global_load_dwordx4 v[10:13], v[10:11], off
	v_mad_u64_u32 v[16:17], s[4:5], s7, 12, v[16:17]
	v_mov_b32_e32 v15, v16
	global_load_dwordx4 v[14:17], v[14:15], off
	s_load_dword s4, s[0:1], 0x40
	s_movk_i32 s5, 0x380
	v_mad_u32_u24 v18, v1, s5, v71
	s_waitcnt vmcnt(3) lgkmcnt(0)
	v_fma_mixlo_f16 v2, s4, v2, 0
	v_fma_mixlo_f16 v3, s4, v3, 0
	;; [unrolled: 1-line block ×4, first 2 shown]
	v_lshlrev_b32_e32 v3, 16, v3
	v_and_b32_e32 v2, 0xffff, v2
	v_lshlrev_b32_e32 v5, 16, v5
	v_and_b32_e32 v4, 0xffff, v4
	s_waitcnt vmcnt(2)
	v_fma_mixlo_f16 v6, s4, v6, 0
	v_fma_mixlo_f16 v7, s4, v7, 0
	;; [unrolled: 1-line block ×4, first 2 shown]
	s_waitcnt vmcnt(1)
	v_fma_mixlo_f16 v10, s4, v10, 0
	v_fma_mixlo_f16 v11, s4, v11, 0
	v_or_b32_e32 v2, v3, v2
	v_or3_b32 v3, v5, v4, 0
	v_lshlrev_b32_e32 v4, 16, v7
	v_and_b32_e32 v5, 0xffff, v6
	v_fma_mixlo_f16 v12, s4, v12, 0
	v_fma_mixlo_f16 v13, s4, v13, 0
	v_lshlrev_b32_e32 v6, 16, v9
	v_and_b32_e32 v7, 0xffff, v8
	v_lshlrev_b32_e32 v8, 16, v11
	v_and_b32_e32 v9, 0xffff, v10
	v_or_b32_e32 v4, v4, v5
	v_lshlrev_b32_e32 v10, 16, v13
	v_and_b32_e32 v11, 0xffff, v12
	v_or3_b32 v2, 0, 0, v2
	v_or3_b32 v5, v6, v7, 0
	v_or_b32_e32 v6, v8, v9
	v_or3_b32 v4, 0, 0, v4
	s_waitcnt vmcnt(0)
	v_fma_mixlo_f16 v8, s4, v14, 0
	v_fma_mixlo_f16 v9, s4, v15, 0
	v_or3_b32 v7, v10, v11, 0
	v_fma_mixlo_f16 v10, s4, v16, 0
	v_fma_mixlo_f16 v11, s4, v17, 0
	ds_write2_b64 v18, v[2:3], v[4:5] offset1:28
	v_lshlrev_b32_e32 v2, 16, v9
	v_and_b32_e32 v3, 0xffff, v8
	v_lshlrev_b32_e32 v4, 16, v11
	v_and_b32_e32 v5, 0xffff, v10
	v_or_b32_e32 v2, v2, v3
	v_or3_b32 v6, 0, 0, v6
	v_or3_b32 v3, v4, v5, 0
	;; [unrolled: 1-line block ×3, first 2 shown]
	ds_write2_b64 v18, v[6:7], v[2:3] offset0:56 offset1:84
.LBB21_4:
	s_or_b64 exec, exec, s[10:11]
	s_cmp_eq_u64 s[46:47], 0
	s_waitcnt lgkmcnt(0)
	s_barrier
	s_cbranch_scc1 .LBB21_6
; %bb.5:
	s_load_dword s4, s[0:1], 0xd0
	s_mov_b32 s5, 0
	s_waitcnt lgkmcnt(0)
	s_mul_i32 s4, s4, s33
	s_add_i32 s4, s4, s2
	s_lshl_b64 s[4:5], s[4:5], 2
	s_add_u32 s4, s46, s4
	s_addc_u32 s5, s47, s5
	s_load_dword s56, s[4:5], 0x0
.LBB21_6:
	s_lshl_b32 s2, s3, 5
	s_waitcnt lgkmcnt(0)
	s_cmp_lt_i32 s2, s56
	v_mbcnt_lo_u32_b32 v2, -1, 0
	s_cbranch_scc1 .LBB21_29
; %bb.7:
	v_mbcnt_hi_u32_b32 v106, -1, v2
	v_and_b32_e32 v3, 0x60, v106
	v_add_u32_e32 v124, 32, v3
	v_xor_b32_e32 v121, 16, v106
	v_xor_b32_e32 v122, 8, v106
	;; [unrolled: 1-line block ×5, first 2 shown]
	s_cbranch_execz .LBB21_30
; %bb.8:
	v_mov_b32_e32 v73, 0
	v_mov_b32_e32 v107, 0
	;; [unrolled: 1-line block ×16, first 2 shown]
.LBB21_9:
	v_cmp_lt_i32_e32 vcc, v121, v124
	s_cmp_lg_u64 s[44:45], 0
	s_cselect_b64 s[4:5], -1, 0
	v_cndmask_b32_e32 v4, v106, v121, vcc
	v_cmp_lt_i32_e32 vcc, v122, v124
	v_lshlrev_b32_e32 v7, 2, v4
	ds_bpermute_b32 v5, v7, v75
	v_cndmask_b32_e32 v4, v106, v122, vcc
	v_cmp_lt_i32_e32 vcc, v123, v124
	v_lshlrev_b32_e32 v11, 2, v4
	ds_bpermute_b32 v6, v7, v72
	v_cndmask_b32_e32 v4, v106, v123, vcc
	v_lshlrev_b32_e32 v12, 2, v4
	ds_bpermute_b32 v4, v7, v74
	ds_bpermute_b32 v7, v7, v73
	v_cmp_lt_i32_e32 vcc, v120, v124
	s_cmp_eq_u32 s3, 0
	s_cselect_b64 s[6:7], -1, 0
	s_waitcnt lgkmcnt(1)
	v_pk_add_f32 v[4:5], v[74:75], v[4:5]
	s_waitcnt lgkmcnt(0)
	v_pk_add_f32 v[6:7], v[72:73], v[6:7]
	ds_bpermute_b32 v8, v11, v4
	ds_bpermute_b32 v9, v11, v5
	;; [unrolled: 1-line block ×4, first 2 shown]
	v_cndmask_b32_e32 v13, v106, v120, vcc
	v_lshlrev_b32_e32 v13, 2, v13
	s_waitcnt lgkmcnt(2)
	v_pk_add_f32 v[4:5], v[4:5], v[8:9]
	ds_bpermute_b32 v8, v12, v4
	s_waitcnt lgkmcnt(1)
	v_pk_add_f32 v[6:7], v[6:7], v[10:11]
	ds_bpermute_b32 v9, v12, v5
	ds_bpermute_b32 v10, v12, v6
	ds_bpermute_b32 v11, v12, v7
	v_cmp_lt_i32_e32 vcc, v119, v124
	s_and_b64 s[4:5], s[6:7], s[4:5]
	s_waitcnt lgkmcnt(2)
	v_pk_add_f32 v[4:5], v[4:5], v[8:9]
	ds_bpermute_b32 v8, v13, v4
	s_waitcnt lgkmcnt(1)
	v_pk_add_f32 v[6:7], v[6:7], v[10:11]
	ds_bpermute_b32 v9, v13, v5
	ds_bpermute_b32 v10, v13, v6
	;; [unrolled: 1-line block ×3, first 2 shown]
	v_cndmask_b32_e32 v12, v106, v119, vcc
	v_lshlrev_b32_e32 v13, 2, v12
	s_waitcnt lgkmcnt(2)
	v_pk_add_f32 v[4:5], v[4:5], v[8:9]
	ds_bpermute_b32 v8, v13, v4
	s_waitcnt lgkmcnt(1)
	v_pk_add_f32 v[10:11], v[6:7], v[10:11]
	ds_bpermute_b32 v9, v13, v5
	ds_bpermute_b32 v12, v13, v10
	;; [unrolled: 1-line block ×3, first 2 shown]
	s_and_b64 vcc, exec, s[4:5]
	s_waitcnt lgkmcnt(2)
	v_pk_add_f32 v[6:7], v[4:5], v[8:9]
	s_waitcnt lgkmcnt(0)
	v_pk_add_f32 v[4:5], v[10:11], v[12:13]
	s_cbranch_vccz .LBB21_11
; %bb.10:
	s_ashr_i32 s35, s34, 31
	s_lshl_b64 s[4:5], s[34:35], 2
	s_add_u32 s4, s44, s4
	s_addc_u32 s5, s45, s5
	v_mov_b32_e32 v8, 0
	global_load_dwordx4 v[8:11], v8, s[4:5]
	v_max_f32_e32 v12, v0, v0
	v_max_f32_e32 v13, v1, v1
	s_mov_b32 s5, 0x3fb8aa3b
	v_max_f32_e32 v14, v2, v2
	s_mov_b32 s2, 0xc2ce8ed0
	s_mov_b32 s4, 0x42b17218
	v_mov_b32_e32 v16, 0x7f800000
	s_waitcnt vmcnt(0)
	v_max_f32_e32 v15, v8, v8
	v_max_f32_e32 v12, v12, v15
	v_max_f32_e32 v17, v9, v9
	v_sub_f32_e32 v0, v0, v12
	v_max_f32_e32 v13, v13, v17
	v_sub_f32_e32 v8, v8, v12
	v_mul_f32_e32 v15, 0x3fb8aa3b, v0
	v_max_f32_e32 v18, v10, v10
	v_sub_f32_e32 v1, v1, v13
	v_mul_f32_e32 v17, 0x3fb8aa3b, v8
	v_fma_f32 v22, v0, s5, -v15
	v_rndne_f32_e32 v23, v15
	v_max_f32_e32 v14, v14, v18
	v_sub_f32_e32 v9, v9, v13
	v_mul_f32_e32 v18, 0x3fb8aa3b, v1
	v_fma_f32 v24, v8, s5, -v17
	v_rndne_f32_e32 v25, v17
	v_fmac_f32_e32 v22, 0x32a5705f, v0
	v_sub_f32_e32 v15, v15, v23
	v_sub_f32_e32 v2, v2, v14
	v_mul_f32_e32 v19, 0x3fb8aa3b, v9
	v_fma_f32 v26, v1, s5, -v18
	v_rndne_f32_e32 v27, v18
	v_fmac_f32_e32 v24, 0x32a5705f, v8
	v_sub_f32_e32 v17, v17, v25
	v_add_f32_e32 v15, v15, v22
	v_mul_f32_e32 v20, 0x3fb8aa3b, v2
	v_fma_f32 v28, v9, s5, -v19
	v_rndne_f32_e32 v29, v19
	v_cvt_i32_f32_e32 v23, v23
	v_fmac_f32_e32 v26, 0x32a5705f, v1
	v_sub_f32_e32 v18, v18, v27
	v_add_f32_e32 v17, v17, v24
	v_exp_f32_e32 v15, v15
	v_fma_f32 v30, v2, s5, -v20
	v_rndne_f32_e32 v31, v20
	v_cvt_i32_f32_e32 v25, v25
	v_fmac_f32_e32 v28, 0x32a5705f, v9
	v_sub_f32_e32 v19, v19, v29
	v_add_f32_e32 v18, v18, v26
	v_exp_f32_e32 v17, v17
	v_cvt_i32_f32_e32 v27, v27
	v_fmac_f32_e32 v30, 0x32a5705f, v2
	v_sub_f32_e32 v20, v20, v31
	v_add_f32_e32 v19, v19, v28
	v_exp_f32_e32 v18, v18
	v_cvt_i32_f32_e32 v29, v29
	v_add_f32_e32 v20, v20, v30
	v_exp_f32_e32 v19, v19
	v_cvt_i32_f32_e32 v31, v31
	v_exp_f32_e32 v20, v20
	v_ldexp_f32 v15, v15, v23
	v_cmp_ngt_f32_e32 vcc, s2, v0
	v_ldexp_f32 v17, v17, v25
	v_ldexp_f32 v18, v18, v27
	v_cndmask_b32_e32 v15, 0, v15, vcc
	v_cmp_ngt_f32_e32 vcc, s2, v8
	v_sub_f32_e32 v10, v10, v14
	v_ldexp_f32 v19, v19, v29
	v_cndmask_b32_e32 v17, 0, v17, vcc
	v_cmp_ngt_f32_e32 vcc, s2, v1
	v_mul_f32_e32 v21, 0x3fb8aa3b, v10
	v_ldexp_f32 v20, v20, v31
	v_cndmask_b32_e32 v18, 0, v18, vcc
	v_cmp_ngt_f32_e32 vcc, s2, v9
	v_fma_f32 v32, v10, s5, -v21
	v_rndne_f32_e32 v33, v21
	v_cndmask_b32_e32 v19, 0, v19, vcc
	v_cmp_ngt_f32_e32 vcc, s2, v2
	v_fmac_f32_e32 v32, 0x32a5705f, v10
	v_sub_f32_e32 v21, v21, v33
	v_cndmask_b32_e32 v20, 0, v20, vcc
	v_cmp_nlt_f32_e32 vcc, s4, v0
	v_add_f32_e32 v21, v21, v32
	v_cvt_i32_f32_e32 v33, v33
	v_cndmask_b32_e32 v0, v16, v15, vcc
	v_cvt_f16_f32_e32 v15, v0
	v_exp_f32_e32 v21, v21
	v_cmp_nlt_f32_e32 vcc, s4, v8
	v_mul_u32_u24_e32 v15, 0x10001, v15
	s_nop 0
	v_cndmask_b32_e32 v8, v16, v17, vcc
	v_cmp_nlt_f32_e32 vcc, s4, v1
	v_pk_mul_f16 v107, v107, v15
	v_pk_mul_f16 v108, v108, v15
	v_cndmask_b32_e32 v1, v16, v18, vcc
	v_cmp_nlt_f32_e32 vcc, s4, v9
	v_ldexp_f32 v15, v21, v33
	v_max_f32_e32 v18, v3, v3
	v_cndmask_b32_e32 v9, v16, v19, vcc
	v_cmp_nlt_f32_e32 vcc, s4, v2
	v_cvt_f16_f32_e32 v17, v1
	v_pk_fma_f32 v[6:7], v[6:7], v[0:1], v[8:9]
	v_cndmask_b32_e32 v2, v16, v20, vcc
	v_cmp_ngt_f32_e32 vcc, s2, v10
	v_mul_u32_u24_e32 v17, 0x10001, v17
	v_pk_mul_f16 v104, v104, v17
	v_cndmask_b32_e32 v15, 0, v15, vcc
	v_cmp_nlt_f32_e32 vcc, s4, v10
	v_pk_mul_f16 v105, v105, v17
	v_cvt_f16_f32_e32 v17, v2
	v_cndmask_b32_e32 v10, v16, v15, vcc
	v_max_f32_e32 v15, v11, v11
	v_max_f32_e32 v15, v18, v15
	v_sub_f32_e32 v3, v3, v15
	v_mul_f32_e32 v18, 0x3fb8aa3b, v3
	v_fma_f32 v19, v3, s5, -v18
	v_rndne_f32_e32 v20, v18
	v_fmac_f32_e32 v19, 0x32a5705f, v3
	v_sub_f32_e32 v18, v18, v20
	v_add_f32_e32 v18, v18, v19
	v_exp_f32_e32 v18, v18
	v_cvt_i32_f32_e32 v19, v20
	v_mul_u32_u24_e32 v17, 0x10001, v17
	v_sub_f32_e32 v11, v11, v15
	v_pk_mul_f16 v102, v102, v17
	v_pk_mul_f16 v103, v103, v17
	v_ldexp_f32 v17, v18, v19
	v_mul_f32_e32 v18, 0x3fb8aa3b, v11
	v_fma_f32 v19, v11, s5, -v18
	v_rndne_f32_e32 v20, v18
	v_fmac_f32_e32 v19, 0x32a5705f, v11
	v_sub_f32_e32 v18, v18, v20
	v_add_f32_e32 v18, v18, v19
	v_exp_f32_e32 v18, v18
	v_cvt_i32_f32_e32 v19, v20
	v_cmp_ngt_f32_e32 vcc, s2, v3
	s_nop 1
	v_cndmask_b32_e32 v17, 0, v17, vcc
	v_cmp_nlt_f32_e32 vcc, s4, v3
	s_nop 1
	v_cndmask_b32_e32 v3, v16, v17, vcc
	v_ldexp_f32 v17, v18, v19
	v_cvt_f16_f32_e32 v18, v3
	v_cmp_ngt_f32_e32 vcc, s2, v11
	s_nop 1
	v_cndmask_b32_e32 v17, 0, v17, vcc
	v_cmp_nlt_f32_e32 vcc, s4, v11
	s_nop 1
	v_cndmask_b32_e32 v11, v16, v17, vcc
	v_mul_u32_u24_e32 v16, 0x10001, v18
	v_pk_fma_f32 v[4:5], v[4:5], v[2:3], v[10:11]
	v_mov_b64_e32 v[0:1], v[12:13]
	v_pk_mul_f16 v85, v85, v16
	v_pk_mul_f16 v91, v91, v16
	v_mov_b64_e32 v[2:3], v[14:15]
.LBB21_11:
	v_cmp_gt_i32_e32 vcc, s54, v69
	s_and_saveexec_b64 s[4:5], vcc
	s_cbranch_execz .LBB21_28
; %bb.12:
	s_load_dword s2, s[0:1], 0xd4
	v_mov_b32_e32 v8, 1.0
	s_waitcnt lgkmcnt(0)
	s_cmp_lg_u32 s2, 1
	s_cselect_b64 s[0:1], -1, 0
	s_cmp_eq_u32 s2, 1
	s_cselect_b64 s[6:7], -1, 0
	s_and_b64 vcc, exec, s[0:1]
	s_cbranch_vccnz .LBB21_14
; %bb.13:
	v_div_scale_f32 v8, s[4:5], v6, v6, 1.0
	v_rcp_f32_e32 v9, v8
	v_div_scale_f32 v10, vcc, 1.0, v6, 1.0
	v_fma_f32 v11, -v8, v9, 1.0
	v_fmac_f32_e32 v9, v11, v9
	v_mul_f32_e32 v11, v10, v9
	v_fma_f32 v12, -v8, v11, v10
	v_fmac_f32_e32 v11, v12, v9
	v_fma_f32 v8, -v8, v11, v10
	v_div_fmas_f32 v8, v8, v9, v11
	v_div_fixup_f32 v8, v8, v6, 1.0
.LBB21_14:
	s_mul_i32 s33, s33, s54
	v_add_u32_e32 v9, s33, v69
	v_mul_lo_u32 v9, v9, s55
	v_add_u32_e32 v9, s34, v9
	v_mul_lo_u32 v9, s2, v9
	v_add_u32_e32 v10, s3, v9
	s_and_saveexec_b64 s[4:5], s[30:31]
	s_cbranch_execz .LBB21_16
; %bb.15:
	v_cvt_f32_f16_sdwa v15, v107 dst_sel:DWORD dst_unused:UNUSED_PAD src0_sel:WORD_1
	v_cvt_f32_f16_e32 v14, v107
	v_cvt_f32_f16_sdwa v17, v108 dst_sel:DWORD dst_unused:UNUSED_PAD src0_sel:WORD_1
	v_cvt_f32_f16_e32 v16, v108
	s_movk_i32 s8, 0x70
	v_mad_u64_u32 v[12:13], s[8:9], v10, s8, v[68:69]
	v_mov_b32_e32 v13, 0
	v_lshl_add_u64 v[18:19], v[12:13], 2, s[48:49]
	v_pk_mul_f32 v[12:13], v[8:9], v[14:15] op_sel_hi:[0,1]
	v_pk_mul_f32 v[14:15], v[8:9], v[16:17] op_sel_hi:[0,1]
	global_store_dwordx4 v[18:19], v[12:15], off
.LBB21_16:
	s_or_b64 exec, exec, s[4:5]
	v_cmp_eq_u32_e32 vcc, 0, v70
	s_and_b64 s[4:5], vcc, s[0:1]
	s_and_saveexec_b64 s[0:1], s[4:5]
	s_cbranch_execz .LBB21_18
; %bb.17:
	v_ashrrev_i32_e32 v11, 31, v10
	v_lshl_add_u64 v[10:11], v[10:11], 3, s[50:51]
	v_mov_b32_e32 v12, v0
	v_mov_b32_e32 v13, v6
	global_store_dwordx2 v[10:11], v[12:13], off
.LBB21_18:
	s_or_b64 exec, exec, s[0:1]
	v_cndmask_b32_e64 v0, 0, 1, s[6:7]
	v_cmp_ne_u32_e64 s[0:1], 1, v0
	s_andn2_b64 vcc, exec, s[6:7]
	v_mov_b32_e32 v0, 1.0
	s_cbranch_vccz .LBB21_57
; %bb.19:
	v_add_u32_e32 v10, s2, v9
	v_add_u32_e32 v8, s3, v10
	s_and_saveexec_b64 s[6:7], s[30:31]
	s_cbranch_execnz .LBB21_58
.LBB21_20:
	s_or_b64 exec, exec, s[6:7]
	s_and_saveexec_b64 s[6:7], s[4:5]
	s_cbranch_execnz .LBB21_59
.LBB21_21:
	s_or_b64 exec, exec, s[6:7]
	s_and_b64 vcc, exec, s[0:1]
	v_mov_b32_e32 v6, 1.0
	s_cbranch_vccz .LBB21_60
.LBB21_22:
	v_add_u32_e32 v7, s2, v10
	v_add_u32_e32 v0, s3, v7
	s_and_saveexec_b64 s[6:7], s[30:31]
	s_cbranch_execnz .LBB21_61
.LBB21_23:
	s_or_b64 exec, exec, s[6:7]
	s_and_saveexec_b64 s[6:7], s[4:5]
	s_cbranch_execnz .LBB21_62
.LBB21_24:
	s_or_b64 exec, exec, s[6:7]
	s_and_b64 vcc, exec, s[0:1]
	v_mov_b32_e32 v2, 1.0
	s_cbranch_vccz .LBB21_63
.LBB21_25:
	s_add_i32 s3, s3, s2
	v_add_u32_e32 v0, s3, v7
	s_and_saveexec_b64 s[0:1], s[30:31]
	s_cbranch_execnz .LBB21_64
.LBB21_26:
	s_or_b64 exec, exec, s[0:1]
	s_and_b64 exec, exec, s[4:5]
	s_cbranch_execz .LBB21_28
.LBB21_27:
	v_ashrrev_i32_e32 v1, 31, v0
	v_lshl_add_u64 v[0:1], v[0:1], 3, s[50:51]
	v_mov_b32_e32 v4, v3
	global_store_dwordx2 v[0:1], v[4:5], off
.LBB21_28:
	s_endpgm
.LBB21_29:
                                        ; implicit-def: $vgpr106
                                        ; implicit-def: $vgpr124
                                        ; implicit-def: $vgpr121
                                        ; implicit-def: $vgpr122
                                        ; implicit-def: $vgpr123
                                        ; implicit-def: $vgpr120
                                        ; implicit-def: $vgpr119
.LBB21_30:
	s_sub_i32 s4, 0, s12
	s_mul_i32 s4, s4, s14
	s_mul_hi_u32 s4, s14, s4
	s_add_i32 s14, s14, s4
	s_load_dwordx2 s[10:11], s[0:1], 0x8c
	s_load_dwordx4 s[4:7], s[0:1], 0x98
	s_abs_i32 s8, s34
	s_ashr_i32 s17, s34, 31
	s_ashr_i32 s13, s13, 31
	s_waitcnt lgkmcnt(0)
	s_ashr_i32 s42, s10, 2
	s_ashr_i32 s35, s6, 2
	;; [unrolled: 1-line block ×3, first 2 shown]
	s_mul_hi_u32 s10, s4, s33
	s_mul_i32 s18, s4, s6
	s_add_i32 s10, s10, s18
	s_mul_i32 s5, s5, s33
	s_ashr_i32 s9, s9, 1
	s_add_i32 s10, s10, s5
	s_mul_i32 s4, s4, s33
	s_mul_hi_u32 s16, s8, s14
	s_add_u32 s4, s38, s4
	s_addc_u32 s5, s39, s10
	s_xor_b32 s10, s17, s13
	s_mul_i32 s13, s16, s12
	s_sub_i32 s8, s8, s13
	s_add_i32 s13, s16, 1
	s_sub_i32 s17, s8, s12
	s_cmp_ge_u32 s8, s12
	s_cselect_b32 s13, s13, s16
	s_cselect_b32 s8, s17, s8
	s_add_i32 s16, s13, 1
	s_cmp_ge_u32 s8, s12
	s_cselect_b32 s8, s16, s13
	s_load_dwordx2 s[14:15], s[0:1], 0xa8
	s_xor_b32 s8, s8, s10
	s_sub_i32 s8, s8, s10
	s_mul_i32 s10, s8, s11
	s_ashr_i32 s11, s10, 31
	s_add_u32 s43, s4, s10
	s_addc_u32 s46, s5, s11
	s_waitcnt lgkmcnt(0)
	s_mul_hi_u32 s4, s14, s33
	s_mul_i32 s5, s14, s6
	s_add_i32 s4, s4, s5
	s_mul_i32 s5, s15, s33
	s_add_i32 s4, s4, s5
	s_mul_i32 s5, s14, s33
	s_add_u32 s5, s40, s5
	s_mul_i32 s8, s8, s7
	v_lshrrev_b32_e32 v4, 1, v70
	s_addc_u32 s4, s41, s4
	s_ashr_i32 s6, s8, 31
	v_lshl_add_u32 v5, v1, 4, v4
	v_lshrrev_b32_e32 v4, 2, v70
	s_add_u32 s47, s5, s8
	v_lshl_add_u32 v6, v1, 3, v4
	v_lshlrev_b32_e32 v4, 7, v70
	v_mad_u64_u32 v[84:85], s[8:9], v0, s9, v[70:71]
	v_mov_b32_e32 v0, 0x2c40
	v_lshl_add_u32 v3, v1, 5, v70
	v_add_u32_e32 v109, 0x1c00, v4
	v_add_u32_e32 v111, 0x1c60, v4
	v_and_b32_e32 v4, 4, v68
	v_lshl_add_u32 v114, v1, 8, v0
	v_lshrrev_b32_e32 v0, 3, v70
	v_cmp_gt_u32_e32 vcc, 32, v3
	v_mul_u32_u24_e32 v110, 0x380, v1
	v_mul_lo_u32 v76, s42, v3
	v_lshlrev_b32_e32 v3, 2, v4
	v_lshl_add_u32 v0, v1, 2, v0
	v_mul_u32_u24_e32 v1, 0xe0, v5
	v_lshl_or_b32 v7, v5, 7, v3
	v_and_b32_e32 v8, 12, v68
	v_or_b32_e32 v1, v1, v3
	s_addc_u32 s52, s4, s6
	v_add_u32_e32 v112, 0x1c40, v7
	v_lshlrev_b32_e32 v7, 2, v8
	v_add_u32_e32 v115, 0x1cc0, v1
	v_mul_u32_u24_e32 v1, 0xe0, v6
	s_movk_i32 s15, 0x1c80
	v_and_b32_e32 v90, 28, v68
	s_movk_i32 s14, 0x1c00
	v_mul_lo_u32 v78, s42, v5
	v_mov_b32_e32 v81, 0
	v_lshl_or_b32 v9, v6, 7, v7
	v_mul_lo_u32 v82, s42, v6
	v_mul_lo_u32 v86, s35, v5
	v_add3_u32 v116, v1, v7, s15
	v_mul_lo_u32 v88, s35, v6
	v_mul_u32_u24_e32 v1, 0xe0, v0
	v_lshlrev_b32_e32 v3, 2, v90
	v_mul_lo_u32 v92, s35, v0
	s_add_u32 s36, s0, 0xd0
	v_cmp_gt_u32_e64 s[4:5], 32, v5
	v_cmp_gt_u32_e64 s[6:7], 32, v6
	v_ashrrev_i32_e32 v77, 31, v76
	v_ashrrev_i32_e32 v79, 31, v78
	v_add_u32_e32 v113, 0x1c00, v9
	v_ashrrev_i32_e32 v83, 31, v82
	v_cmp_gt_u32_e64 s[8:9], 16, v5
	v_cmp_gt_u32_e64 s[10:11], 16, v6
	;; [unrolled: 1-line block ×3, first 2 shown]
	v_ashrrev_i32_e32 v87, 31, v86
	v_ashrrev_i32_e32 v89, 31, v88
	v_add3_u32 v117, v1, v3, s14
	v_ashrrev_i32_e32 v93, 31, v92
	s_addc_u32 s37, s1, 0
	v_mov_b32_e32 v6, 0xfeffffff
	s_mov_b32 s53, 0x3fb8aa3b
	s_mov_b32 s57, 0xc2ce8ed0
	;; [unrolled: 1-line block ×4, first 2 shown]
	v_lshlrev_b32_e32 v80, 2, v4
	v_lshlrev_b32_e32 v94, 2, v8
	v_mbcnt_hi_u32_b32 v106, -1, v2
	v_mov_b32_e32 v118, 0x7f800000
	v_mov_b32_e32 v91, v81
	;; [unrolled: 1-line block ×16, first 2 shown]
.LBB21_31:                              ; =>This Inner Loop Header: Depth=1
	s_mul_hi_i32 s15, s2, s42
	s_mul_i32 s14, s2, s42
	s_lshl_b64 s[14:15], s[14:15], 2
	s_add_u32 s14, s43, s14
	s_addc_u32 s15, s46, s15
	v_lshl_add_u64 v[4:5], v[76:77], 2, s[14:15]
	s_and_saveexec_b64 s[16:17], vcc
	s_cbranch_execnz .LBB21_49
; %bb.32:                               ;   in Loop: Header=BB21_31 Depth=1
	s_or_b64 exec, exec, s[16:17]
	v_lshl_add_u64 v[0:1], v[78:79], 2, s[14:15]
	s_and_saveexec_b64 s[16:17], s[4:5]
	s_cbranch_execnz .LBB21_50
.LBB21_33:                              ;   in Loop: Header=BB21_31 Depth=1
	s_or_b64 exec, exec, s[16:17]
	v_lshl_add_u64 v[2:3], v[82:83], 2, s[14:15]
	s_and_saveexec_b64 s[14:15], s[6:7]
	s_cbranch_execz .LBB21_35
.LBB21_34:                              ;   in Loop: Header=BB21_31 Depth=1
	v_mov_b32_e32 v95, v81
	v_lshl_add_u64 v[10:11], v[2:3], 0, v[94:95]
	global_load_dwordx4 v[10:13], v[10:11], off
	s_waitcnt vmcnt(0)
	ds_write_b128 v113, v[10:13]
.LBB21_35:                              ;   in Loop: Header=BB21_31 Depth=1
	s_or_b64 exec, exec, s[14:15]
	s_waitcnt lgkmcnt(0)
	s_barrier
	ds_read_b128 v[14:17], v109
	ds_read_b128 v[18:21], v110
	ds_read_b128 v[22:25], v110 offset:224
	ds_read_b128 v[26:29], v110 offset:448
	;; [unrolled: 1-line block ×3, first 2 shown]
	v_mov_b32_e32 v10, 0
	s_waitcnt lgkmcnt(3)
	;;#ASMSTART
	v_dot2_f32_f16 v10, v14, v18, v10
	;;#ASMEND
	v_mov_b32_e32 v11, 0
	;;#ASMSTART
	v_dot2_f32_f16 v10, v15, v19, v10
	;;#ASMEND
	v_mov_b32_e32 v12, 0
	;; [unrolled: 4-line block ×3, first 2 shown]
	;;#ASMSTART
	v_dot2_f32_f16 v10, v17, v21, v10
	;;#ASMEND
	s_waitcnt lgkmcnt(2)
	;;#ASMSTART
	v_dot2_f32_f16 v11, v14, v22, v11
	;;#ASMEND
	s_nop 0
	;;#ASMSTART
	v_dot2_f32_f16 v11, v15, v23, v11
	;;#ASMEND
	s_nop 0
	;;#ASMSTART
	v_dot2_f32_f16 v11, v16, v24, v11
	;;#ASMEND
	s_nop 0
	;;#ASMSTART
	v_dot2_f32_f16 v11, v17, v25, v11
	;;#ASMEND
	s_waitcnt lgkmcnt(1)
	;;#ASMSTART
	v_dot2_f32_f16 v12, v14, v26, v12
	;;#ASMEND
	s_nop 0
	;;#ASMSTART
	v_dot2_f32_f16 v12, v15, v27, v12
	;;#ASMEND
	s_nop 0
	;;#ASMSTART
	v_dot2_f32_f16 v12, v16, v28, v12
	;;#ASMEND
	s_nop 0
	;; [unrolled: 16-line block ×3, first 2 shown]
	;;#ASMSTART
	v_dot2_f32_f16 v13, v17, v33, v13
	;;#ASMEND
	ds_read_b128 v[14:17], v109 offset:16
	ds_read_b128 v[18:21], v110 offset:16
	;; [unrolled: 1-line block ×5, first 2 shown]
	s_waitcnt lgkmcnt(3)
	;;#ASMSTART
	v_dot2_f32_f16 v10, v14, v18, v10
	;;#ASMEND
	s_nop 0
	;;#ASMSTART
	v_dot2_f32_f16 v10, v15, v19, v10
	;;#ASMEND
	s_nop 0
	;;#ASMSTART
	v_dot2_f32_f16 v10, v16, v20, v10
	;;#ASMEND
	s_nop 0
	;;#ASMSTART
	v_dot2_f32_f16 v10, v17, v21, v10
	;;#ASMEND
	s_waitcnt lgkmcnt(2)
	;;#ASMSTART
	v_dot2_f32_f16 v11, v14, v22, v11
	;;#ASMEND
	s_nop 0
	;;#ASMSTART
	v_dot2_f32_f16 v11, v15, v23, v11
	;;#ASMEND
	s_nop 0
	;;#ASMSTART
	v_dot2_f32_f16 v11, v16, v24, v11
	;;#ASMEND
	s_nop 0
	;;#ASMSTART
	v_dot2_f32_f16 v11, v17, v25, v11
	;;#ASMEND
	;; [unrolled: 16-line block ×4, first 2 shown]
	ds_read_b128 v[14:17], v109 offset:32
	ds_read_b128 v[18:21], v110 offset:32
	;; [unrolled: 1-line block ×5, first 2 shown]
	s_waitcnt lgkmcnt(3)
	;;#ASMSTART
	v_dot2_f32_f16 v10, v14, v18, v10
	;;#ASMEND
	s_nop 0
	;;#ASMSTART
	v_dot2_f32_f16 v10, v15, v19, v10
	;;#ASMEND
	s_nop 0
	;;#ASMSTART
	v_dot2_f32_f16 v10, v16, v20, v10
	;;#ASMEND
	s_nop 0
	;;#ASMSTART
	v_dot2_f32_f16 v10, v17, v21, v10
	;;#ASMEND
	s_waitcnt lgkmcnt(2)
	;;#ASMSTART
	v_dot2_f32_f16 v11, v14, v22, v11
	;;#ASMEND
	s_nop 0
	;;#ASMSTART
	v_dot2_f32_f16 v11, v15, v23, v11
	;;#ASMEND
	s_nop 0
	;;#ASMSTART
	v_dot2_f32_f16 v11, v16, v24, v11
	;;#ASMEND
	s_nop 0
	;;#ASMSTART
	v_dot2_f32_f16 v11, v17, v25, v11
	;;#ASMEND
	;; [unrolled: 16-line block ×4, first 2 shown]
	ds_read_b128 v[14:17], v109 offset:48
	ds_read_b128 v[18:21], v110 offset:48
	;; [unrolled: 1-line block ×5, first 2 shown]
	s_waitcnt lgkmcnt(3)
	;;#ASMSTART
	v_dot2_f32_f16 v10, v14, v18, v10
	;;#ASMEND
	s_nop 0
	;;#ASMSTART
	v_dot2_f32_f16 v10, v15, v19, v10
	;;#ASMEND
	s_nop 0
	;;#ASMSTART
	v_dot2_f32_f16 v10, v16, v20, v10
	;;#ASMEND
	s_nop 0
	;;#ASMSTART
	v_dot2_f32_f16 v10, v17, v21, v10
	;;#ASMEND
	s_waitcnt lgkmcnt(2)
	;;#ASMSTART
	v_dot2_f32_f16 v11, v14, v22, v11
	;;#ASMEND
	s_nop 0
	;;#ASMSTART
	v_dot2_f32_f16 v11, v15, v23, v11
	;;#ASMEND
	s_nop 0
	;;#ASMSTART
	v_dot2_f32_f16 v11, v16, v24, v11
	;;#ASMEND
	s_nop 0
	;;#ASMSTART
	v_dot2_f32_f16 v11, v17, v25, v11
	;;#ASMEND
	;; [unrolled: 16-line block ×4, first 2 shown]
	ds_read_b128 v[14:17], v109 offset:64
	ds_read_b128 v[18:21], v110 offset:64
	;; [unrolled: 1-line block ×5, first 2 shown]
	s_waitcnt lgkmcnt(3)
	;;#ASMSTART
	v_dot2_f32_f16 v10, v14, v18, v10
	;;#ASMEND
	s_nop 0
	;;#ASMSTART
	v_dot2_f32_f16 v10, v15, v19, v10
	;;#ASMEND
	s_nop 0
	;;#ASMSTART
	v_dot2_f32_f16 v10, v16, v20, v10
	;;#ASMEND
	s_nop 0
	;;#ASMSTART
	v_dot2_f32_f16 v10, v17, v21, v10
	;;#ASMEND
	s_waitcnt lgkmcnt(2)
	;;#ASMSTART
	v_dot2_f32_f16 v11, v14, v22, v11
	;;#ASMEND
	s_nop 0
	;;#ASMSTART
	v_dot2_f32_f16 v11, v15, v23, v11
	;;#ASMEND
	s_nop 0
	;;#ASMSTART
	v_dot2_f32_f16 v11, v16, v24, v11
	;;#ASMEND
	s_nop 0
	;;#ASMSTART
	v_dot2_f32_f16 v11, v17, v25, v11
	;;#ASMEND
	;; [unrolled: 16-line block ×4, first 2 shown]
	ds_read_b128 v[14:17], v109 offset:80
	ds_read_b128 v[18:21], v110 offset:80
	;; [unrolled: 1-line block ×5, first 2 shown]
	s_waitcnt lgkmcnt(3)
	;;#ASMSTART
	v_dot2_f32_f16 v10, v14, v18, v10
	;;#ASMEND
	s_nop 0
	;;#ASMSTART
	v_dot2_f32_f16 v10, v15, v19, v10
	;;#ASMEND
	s_nop 0
	;;#ASMSTART
	v_dot2_f32_f16 v10, v16, v20, v10
	;;#ASMEND
	s_nop 0
	;;#ASMSTART
	v_dot2_f32_f16 v10, v17, v21, v10
	;;#ASMEND
	s_waitcnt lgkmcnt(2)
	;;#ASMSTART
	v_dot2_f32_f16 v11, v14, v22, v11
	;;#ASMEND
	s_nop 0
	;;#ASMSTART
	v_dot2_f32_f16 v11, v15, v23, v11
	;;#ASMEND
	s_nop 0
	;;#ASMSTART
	v_dot2_f32_f16 v11, v16, v24, v11
	;;#ASMEND
	s_nop 0
	;;#ASMSTART
	v_dot2_f32_f16 v11, v17, v25, v11
	;;#ASMEND
	;; [unrolled: 16-line block ×4, first 2 shown]
	ds_read_b128 v[14:17], v109 offset:96
	ds_read_b128 v[18:21], v110 offset:96
	;; [unrolled: 1-line block ×5, first 2 shown]
	s_waitcnt lgkmcnt(3)
	;;#ASMSTART
	v_dot2_f32_f16 v10, v14, v18, v10
	;;#ASMEND
	s_nop 0
	;;#ASMSTART
	v_dot2_f32_f16 v10, v15, v19, v10
	;;#ASMEND
	s_nop 0
	;;#ASMSTART
	v_dot2_f32_f16 v10, v16, v20, v10
	;;#ASMEND
	s_nop 0
	;;#ASMSTART
	v_dot2_f32_f16 v10, v17, v21, v10
	;;#ASMEND
	s_waitcnt lgkmcnt(2)
	;;#ASMSTART
	v_dot2_f32_f16 v11, v14, v22, v11
	;;#ASMEND
	s_nop 0
	;;#ASMSTART
	v_dot2_f32_f16 v11, v15, v23, v11
	;;#ASMEND
	s_nop 0
	;;#ASMSTART
	v_dot2_f32_f16 v11, v16, v24, v11
	;;#ASMEND
	s_nop 0
	;;#ASMSTART
	v_dot2_f32_f16 v11, v17, v25, v11
	;;#ASMEND
	;; [unrolled: 16-line block ×4, first 2 shown]
	s_barrier
	s_and_saveexec_b64 s[14:15], vcc
	s_cbranch_execnz .LBB21_51
; %bb.36:                               ;   in Loop: Header=BB21_31 Depth=1
	s_or_b64 exec, exec, s[14:15]
	s_and_saveexec_b64 s[14:15], s[4:5]
	s_cbranch_execnz .LBB21_52
.LBB21_37:                              ;   in Loop: Header=BB21_31 Depth=1
	s_or_b64 exec, exec, s[14:15]
	s_and_saveexec_b64 s[14:15], s[6:7]
	s_cbranch_execz .LBB21_39
.LBB21_38:                              ;   in Loop: Header=BB21_31 Depth=1
	v_mov_b32_e32 v95, v81
	v_lshl_add_u64 v[0:1], v[2:3], 0, v[94:95]
	global_load_dwordx4 v[0:3], v[0:1], off offset:112
	s_waitcnt vmcnt(0)
	ds_write_b128 v113, v[0:3]
.LBB21_39:                              ;   in Loop: Header=BB21_31 Depth=1
	s_or_b64 exec, exec, s[14:15]
	s_waitcnt lgkmcnt(0)
	s_barrier
	ds_read_b128 v[0:3], v109
	ds_read_b128 v[14:17], v110 offset:112
	ds_read_b128 v[18:21], v110 offset:336
	;; [unrolled: 1-line block ×4, first 2 shown]
	s_waitcnt lgkmcnt(3)
	;;#ASMSTART
	v_dot2_f32_f16 v10, v0, v14, v10
	;;#ASMEND
	s_nop 0
	;;#ASMSTART
	v_dot2_f32_f16 v10, v1, v15, v10
	;;#ASMEND
	v_xor_b32_e32 v121, 16, v106
	;;#ASMSTART
	v_dot2_f32_f16 v10, v2, v16, v10
	;;#ASMEND
	v_max_f32_e32 v4, v8, v8
	;;#ASMSTART
	v_dot2_f32_f16 v10, v3, v17, v10
	;;#ASMEND
	s_waitcnt lgkmcnt(2)
	;;#ASMSTART
	v_dot2_f32_f16 v11, v0, v18, v11
	;;#ASMEND
	v_max_f32_e32 v5, v7, v7
	;;#ASMSTART
	v_dot2_f32_f16 v11, v1, v19, v11
	;;#ASMEND
	v_xor_b32_e32 v122, 8, v106
	;;#ASMSTART
	v_dot2_f32_f16 v11, v2, v20, v11
	;;#ASMEND
	v_xor_b32_e32 v123, 4, v106
	;;#ASMSTART
	v_dot2_f32_f16 v11, v3, v21, v11
	;;#ASMEND
	s_waitcnt lgkmcnt(1)
	;;#ASMSTART
	v_dot2_f32_f16 v12, v0, v22, v12
	;;#ASMEND
	v_xor_b32_e32 v120, 2, v106
	;;#ASMSTART
	v_dot2_f32_f16 v12, v1, v23, v12
	;;#ASMEND
	v_xor_b32_e32 v119, 1, v106
	;;#ASMSTART
	v_dot2_f32_f16 v12, v2, v24, v12
	;;#ASMEND
	s_nop 0
	;;#ASMSTART
	v_dot2_f32_f16 v12, v3, v25, v12
	;;#ASMEND
	s_waitcnt lgkmcnt(0)
	;;#ASMSTART
	v_dot2_f32_f16 v13, v0, v26, v13
	;;#ASMEND
	s_nop 0
	;;#ASMSTART
	v_dot2_f32_f16 v13, v1, v27, v13
	;;#ASMEND
	s_nop 0
	;; [unrolled: 4-line block ×3, first 2 shown]
	;;#ASMSTART
	v_dot2_f32_f16 v13, v3, v29, v13
	;;#ASMEND
	ds_read_b128 v[0:3], v109 offset:16
	ds_read_b128 v[14:17], v110 offset:128
	ds_read_b128 v[18:21], v110 offset:352
	ds_read_b128 v[22:25], v110 offset:576
	ds_read_b128 v[26:29], v110 offset:800
	s_waitcnt lgkmcnt(3)
	;;#ASMSTART
	v_dot2_f32_f16 v10, v0, v14, v10
	;;#ASMEND
	s_nop 0
	;;#ASMSTART
	v_dot2_f32_f16 v10, v1, v15, v10
	;;#ASMEND
	s_nop 0
	;;#ASMSTART
	v_dot2_f32_f16 v10, v2, v16, v10
	;;#ASMEND
	s_nop 0
	;;#ASMSTART
	v_dot2_f32_f16 v10, v3, v17, v10
	;;#ASMEND
	s_waitcnt lgkmcnt(2)
	;;#ASMSTART
	v_dot2_f32_f16 v11, v0, v18, v11
	;;#ASMEND
	s_nop 0
	;;#ASMSTART
	v_dot2_f32_f16 v11, v1, v19, v11
	;;#ASMEND
	s_nop 0
	;;#ASMSTART
	v_dot2_f32_f16 v11, v2, v20, v11
	;;#ASMEND
	s_nop 0
	;;#ASMSTART
	v_dot2_f32_f16 v11, v3, v21, v11
	;;#ASMEND
	;; [unrolled: 16-line block ×4, first 2 shown]
	ds_read_b128 v[0:3], v109 offset:32
	ds_read_b128 v[14:17], v110 offset:144
	;; [unrolled: 1-line block ×5, first 2 shown]
	s_waitcnt lgkmcnt(3)
	;;#ASMSTART
	v_dot2_f32_f16 v10, v0, v14, v10
	;;#ASMEND
	s_nop 0
	;;#ASMSTART
	v_dot2_f32_f16 v10, v1, v15, v10
	;;#ASMEND
	s_nop 0
	;;#ASMSTART
	v_dot2_f32_f16 v10, v2, v16, v10
	;;#ASMEND
	s_nop 0
	;;#ASMSTART
	v_dot2_f32_f16 v10, v3, v17, v10
	;;#ASMEND
	s_waitcnt lgkmcnt(2)
	;;#ASMSTART
	v_dot2_f32_f16 v11, v0, v18, v11
	;;#ASMEND
	s_nop 0
	;;#ASMSTART
	v_dot2_f32_f16 v11, v1, v19, v11
	;;#ASMEND
	s_nop 0
	;;#ASMSTART
	v_dot2_f32_f16 v11, v2, v20, v11
	;;#ASMEND
	s_nop 0
	;;#ASMSTART
	v_dot2_f32_f16 v11, v3, v21, v11
	;;#ASMEND
	;; [unrolled: 16-line block ×4, first 2 shown]
	ds_read_b128 v[0:3], v109 offset:48
	ds_read_b128 v[14:17], v110 offset:160
	;; [unrolled: 1-line block ×5, first 2 shown]
	s_waitcnt lgkmcnt(3)
	;;#ASMSTART
	v_dot2_f32_f16 v10, v0, v14, v10
	;;#ASMEND
	s_nop 0
	;;#ASMSTART
	v_dot2_f32_f16 v10, v1, v15, v10
	;;#ASMEND
	s_nop 0
	;;#ASMSTART
	v_dot2_f32_f16 v10, v2, v16, v10
	;;#ASMEND
	s_nop 0
	;;#ASMSTART
	v_dot2_f32_f16 v10, v3, v17, v10
	;;#ASMEND
	s_waitcnt lgkmcnt(2)
	;;#ASMSTART
	v_dot2_f32_f16 v11, v0, v18, v11
	;;#ASMEND
	s_nop 0
	;;#ASMSTART
	v_dot2_f32_f16 v11, v1, v19, v11
	;;#ASMEND
	s_nop 0
	;;#ASMSTART
	v_dot2_f32_f16 v11, v2, v20, v11
	;;#ASMEND
	s_nop 0
	;;#ASMSTART
	v_dot2_f32_f16 v11, v3, v21, v11
	;;#ASMEND
	;; [unrolled: 16-line block ×4, first 2 shown]
	ds_read_b128 v[0:3], v109 offset:64
	ds_read_b128 v[14:17], v110 offset:176
	;; [unrolled: 1-line block ×5, first 2 shown]
	s_waitcnt lgkmcnt(3)
	;;#ASMSTART
	v_dot2_f32_f16 v10, v0, v14, v10
	;;#ASMEND
	s_nop 0
	;;#ASMSTART
	v_dot2_f32_f16 v10, v1, v15, v10
	;;#ASMEND
	s_nop 0
	;;#ASMSTART
	v_dot2_f32_f16 v10, v2, v16, v10
	;;#ASMEND
	s_nop 0
	;;#ASMSTART
	v_dot2_f32_f16 v10, v3, v17, v10
	;;#ASMEND
	s_waitcnt lgkmcnt(2)
	;;#ASMSTART
	v_dot2_f32_f16 v11, v0, v18, v11
	;;#ASMEND
	s_nop 0
	;;#ASMSTART
	v_dot2_f32_f16 v11, v1, v19, v11
	;;#ASMEND
	s_nop 0
	;;#ASMSTART
	v_dot2_f32_f16 v11, v2, v20, v11
	;;#ASMEND
	s_nop 0
	;;#ASMSTART
	v_dot2_f32_f16 v11, v3, v21, v11
	;;#ASMEND
	;; [unrolled: 16-line block ×4, first 2 shown]
	ds_read_b128 v[0:3], v109 offset:80
	ds_read_b128 v[14:17], v110 offset:192
	;; [unrolled: 1-line block ×5, first 2 shown]
	s_waitcnt lgkmcnt(3)
	;;#ASMSTART
	v_dot2_f32_f16 v10, v0, v14, v10
	;;#ASMEND
	s_nop 0
	;;#ASMSTART
	v_dot2_f32_f16 v10, v1, v15, v10
	;;#ASMEND
	s_nop 0
	;;#ASMSTART
	v_dot2_f32_f16 v10, v2, v16, v10
	;;#ASMEND
	s_nop 0
	;;#ASMSTART
	v_dot2_f32_f16 v10, v3, v17, v10
	;;#ASMEND
	s_waitcnt lgkmcnt(2)
	;;#ASMSTART
	v_dot2_f32_f16 v11, v0, v18, v11
	;;#ASMEND
	s_nop 0
	;;#ASMSTART
	v_dot2_f32_f16 v11, v1, v19, v11
	;;#ASMEND
	s_nop 0
	;;#ASMSTART
	v_dot2_f32_f16 v11, v2, v20, v11
	;;#ASMEND
	s_nop 0
	;;#ASMSTART
	v_dot2_f32_f16 v11, v3, v21, v11
	;;#ASMEND
	s_waitcnt lgkmcnt(1)
	;;#ASMSTART
	v_dot2_f32_f16 v12, v0, v22, v12
	;;#ASMEND
	s_nop 0
	;;#ASMSTART
	v_dot2_f32_f16 v12, v1, v23, v12
	;;#ASMEND
	s_nop 0
	;;#ASMSTART
	v_dot2_f32_f16 v12, v2, v24, v12
	;;#ASMEND
	s_nop 0
	;;#ASMSTART
	v_dot2_f32_f16 v12, v3, v25, v12
	;;#ASMEND
	s_waitcnt lgkmcnt(0)
	;;#ASMSTART
	v_dot2_f32_f16 v13, v0, v26, v13
	;;#ASMEND
	s_nop 0
	;;#ASMSTART
	v_dot2_f32_f16 v13, v1, v27, v13
	;;#ASMEND
	s_nop 0
	;;#ASMSTART
	v_dot2_f32_f16 v13, v2, v28, v13
	;;#ASMEND
	s_nop 0
	;;#ASMSTART
	v_dot2_f32_f16 v13, v3, v29, v13
	;;#ASMEND
	ds_read_b128 v[0:3], v109 offset:96
	ds_read_b128 v[14:17], v110 offset:208
	;; [unrolled: 1-line block ×5, first 2 shown]
	s_waitcnt lgkmcnt(3)
	;;#ASMSTART
	v_dot2_f32_f16 v10, v0, v14, v10
	;;#ASMEND
	s_nop 0
	;;#ASMSTART
	v_dot2_f32_f16 v10, v1, v15, v10
	;;#ASMEND
	s_nop 0
	;;#ASMSTART
	v_dot2_f32_f16 v10, v2, v16, v10
	;;#ASMEND
	s_nop 0
	;;#ASMSTART
	v_dot2_f32_f16 v10, v3, v17, v10
	;;#ASMEND
	s_waitcnt lgkmcnt(2)
	;;#ASMSTART
	v_dot2_f32_f16 v11, v0, v18, v11
	;;#ASMEND
	s_nop 0
	;;#ASMSTART
	v_dot2_f32_f16 v11, v1, v19, v11
	;;#ASMEND
	s_nop 0
	;;#ASMSTART
	v_dot2_f32_f16 v11, v2, v20, v11
	;;#ASMEND
	s_nop 0
	;;#ASMSTART
	v_dot2_f32_f16 v11, v3, v21, v11
	;;#ASMEND
	;; [unrolled: 16-line block ×3, first 2 shown]
	s_waitcnt lgkmcnt(0)
	;;#ASMSTART
	v_dot2_f32_f16 v13, v0, v26, v13
	;;#ASMEND
	v_add_u32_e32 v0, s2, v84
	;;#ASMSTART
	v_dot2_f32_f16 v13, v1, v27, v13
	;;#ASMEND
	v_ashrrev_i32_e32 v1, 31, v0
	;;#ASMSTART
	v_dot2_f32_f16 v13, v2, v28, v13
	;;#ASMEND
	v_lshl_add_u64 v[0:1], v[0:1], 1, s[58:59]
	;;#ASMSTART
	v_dot2_f32_f16 v13, v3, v29, v13
	;;#ASMEND
	global_load_ushort v0, v[0:1], off
	v_and_b32_e32 v1, 0x60, v106
	v_add_u32_e32 v124, 32, v1
	v_cmp_lt_i32_e64 s[14:15], v121, v124
	v_max_f32_e32 v2, v6, v6
	v_max_f32_e32 v3, v9, v9
	v_cndmask_b32_e64 v1, v106, v121, s[14:15]
	v_lshlrev_b32_e32 v1, 2, v1
	v_cmp_lt_i32_e64 s[14:15], v122, v124
	s_barrier
	s_nop 0
	v_cndmask_b32_e64 v14, v106, v122, s[14:15]
	v_lshlrev_b32_e32 v14, 2, v14
	v_cmp_lt_i32_e64 s[14:15], v123, v124
	s_waitcnt vmcnt(0)
	v_cvt_f32_f16_e32 v0, v0
	v_cndmask_b32_e64 v15, v106, v123, s[14:15]
	v_lshlrev_b32_e32 v15, 2, v15
	v_cmp_lt_i32_e64 s[14:15], v120, v124
	v_add_f32_e32 v10, v10, v0
	v_add_f32_e32 v11, v11, v0
	;; [unrolled: 1-line block ×8, first 2 shown]
	v_max_f32_e32 v0, v2, v0
	v_max_f32_e32 v2, v3, v18
	;; [unrolled: 1-line block ×4, first 2 shown]
	ds_bpermute_b32 v5, v1, v0
	ds_bpermute_b32 v18, v1, v2
	;; [unrolled: 1-line block ×4, first 2 shown]
	v_cndmask_b32_e64 v16, v106, v120, s[14:15]
	s_waitcnt lgkmcnt(3)
	v_max_f32_e32 v5, v5, v5
	v_max_f32_e32 v0, v0, v5
	s_waitcnt lgkmcnt(2)
	v_max_f32_e32 v18, v18, v18
	s_waitcnt lgkmcnt(0)
	v_max_f32_e32 v1, v1, v1
	v_max_f32_e32 v1, v4, v1
	ds_bpermute_b32 v4, v14, v0
	v_max_f32_e32 v19, v19, v19
	v_max_f32_e32 v2, v2, v18
	;; [unrolled: 1-line block ×3, first 2 shown]
	ds_bpermute_b32 v5, v14, v2
	s_waitcnt lgkmcnt(1)
	v_max_f32_e32 v4, v4, v4
	v_max_f32_e32 v0, v0, v4
	ds_bpermute_b32 v4, v15, v0
	ds_bpermute_b32 v18, v14, v3
	;; [unrolled: 1-line block ×3, first 2 shown]
	s_waitcnt lgkmcnt(3)
	v_max_f32_e32 v5, v5, v5
	v_lshlrev_b32_e32 v16, 2, v16
	s_waitcnt lgkmcnt(2)
	v_max_f32_e32 v4, v4, v4
	s_waitcnt lgkmcnt(1)
	v_max_f32_e32 v18, v18, v18
	v_max_f32_e32 v2, v2, v5
	;; [unrolled: 1-line block ×3, first 2 shown]
	s_waitcnt lgkmcnt(0)
	v_max_f32_e32 v14, v14, v14
	v_max_f32_e32 v3, v3, v18
	ds_bpermute_b32 v5, v15, v2
	ds_bpermute_b32 v4, v16, v0
	v_max_f32_e32 v1, v1, v14
	ds_bpermute_b32 v14, v15, v3
	ds_bpermute_b32 v15, v15, v1
	v_cmp_lt_i32_e64 s[14:15], v119, v124
	s_waitcnt lgkmcnt(3)
	v_max_f32_e32 v5, v5, v5
	s_waitcnt lgkmcnt(2)
	v_max_f32_e32 v4, v4, v4
	v_cndmask_b32_e64 v17, v106, v119, s[14:15]
	v_lshlrev_b32_e32 v17, 2, v17
	s_waitcnt lgkmcnt(1)
	v_max_f32_e32 v14, v14, v14
	v_max_f32_e32 v2, v2, v5
	v_max_f32_e32 v0, v0, v4
	s_waitcnt lgkmcnt(0)
	v_max_f32_e32 v15, v15, v15
	v_max_f32_e32 v3, v3, v14
	ds_bpermute_b32 v5, v16, v2
	ds_bpermute_b32 v4, v17, v0
	v_max_f32_e32 v1, v1, v15
	ds_bpermute_b32 v14, v16, v3
	ds_bpermute_b32 v15, v16, v1
	s_waitcnt lgkmcnt(3)
	v_max_f32_e32 v5, v5, v5
	s_waitcnt lgkmcnt(2)
	v_max_f32_e32 v4, v4, v4
	v_max_f32_e32 v2, v2, v5
	;; [unrolled: 1-line block ×3, first 2 shown]
	s_waitcnt lgkmcnt(1)
	v_max_f32_e32 v4, v14, v14
	ds_bpermute_b32 v5, v17, v2
	v_max_f32_e32 v3, v3, v4
	s_waitcnt lgkmcnt(1)
	v_max_f32_e32 v14, v15, v15
	ds_bpermute_b32 v4, v17, v3
	v_max_f32_e32 v14, v1, v14
	ds_bpermute_b32 v15, v17, v14
	s_waitcnt lgkmcnt(2)
	v_max_f32_e32 v1, v5, v5
	v_max_f32_e32 v1, v2, v1
	s_waitcnt lgkmcnt(1)
	v_max_f32_e32 v2, v4, v4
	v_sub_f32_e32 v4, v10, v0
	v_max_f32_e32 v2, v3, v2
	s_waitcnt lgkmcnt(0)
	v_max_f32_e32 v3, v15, v15
	v_mul_f32_e32 v5, 0x3fb8aa3b, v4
	v_max_f32_e32 v3, v14, v3
	v_fma_f32 v10, v4, s53, -v5
	v_rndne_f32_e32 v14, v5
	v_fmac_f32_e32 v10, 0x32a5705f, v4
	v_sub_f32_e32 v5, v5, v14
	v_add_f32_e32 v5, v5, v10
	v_exp_f32_e32 v5, v5
	v_cvt_i32_f32_e32 v10, v14
	v_cmp_ngt_f32_e64 s[14:15], s57, v4
	v_ldexp_f32 v5, v5, v10
	v_sub_f32_e32 v10, v11, v1
	v_mul_f32_e32 v11, 0x3fb8aa3b, v10
	v_fma_f32 v14, v10, s53, -v11
	v_rndne_f32_e32 v15, v11
	v_fmac_f32_e32 v14, 0x32a5705f, v10
	v_sub_f32_e32 v11, v11, v15
	v_add_f32_e32 v11, v11, v14
	v_exp_f32_e32 v11, v11
	v_cvt_i32_f32_e32 v14, v15
	v_cndmask_b32_e64 v5, 0, v5, s[14:15]
	v_cmp_nlt_f32_e64 s[14:15], s60, v4
	v_ldexp_f32 v4, v11, v14
	s_nop 0
	v_cndmask_b32_e64 v96, v118, v5, s[14:15]
	v_sub_f32_e32 v5, v12, v2
	v_mul_f32_e32 v11, 0x3fb8aa3b, v5
	v_fma_f32 v12, v5, s53, -v11
	v_rndne_f32_e32 v14, v11
	v_fmac_f32_e32 v12, 0x32a5705f, v5
	v_sub_f32_e32 v11, v11, v14
	v_add_f32_e32 v11, v11, v12
	v_exp_f32_e32 v11, v11
	v_cvt_i32_f32_e32 v12, v14
	v_cmp_ngt_f32_e64 s[14:15], s57, v10
	s_nop 1
	v_cndmask_b32_e64 v4, 0, v4, s[14:15]
	v_cmp_nlt_f32_e64 s[14:15], s60, v10
	v_sub_f32_e32 v10, v13, v3
	s_nop 0
	v_cndmask_b32_e64 v97, v118, v4, s[14:15]
	v_ldexp_f32 v4, v11, v12
	v_mul_f32_e32 v11, 0x3fb8aa3b, v10
	v_fma_f32 v12, v10, s53, -v11
	v_rndne_f32_e32 v13, v11
	v_fmac_f32_e32 v12, 0x32a5705f, v10
	v_sub_f32_e32 v11, v11, v13
	v_add_f32_e32 v11, v11, v12
	v_exp_f32_e32 v11, v11
	v_cvt_i32_f32_e32 v12, v13
	v_cmp_ngt_f32_e64 s[14:15], s57, v5
	s_nop 1
	v_cndmask_b32_e64 v4, 0, v4, s[14:15]
	v_cmp_nlt_f32_e64 s[14:15], s60, v5
	s_nop 1
	v_cndmask_b32_e64 v98, v118, v4, s[14:15]
	v_ldexp_f32 v4, v11, v12
	v_cmp_ngt_f32_e64 s[14:15], s57, v10
	s_nop 1
	v_cndmask_b32_e64 v4, 0, v4, s[14:15]
	v_cmp_nlt_f32_e64 s[14:15], s60, v10
	v_add_u32_e32 v10, v114, v71
	s_nop 0
	v_cndmask_b32_e64 v99, v118, v4, s[14:15]
	s_mul_hi_i32 s15, s2, s35
	s_mul_i32 s14, s2, s35
	s_lshl_b64 s[14:15], s[14:15], 2
	s_add_u32 s14, s47, s14
	v_cvt_pk_f16_f32 v5, v98, v99
	v_cvt_pk_f16_f32 v4, v96, v97
	s_addc_u32 s15, s52, s15
	ds_write_b64 v10, v[4:5]
	s_and_saveexec_b64 s[16:17], s[8:9]
	s_cbranch_execnz .LBB21_53
; %bb.40:                               ;   in Loop: Header=BB21_31 Depth=1
	s_or_b64 exec, exec, s[16:17]
	s_and_saveexec_b64 s[16:17], s[10:11]
	s_cbranch_execnz .LBB21_54
.LBB21_41:                              ;   in Loop: Header=BB21_31 Depth=1
	s_or_b64 exec, exec, s[16:17]
	v_lshlrev_b32_e32 v100, 2, v90
	s_and_saveexec_b64 s[16:17], s[12:13]
	s_cbranch_execz .LBB21_43
.LBB21_42:                              ;   in Loop: Header=BB21_31 Depth=1
	v_lshl_add_u64 v[4:5], v[92:93], 2, s[14:15]
	v_mov_b32_e32 v101, v81
	v_lshl_add_u64 v[4:5], v[4:5], 0, v[100:101]
	global_load_dwordx4 v[10:13], v[4:5], off
	s_waitcnt vmcnt(0)
	ds_write_b128 v117, v[10:13]
.LBB21_43:                              ;   in Loop: Header=BB21_31 Depth=1
	s_or_b64 exec, exec, s[16:17]
	v_add_u32_e32 v128, 0x1800, v71
	v_add_u32_e32 v127, 0x1c00, v71
	;; [unrolled: 1-line block ×3, first 2 shown]
	v_sub_f32_e32 v131, v9, v1
	v_sub_f32_e32 v130, v8, v2
	s_waitcnt lgkmcnt(0)
	s_barrier
	ds_read2_b64 v[32:35], v128 offset0:128 offset1:156
	ds_read_b128 v[64:67], v114
	ds_read_b128 v[60:63], v114 offset:16
	ds_read_b128 v[52:55], v114 offset:32
	;; [unrolled: 1-line block ×3, first 2 shown]
	ds_read2_b64 v[28:31], v128 offset0:184 offset1:212
	ds_read2_b64 v[24:27], v127 offset0:112 offset1:140
	;; [unrolled: 1-line block ×5, first 2 shown]
	ds_read_b128 v[56:59], v114 offset:64
	ds_read_b128 v[48:51], v114 offset:80
	ds_read2_b64 v[8:11], v126 offset0:208 offset1:236
	v_add_u32_e32 v125, 0x2800, v71
	v_sub_f32_e32 v132, v6, v0
	v_sub_f32_e32 v129, v7, v3
	ds_read2_b64 v[4:7], v125 offset0:8 offset1:36
	ds_read_b128 v[44:47], v114 offset:96
	ds_read_b128 v[36:39], v114 offset:112
	s_or_b32 s38, s2, 16
	s_mul_hi_i32 s39, s38, s35
	s_mul_i32 s38, s38, s35
	s_lshl_b64 s[38:39], s[38:39], 2
	s_add_u32 s38, s47, s38
	v_cmp_ngt_f32_e64 s[26:27], s57, v132
	v_cmp_nlt_f32_e64 s[28:29], s60, v132
	v_cmp_ngt_f32_e64 s[22:23], s57, v131
	v_cmp_nlt_f32_e64 s[24:25], s60, v131
	;; [unrolled: 2-line block ×4, first 2 shown]
	s_addc_u32 s39, s52, s39
	s_waitcnt lgkmcnt(0)
	s_barrier
	s_and_saveexec_b64 s[40:41], s[8:9]
	s_cbranch_execnz .LBB21_55
; %bb.44:                               ;   in Loop: Header=BB21_31 Depth=1
	s_or_b64 exec, exec, s[40:41]
	s_and_saveexec_b64 s[40:41], s[10:11]
	s_cbranch_execnz .LBB21_56
.LBB21_45:                              ;   in Loop: Header=BB21_31 Depth=1
	s_or_b64 exec, exec, s[40:41]
	s_and_saveexec_b64 s[40:41], s[12:13]
	s_cbranch_execz .LBB21_47
.LBB21_46:                              ;   in Loop: Header=BB21_31 Depth=1
	v_lshl_add_u64 v[134:135], v[92:93], 2, s[38:39]
	v_mov_b32_e32 v101, v81
	v_lshl_add_u64 v[100:101], v[134:135], 0, v[100:101]
	global_load_dwordx4 v[134:137], v[100:101], off
	s_waitcnt vmcnt(0)
	ds_write_b128 v117, v[134:137]
.LBB21_47:                              ;   in Loop: Header=BB21_31 Depth=1
	s_or_b64 exec, exec, s[40:41]
	v_mul_f32_e32 v95, 0x3fb8aa3b, v132
	v_fma_f32 v100, v132, s53, -v95
	v_rndne_f32_e32 v101, v95
	v_fmac_f32_e32 v100, 0x32a5705f, v132
	v_sub_f32_e32 v95, v95, v101
	v_add_f32_e32 v95, v95, v100
	v_cvt_i32_f32_e32 v100, v101
	v_exp_f32_e32 v95, v95
	v_mul_u32_u24_sdwa v134, v64, s61 dst_sel:DWORD dst_unused:UNUSED_PAD src0_sel:WORD_0 src1_sel:DWORD
	v_mul_u32_u24_sdwa v64, v64, s61 dst_sel:DWORD dst_unused:UNUSED_PAD src0_sel:WORD_1 src1_sel:DWORD
	v_mul_u32_u24_sdwa v135, v65, s61 dst_sel:DWORD dst_unused:UNUSED_PAD src0_sel:WORD_0 src1_sel:DWORD
	v_ldexp_f32 v95, v95, v100
	v_mul_f32_e32 v100, 0x3fb8aa3b, v131
	v_fma_f32 v101, v131, s53, -v100
	v_fmac_f32_e32 v101, 0x32a5705f, v131
	v_rndne_f32_e32 v131, v100
	v_sub_f32_e32 v100, v100, v131
	v_add_f32_e32 v100, v100, v101
	v_exp_f32_e32 v101, v100
	v_cvt_i32_f32_e32 v131, v131
	v_cndmask_b32_e64 v95, 0, v95, s[26:27]
	v_cndmask_b32_e64 v100, v118, v95, s[28:29]
	v_cvt_f16_f32_e32 v95, v100
	v_ldexp_f32 v101, v101, v131
	v_mul_f32_e32 v131, 0x3fb8aa3b, v130
	v_fma_f32 v132, v130, s53, -v131
	v_fmac_f32_e32 v132, 0x32a5705f, v130
	v_rndne_f32_e32 v130, v131
	v_sub_f32_e32 v131, v131, v130
	v_add_f32_e32 v131, v131, v132
	v_exp_f32_e32 v131, v131
	v_cvt_i32_f32_e32 v130, v130
	v_cndmask_b32_e64 v101, 0, v101, s[22:23]
	v_cndmask_b32_e64 v101, v118, v101, s[24:25]
	v_cvt_f16_f32_e32 v132, v101
	;; [unrolled: 12-line block ×3, first 2 shown]
	v_ldexp_f32 v129, v131, v129
	v_cndmask_b32_e64 v129, 0, v129, s[14:15]
	v_cndmask_b32_e64 v131, v118, v129, s[16:17]
	v_cvt_f16_f32_e32 v129, v131
	v_mul_u32_u24_e32 v95, 0x10001, v95
	v_mul_u32_u24_e32 v132, 0x10001, v132
	;; [unrolled: 1-line block ×4, first 2 shown]
	v_pk_mul_f16 v85, v85, v129
	v_pk_mul_f16 v91, v91, v129
	;; [unrolled: 1-line block ×4, first 2 shown]
	v_pk_fma_f16 v95, v107, v95, v129
	v_pk_mul_f16 v107, v32, v64
	v_mul_u32_u24_sdwa v65, v65, s61 dst_sel:DWORD dst_unused:UNUSED_PAD src0_sel:WORD_1 src1_sel:DWORD
	v_pk_mul_f16 v105, v105, v132
	v_pk_mul_f16 v103, v103, v133
	v_pk_fma_f16 v104, v104, v132, v107
	v_pk_mul_f16 v107, v32, v135
	v_mul_u32_u24_sdwa v136, v66, s61 dst_sel:DWORD dst_unused:UNUSED_PAD src0_sel:WORD_0 src1_sel:DWORD
	v_mul_u32_u24_sdwa v66, v66, s61 dst_sel:DWORD dst_unused:UNUSED_PAD src0_sel:WORD_1 src1_sel:DWORD
	v_mul_u32_u24_sdwa v137, v67, s61 dst_sel:DWORD dst_unused:UNUSED_PAD src0_sel:WORD_0 src1_sel:DWORD
	v_mul_u32_u24_sdwa v67, v67, s61 dst_sel:DWORD dst_unused:UNUSED_PAD src0_sel:WORD_1 src1_sel:DWORD
	v_pk_fma_f16 v102, v102, v133, v107
	v_pk_fma_f16 v32, v32, v65, v85
	v_pk_fma_f16 v85, v33, v134, v108
	v_pk_fma_f16 v64, v33, v64, v105
	v_pk_fma_f16 v103, v33, v135, v103
	v_pk_fma_f16 v33, v33, v65, v91
	v_mul_u32_u24_sdwa v138, v60, s61 dst_sel:DWORD dst_unused:UNUSED_PAD src0_sel:WORD_0 src1_sel:DWORD
	v_mul_u32_u24_sdwa v60, v60, s61 dst_sel:DWORD dst_unused:UNUSED_PAD src0_sel:WORD_1 src1_sel:DWORD
	v_mul_u32_u24_sdwa v139, v61, s61 dst_sel:DWORD dst_unused:UNUSED_PAD src0_sel:WORD_0 src1_sel:DWORD
	v_mul_u32_u24_sdwa v61, v61, s61 dst_sel:DWORD dst_unused:UNUSED_PAD src0_sel:WORD_1 src1_sel:DWORD
	v_pk_fma_f16 v65, v34, v136, v95
	v_pk_fma_f16 v91, v34, v66, v104
	v_pk_fma_f16 v95, v34, v137, v102
	v_pk_fma_f16 v32, v34, v67, v32
	v_pk_fma_f16 v34, v35, v136, v85
	v_pk_fma_f16 v64, v35, v66, v64
	v_pk_fma_f16 v66, v35, v137, v103
	v_pk_fma_f16 v33, v35, v67, v33
	v_mul_u32_u24_sdwa v140, v62, s61 dst_sel:DWORD dst_unused:UNUSED_PAD src0_sel:WORD_0 src1_sel:DWORD
	v_mul_u32_u24_sdwa v62, v62, s61 dst_sel:DWORD dst_unused:UNUSED_PAD src0_sel:WORD_1 src1_sel:DWORD
	v_mul_u32_u24_sdwa v141, v63, s61 dst_sel:DWORD dst_unused:UNUSED_PAD src0_sel:WORD_0 src1_sel:DWORD
	v_mul_u32_u24_sdwa v63, v63, s61 dst_sel:DWORD dst_unused:UNUSED_PAD src0_sel:WORD_1 src1_sel:DWORD
	v_pk_fma_f16 v35, v28, v138, v65
	v_pk_fma_f16 v65, v28, v60, v91
	;; [unrolled: 12-line block ×14, first 2 shown]
	v_pk_fma_f16 v15, v4, v163, v17
	v_pk_fma_f16 v4, v4, v37, v8
	v_pk_fma_f16 v8, v5, v162, v10
	v_pk_fma_f16 v10, v5, v36, v12
	v_pk_fma_f16 v12, v5, v163, v14
	v_pk_fma_f16 v5, v5, v37, v9
	v_pk_fma_f16 v24, v6, v164, v11
	v_pk_fma_f16 v25, v6, v38, v13
	v_pk_fma_f16 v26, v6, v165, v15
	v_pk_fma_f16 v27, v6, v39, v4
	v_pk_fma_f16 v28, v7, v164, v8
	v_pk_fma_f16 v29, v7, v38, v10
	v_pk_fma_f16 v30, v7, v165, v12
	v_pk_fma_f16 v31, v7, v39, v5
	s_waitcnt lgkmcnt(0)
	s_barrier
	ds_read_b128 v[4:7], v114 offset:128
	ds_read2_b64 v[8:11], v128 offset0:128 offset1:156
	ds_read_b128 v[12:15], v114 offset:144
	ds_read_b128 v[16:19], v114 offset:160
	;; [unrolled: 1-line block ×3, first 2 shown]
	s_waitcnt lgkmcnt(4)
	v_mul_u32_u24_sdwa v32, v4, s61 dst_sel:DWORD dst_unused:UNUSED_PAD src0_sel:WORD_0 src1_sel:DWORD
	v_mul_u32_u24_sdwa v4, v4, s61 dst_sel:DWORD dst_unused:UNUSED_PAD src0_sel:WORD_1 src1_sel:DWORD
	v_mul_u32_u24_sdwa v33, v5, s61 dst_sel:DWORD dst_unused:UNUSED_PAD src0_sel:WORD_0 src1_sel:DWORD
	v_mul_u32_u24_sdwa v5, v5, s61 dst_sel:DWORD dst_unused:UNUSED_PAD src0_sel:WORD_1 src1_sel:DWORD
	s_waitcnt lgkmcnt(3)
	v_pk_fma_f16 v24, v8, v32, v24
	v_pk_fma_f16 v25, v8, v4, v25
	;; [unrolled: 1-line block ×8, first 2 shown]
	v_mul_u32_u24_sdwa v9, v6, s61 dst_sel:DWORD dst_unused:UNUSED_PAD src0_sel:WORD_0 src1_sel:DWORD
	v_mul_u32_u24_sdwa v6, v6, s61 dst_sel:DWORD dst_unused:UNUSED_PAD src0_sel:WORD_1 src1_sel:DWORD
	v_mul_u32_u24_sdwa v29, v7, s61 dst_sel:DWORD dst_unused:UNUSED_PAD src0_sel:WORD_0 src1_sel:DWORD
	v_mul_u32_u24_sdwa v7, v7, s61 dst_sel:DWORD dst_unused:UNUSED_PAD src0_sel:WORD_1 src1_sel:DWORD
	v_pk_fma_f16 v24, v10, v9, v24
	v_pk_fma_f16 v25, v10, v6, v25
	;; [unrolled: 1-line block ×8, first 2 shown]
	ds_read2_b64 v[4:7], v128 offset0:184 offset1:212
	s_waitcnt lgkmcnt(3)
	v_mul_u32_u24_sdwa v28, v12, s61 dst_sel:DWORD dst_unused:UNUSED_PAD src0_sel:WORD_0 src1_sel:DWORD
	v_mul_u32_u24_sdwa v12, v12, s61 dst_sel:DWORD dst_unused:UNUSED_PAD src0_sel:WORD_1 src1_sel:DWORD
	v_mul_u32_u24_sdwa v29, v13, s61 dst_sel:DWORD dst_unused:UNUSED_PAD src0_sel:WORD_0 src1_sel:DWORD
	v_mul_u32_u24_sdwa v13, v13, s61 dst_sel:DWORD dst_unused:UNUSED_PAD src0_sel:WORD_1 src1_sel:DWORD
	s_waitcnt lgkmcnt(0)
	v_pk_fma_f16 v24, v4, v28, v24
	v_pk_fma_f16 v25, v4, v12, v25
	;; [unrolled: 1-line block ×8, first 2 shown]
	v_mul_u32_u24_sdwa v11, v14, s61 dst_sel:DWORD dst_unused:UNUSED_PAD src0_sel:WORD_0 src1_sel:DWORD
	v_mul_u32_u24_sdwa v12, v14, s61 dst_sel:DWORD dst_unused:UNUSED_PAD src0_sel:WORD_1 src1_sel:DWORD
	v_mul_u32_u24_sdwa v13, v15, s61 dst_sel:DWORD dst_unused:UNUSED_PAD src0_sel:WORD_0 src1_sel:DWORD
	v_mul_u32_u24_sdwa v14, v15, s61 dst_sel:DWORD dst_unused:UNUSED_PAD src0_sel:WORD_1 src1_sel:DWORD
	v_pk_fma_f16 v15, v6, v11, v24
	v_pk_fma_f16 v24, v6, v12, v25
	;; [unrolled: 1-line block ×8, first 2 shown]
	ds_read2_b64 v[4:7], v127 offset0:112 offset1:140
	v_mul_u32_u24_sdwa v12, v16, s61 dst_sel:DWORD dst_unused:UNUSED_PAD src0_sel:WORD_0 src1_sel:DWORD
	v_mul_u32_u24_sdwa v13, v16, s61 dst_sel:DWORD dst_unused:UNUSED_PAD src0_sel:WORD_1 src1_sel:DWORD
	v_mul_u32_u24_sdwa v14, v17, s61 dst_sel:DWORD dst_unused:UNUSED_PAD src0_sel:WORD_0 src1_sel:DWORD
	v_mul_u32_u24_sdwa v16, v17, s61 dst_sel:DWORD dst_unused:UNUSED_PAD src0_sel:WORD_1 src1_sel:DWORD
	s_waitcnt lgkmcnt(0)
	v_pk_fma_f16 v15, v4, v12, v15
	v_pk_fma_f16 v17, v4, v13, v24
	;; [unrolled: 1-line block ×8, first 2 shown]
	v_mul_u32_u24_sdwa v11, v18, s61 dst_sel:DWORD dst_unused:UNUSED_PAD src0_sel:WORD_0 src1_sel:DWORD
	v_mul_u32_u24_sdwa v12, v18, s61 dst_sel:DWORD dst_unused:UNUSED_PAD src0_sel:WORD_1 src1_sel:DWORD
	v_mul_u32_u24_sdwa v13, v19, s61 dst_sel:DWORD dst_unused:UNUSED_PAD src0_sel:WORD_0 src1_sel:DWORD
	v_mul_u32_u24_sdwa v14, v19, s61 dst_sel:DWORD dst_unused:UNUSED_PAD src0_sel:WORD_1 src1_sel:DWORD
	v_pk_fma_f16 v15, v6, v11, v15
	v_pk_fma_f16 v16, v6, v12, v17
	;; [unrolled: 1-line block ×8, first 2 shown]
	ds_read2_b64 v[4:7], v126 offset0:40 offset1:68
	v_mul_u32_u24_sdwa v12, v20, s61 dst_sel:DWORD dst_unused:UNUSED_PAD src0_sel:WORD_0 src1_sel:DWORD
	v_mul_u32_u24_sdwa v13, v20, s61 dst_sel:DWORD dst_unused:UNUSED_PAD src0_sel:WORD_1 src1_sel:DWORD
	v_mul_u32_u24_sdwa v14, v21, s61 dst_sel:DWORD dst_unused:UNUSED_PAD src0_sel:WORD_0 src1_sel:DWORD
	v_mul_u32_u24_sdwa v19, v21, s61 dst_sel:DWORD dst_unused:UNUSED_PAD src0_sel:WORD_1 src1_sel:DWORD
	s_waitcnt lgkmcnt(0)
	v_pk_fma_f16 v15, v4, v12, v15
	v_pk_fma_f16 v16, v4, v13, v16
	;; [unrolled: 1-line block ×6, first 2 shown]
	v_mul_u32_u24_sdwa v10, v22, s61 dst_sel:DWORD dst_unused:UNUSED_PAD src0_sel:WORD_0 src1_sel:DWORD
	v_mul_u32_u24_sdwa v11, v22, s61 dst_sel:DWORD dst_unused:UNUSED_PAD src0_sel:WORD_1 src1_sel:DWORD
	v_pk_fma_f16 v17, v4, v14, v17
	v_pk_fma_f16 v4, v4, v19, v18
	v_pk_fma_f16 v18, v6, v10, v15
	v_pk_fma_f16 v16, v6, v11, v16
	v_pk_fma_f16 v20, v7, v10, v8
	v_pk_fma_f16 v21, v7, v11, v9
	ds_read_b128 v[8:11], v114 offset:192
	v_mul_u32_u24_sdwa v13, v23, s61 dst_sel:DWORD dst_unused:UNUSED_PAD src0_sel:WORD_0 src1_sel:DWORD
	v_mul_u32_u24_sdwa v14, v23, s61 dst_sel:DWORD dst_unused:UNUSED_PAD src0_sel:WORD_1 src1_sel:DWORD
	v_pk_fma_f16 v17, v6, v13, v17
	v_pk_fma_f16 v19, v6, v14, v4
	;; [unrolled: 1-line block ×4, first 2 shown]
	ds_read2_b64 v[4:7], v126 offset0:96 offset1:124
	ds_read_b128 v[12:15], v114 offset:208
	s_waitcnt lgkmcnt(2)
	v_mul_u32_u24_sdwa v24, v8, s61 dst_sel:DWORD dst_unused:UNUSED_PAD src0_sel:WORD_0 src1_sel:DWORD
	v_mul_u32_u24_sdwa v8, v8, s61 dst_sel:DWORD dst_unused:UNUSED_PAD src0_sel:WORD_1 src1_sel:DWORD
	v_mul_u32_u24_sdwa v25, v9, s61 dst_sel:DWORD dst_unused:UNUSED_PAD src0_sel:WORD_0 src1_sel:DWORD
	v_mul_u32_u24_sdwa v9, v9, s61 dst_sel:DWORD dst_unused:UNUSED_PAD src0_sel:WORD_1 src1_sel:DWORD
	s_waitcnt lgkmcnt(1)
	v_pk_fma_f16 v18, v4, v24, v18
	v_pk_fma_f16 v16, v4, v8, v16
	;; [unrolled: 1-line block ×8, first 2 shown]
	v_mul_u32_u24_sdwa v9, v10, s61 dst_sel:DWORD dst_unused:UNUSED_PAD src0_sel:WORD_0 src1_sel:DWORD
	v_mul_u32_u24_sdwa v10, v10, s61 dst_sel:DWORD dst_unused:UNUSED_PAD src0_sel:WORD_1 src1_sel:DWORD
	v_mul_u32_u24_sdwa v21, v11, s61 dst_sel:DWORD dst_unused:UNUSED_PAD src0_sel:WORD_0 src1_sel:DWORD
	v_mul_u32_u24_sdwa v11, v11, s61 dst_sel:DWORD dst_unused:UNUSED_PAD src0_sel:WORD_1 src1_sel:DWORD
	v_pk_fma_f16 v18, v6, v9, v18
	v_pk_fma_f16 v16, v6, v10, v16
	;; [unrolled: 1-line block ×8, first 2 shown]
	ds_read2_b64 v[4:7], v126 offset0:152 offset1:180
	s_waitcnt lgkmcnt(1)
	v_mul_u32_u24_sdwa v19, v12, s61 dst_sel:DWORD dst_unused:UNUSED_PAD src0_sel:WORD_0 src1_sel:DWORD
	v_mul_u32_u24_sdwa v12, v12, s61 dst_sel:DWORD dst_unused:UNUSED_PAD src0_sel:WORD_1 src1_sel:DWORD
	v_mul_u32_u24_sdwa v20, v13, s61 dst_sel:DWORD dst_unused:UNUSED_PAD src0_sel:WORD_0 src1_sel:DWORD
	v_mul_u32_u24_sdwa v13, v13, s61 dst_sel:DWORD dst_unused:UNUSED_PAD src0_sel:WORD_1 src1_sel:DWORD
	s_waitcnt lgkmcnt(0)
	v_pk_fma_f16 v18, v4, v19, v18
	v_pk_fma_f16 v16, v4, v12, v16
	v_pk_fma_f16 v9, v5, v19, v9
	v_pk_fma_f16 v8, v5, v12, v8
	v_pk_fma_f16 v12, v5, v20, v10
	v_pk_fma_f16 v5, v5, v13, v11
	v_mul_u32_u24_sdwa v10, v14, s61 dst_sel:DWORD dst_unused:UNUSED_PAD src0_sel:WORD_0 src1_sel:DWORD
	v_mul_u32_u24_sdwa v11, v14, s61 dst_sel:DWORD dst_unused:UNUSED_PAD src0_sel:WORD_1 src1_sel:DWORD
	v_pk_fma_f16 v17, v4, v20, v17
	v_pk_fma_f16 v18, v6, v10, v18
	;; [unrolled: 1-line block ×5, first 2 shown]
	ds_read_b128 v[8:11], v114 offset:224
	v_pk_fma_f16 v4, v4, v13, v22
	v_mul_u32_u24_sdwa v13, v15, s61 dst_sel:DWORD dst_unused:UNUSED_PAD src0_sel:WORD_0 src1_sel:DWORD
	v_mul_u32_u24_sdwa v14, v15, s61 dst_sel:DWORD dst_unused:UNUSED_PAD src0_sel:WORD_1 src1_sel:DWORD
	v_pk_fma_f16 v17, v6, v13, v17
	v_pk_fma_f16 v19, v6, v14, v4
	;; [unrolled: 1-line block ×4, first 2 shown]
	ds_read2_b64 v[4:7], v126 offset0:208 offset1:236
	ds_read_b128 v[12:15], v114 offset:240
	s_waitcnt lgkmcnt(2)
	v_mul_u32_u24_sdwa v24, v8, s61 dst_sel:DWORD dst_unused:UNUSED_PAD src0_sel:WORD_0 src1_sel:DWORD
	v_mul_u32_u24_sdwa v8, v8, s61 dst_sel:DWORD dst_unused:UNUSED_PAD src0_sel:WORD_1 src1_sel:DWORD
	v_mul_u32_u24_sdwa v25, v9, s61 dst_sel:DWORD dst_unused:UNUSED_PAD src0_sel:WORD_0 src1_sel:DWORD
	v_mul_u32_u24_sdwa v9, v9, s61 dst_sel:DWORD dst_unused:UNUSED_PAD src0_sel:WORD_1 src1_sel:DWORD
	s_waitcnt lgkmcnt(1)
	v_pk_fma_f16 v18, v4, v24, v18
	v_pk_fma_f16 v16, v4, v8, v16
	v_pk_fma_f16 v17, v4, v25, v17
	v_pk_fma_f16 v4, v4, v9, v19
	v_pk_fma_f16 v19, v5, v24, v20
	v_pk_fma_f16 v8, v5, v8, v21
	v_pk_fma_f16 v20, v5, v25, v22
	v_pk_fma_f16 v5, v5, v9, v23
	v_mul_u32_u24_sdwa v9, v10, s61 dst_sel:DWORD dst_unused:UNUSED_PAD src0_sel:WORD_0 src1_sel:DWORD
	v_mul_u32_u24_sdwa v10, v10, s61 dst_sel:DWORD dst_unused:UNUSED_PAD src0_sel:WORD_1 src1_sel:DWORD
	v_mul_u32_u24_sdwa v21, v11, s61 dst_sel:DWORD dst_unused:UNUSED_PAD src0_sel:WORD_0 src1_sel:DWORD
	v_mul_u32_u24_sdwa v11, v11, s61 dst_sel:DWORD dst_unused:UNUSED_PAD src0_sel:WORD_1 src1_sel:DWORD
	v_pk_fma_f16 v18, v6, v9, v18
	v_pk_fma_f16 v16, v6, v10, v16
	v_pk_fma_f16 v17, v6, v21, v17
	v_pk_fma_f16 v22, v6, v11, v4
	v_pk_fma_f16 v9, v7, v9, v19
	v_pk_fma_f16 v8, v7, v10, v8
	v_pk_fma_f16 v10, v7, v21, v20
	v_pk_fma_f16 v11, v7, v11, v5
	ds_read2_b64 v[4:7], v125 offset0:8 offset1:36
	s_waitcnt lgkmcnt(0)
	s_barrier
	s_load_dword s14, s[36:37], 0x4
	v_mul_u32_u24_sdwa v19, v12, s61 dst_sel:DWORD dst_unused:UNUSED_PAD src0_sel:WORD_0 src1_sel:DWORD
	v_mul_u32_u24_sdwa v12, v12, s61 dst_sel:DWORD dst_unused:UNUSED_PAD src0_sel:WORD_1 src1_sel:DWORD
	v_mul_u32_u24_sdwa v20, v13, s61 dst_sel:DWORD dst_unused:UNUSED_PAD src0_sel:WORD_0 src1_sel:DWORD
	v_mul_u32_u24_sdwa v13, v13, s61 dst_sel:DWORD dst_unused:UNUSED_PAD src0_sel:WORD_1 src1_sel:DWORD
	s_waitcnt lgkmcnt(0)
	s_lshl_b32 s14, s14, 5
	v_pk_fma_f16 v18, v4, v19, v18
	v_pk_fma_f16 v16, v4, v12, v16
	;; [unrolled: 1-line block ×8, first 2 shown]
	v_mul_u32_u24_sdwa v11, v14, s61 dst_sel:DWORD dst_unused:UNUSED_PAD src0_sel:WORD_0 src1_sel:DWORD
	v_mul_u32_u24_sdwa v12, v14, s61 dst_sel:DWORD dst_unused:UNUSED_PAD src0_sel:WORD_1 src1_sel:DWORD
	v_mul_u32_u24_sdwa v13, v15, s61 dst_sel:DWORD dst_unused:UNUSED_PAD src0_sel:WORD_0 src1_sel:DWORD
	v_mul_u32_u24_sdwa v14, v15, s61 dst_sel:DWORD dst_unused:UNUSED_PAD src0_sel:WORD_1 src1_sel:DWORD
	s_add_i32 s2, s14, s2
	v_pk_fma_f32 v[72:73], v[72:73], v[130:131], v[98:99]
	v_pk_fma_f32 v[74:75], v[74:75], v[100:101], v[96:97]
	v_pk_fma_f16 v107, v6, v11, v18
	v_pk_fma_f16 v104, v6, v12, v16
	;; [unrolled: 1-line block ×7, first 2 shown]
	s_cmp_ge_i32 s2, s56
	v_pk_fma_f16 v91, v7, v14, v5
	s_cbranch_scc1 .LBB21_9
; %bb.48:                               ;   in Loop: Header=BB21_31 Depth=1
	v_mov_b32_e32 v6, v0
	v_mov_b32_e32 v9, v1
	;; [unrolled: 1-line block ×4, first 2 shown]
	s_branch .LBB21_31
.LBB21_49:                              ;   in Loop: Header=BB21_31 Depth=1
	global_load_dwordx4 v[0:3], v[4:5], off offset:96
	s_waitcnt vmcnt(0)
	ds_write_b128 v111, v[0:3]
	s_or_b64 exec, exec, s[16:17]
	v_lshl_add_u64 v[0:1], v[78:79], 2, s[14:15]
	s_and_saveexec_b64 s[16:17], s[4:5]
	s_cbranch_execz .LBB21_33
.LBB21_50:                              ;   in Loop: Header=BB21_31 Depth=1
	v_lshl_add_u64 v[2:3], v[0:1], 0, v[80:81]
	global_load_dwordx4 v[10:13], v[2:3], off offset:64
	s_waitcnt vmcnt(0)
	ds_write_b128 v112, v[10:13]
	s_or_b64 exec, exec, s[16:17]
	v_lshl_add_u64 v[2:3], v[82:83], 2, s[14:15]
	s_and_saveexec_b64 s[14:15], s[6:7]
	s_cbranch_execnz .LBB21_34
	s_branch .LBB21_35
.LBB21_51:                              ;   in Loop: Header=BB21_31 Depth=1
	global_load_dwordx4 v[14:17], v[4:5], off offset:208
	s_waitcnt vmcnt(0)
	ds_write_b128 v111, v[14:17]
	s_or_b64 exec, exec, s[14:15]
	s_and_saveexec_b64 s[14:15], s[4:5]
	s_cbranch_execz .LBB21_37
.LBB21_52:                              ;   in Loop: Header=BB21_31 Depth=1
	v_lshl_add_u64 v[0:1], v[0:1], 0, v[80:81]
	global_load_dwordx4 v[14:17], v[0:1], off offset:176
	s_waitcnt vmcnt(0)
	ds_write_b128 v112, v[14:17]
	s_or_b64 exec, exec, s[14:15]
	s_and_saveexec_b64 s[14:15], s[6:7]
	s_cbranch_execnz .LBB21_38
	s_branch .LBB21_39
.LBB21_53:                              ;   in Loop: Header=BB21_31 Depth=1
	v_lshl_add_u64 v[4:5], v[86:87], 2, s[14:15]
	v_lshl_add_u64 v[4:5], v[4:5], 0, v[80:81]
	global_load_dwordx4 v[10:13], v[4:5], off offset:192
	s_waitcnt vmcnt(0)
	ds_write_b128 v115, v[10:13]
	s_or_b64 exec, exec, s[16:17]
	s_and_saveexec_b64 s[16:17], s[10:11]
	s_cbranch_execz .LBB21_41
.LBB21_54:                              ;   in Loop: Header=BB21_31 Depth=1
	v_lshl_add_u64 v[4:5], v[88:89], 2, s[14:15]
	v_mov_b32_e32 v95, v81
	v_lshl_add_u64 v[4:5], v[4:5], 0, v[94:95]
	global_load_dwordx4 v[10:13], v[4:5], off offset:128
	s_waitcnt vmcnt(0)
	ds_write_b128 v116, v[10:13]
	s_or_b64 exec, exec, s[16:17]
	v_lshlrev_b32_e32 v100, 2, v90
	s_and_saveexec_b64 s[16:17], s[12:13]
	s_cbranch_execnz .LBB21_42
	s_branch .LBB21_43
.LBB21_55:                              ;   in Loop: Header=BB21_31 Depth=1
	v_lshl_add_u64 v[134:135], v[86:87], 2, s[38:39]
	v_lshl_add_u64 v[134:135], v[134:135], 0, v[80:81]
	global_load_dwordx4 v[134:137], v[134:135], off offset:192
	s_waitcnt vmcnt(0)
	ds_write_b128 v115, v[134:137]
	s_or_b64 exec, exec, s[40:41]
	s_and_saveexec_b64 s[40:41], s[10:11]
	s_cbranch_execz .LBB21_45
.LBB21_56:                              ;   in Loop: Header=BB21_31 Depth=1
	v_lshl_add_u64 v[134:135], v[88:89], 2, s[38:39]
	v_mov_b32_e32 v95, v81
	v_lshl_add_u64 v[134:135], v[134:135], 0, v[94:95]
	global_load_dwordx4 v[134:137], v[134:135], off offset:128
	s_waitcnt vmcnt(0)
	ds_write_b128 v116, v[134:137]
	s_or_b64 exec, exec, s[40:41]
	s_and_saveexec_b64 s[40:41], s[12:13]
	s_cbranch_execnz .LBB21_46
	s_branch .LBB21_47
.LBB21_57:
	v_div_scale_f32 v0, s[6:7], v7, v7, 1.0
	v_rcp_f32_e32 v6, v0
	v_div_scale_f32 v8, vcc, 1.0, v7, 1.0
	v_fma_f32 v10, -v0, v6, 1.0
	v_fmac_f32_e32 v6, v10, v6
	v_mul_f32_e32 v10, v8, v6
	v_fma_f32 v11, -v0, v10, v8
	v_fmac_f32_e32 v10, v11, v6
	v_fma_f32 v0, -v0, v10, v8
	v_div_fmas_f32 v0, v0, v6, v10
	v_div_fixup_f32 v0, v0, v7, 1.0
	v_add_u32_e32 v10, s2, v9
	v_add_u32_e32 v8, s3, v10
	s_and_saveexec_b64 s[6:7], s[30:31]
	s_cbranch_execz .LBB21_20
.LBB21_58:
	v_cvt_f32_f16_sdwa v15, v104 dst_sel:DWORD dst_unused:UNUSED_PAD src0_sel:WORD_1
	v_cvt_f32_f16_e32 v14, v104
	v_cvt_f32_f16_sdwa v17, v105 dst_sel:DWORD dst_unused:UNUSED_PAD src0_sel:WORD_1
	v_cvt_f32_f16_e32 v16, v105
	s_movk_i32 s8, 0x70
	v_mad_u64_u32 v[12:13], s[8:9], v8, s8, v[68:69]
	v_mov_b32_e32 v13, 0
	v_lshl_add_u64 v[18:19], v[12:13], 2, s[48:49]
	v_pk_mul_f32 v[12:13], v[0:1], v[14:15] op_sel_hi:[0,1]
	v_pk_mul_f32 v[14:15], v[0:1], v[16:17] op_sel_hi:[0,1]
	global_store_dwordx4 v[18:19], v[12:15], off
	s_or_b64 exec, exec, s[6:7]
	s_and_saveexec_b64 s[6:7], s[4:5]
	s_cbranch_execz .LBB21_21
.LBB21_59:
	v_ashrrev_i32_e32 v9, 31, v8
	v_lshl_add_u64 v[8:9], v[8:9], 3, s[50:51]
	v_mov_b32_e32 v6, v1
	global_store_dwordx2 v[8:9], v[6:7], off
	s_or_b64 exec, exec, s[6:7]
	s_and_b64 vcc, exec, s[0:1]
	v_mov_b32_e32 v6, 1.0
	s_cbranch_vccnz .LBB21_22
.LBB21_60:
	v_div_scale_f32 v0, s[6:7], v4, v4, 1.0
	v_rcp_f32_e32 v1, v0
	v_div_scale_f32 v6, vcc, 1.0, v4, 1.0
	v_fma_f32 v7, -v0, v1, 1.0
	v_fmac_f32_e32 v1, v7, v1
	v_mul_f32_e32 v7, v6, v1
	v_fma_f32 v8, -v0, v7, v6
	v_fmac_f32_e32 v7, v8, v1
	v_fma_f32 v0, -v0, v7, v6
	v_div_fmas_f32 v0, v0, v1, v7
	v_div_fixup_f32 v6, v0, v4, 1.0
	v_add_u32_e32 v7, s2, v10
	v_add_u32_e32 v0, s3, v7
	s_and_saveexec_b64 s[6:7], s[30:31]
	s_cbranch_execz .LBB21_23
.LBB21_61:
	v_cvt_f32_f16_sdwa v11, v102 dst_sel:DWORD dst_unused:UNUSED_PAD src0_sel:WORD_1
	v_cvt_f32_f16_e32 v10, v102
	v_cvt_f32_f16_sdwa v13, v103 dst_sel:DWORD dst_unused:UNUSED_PAD src0_sel:WORD_1
	v_cvt_f32_f16_e32 v12, v103
	s_movk_i32 s8, 0x70
	v_mad_u64_u32 v[8:9], s[8:9], v0, s8, v[68:69]
	v_mov_b32_e32 v9, 0
	v_lshl_add_u64 v[14:15], v[8:9], 2, s[48:49]
	v_pk_mul_f32 v[8:9], v[6:7], v[10:11] op_sel_hi:[0,1]
	v_pk_mul_f32 v[10:11], v[6:7], v[12:13] op_sel_hi:[0,1]
	global_store_dwordx4 v[14:15], v[8:11], off
	s_or_b64 exec, exec, s[6:7]
	s_and_saveexec_b64 s[6:7], s[4:5]
	s_cbranch_execz .LBB21_24
.LBB21_62:
	v_ashrrev_i32_e32 v1, 31, v0
	v_lshl_add_u64 v[0:1], v[0:1], 3, s[50:51]
	v_mov_b32_e32 v8, v2
	v_mov_b32_e32 v9, v4
	global_store_dwordx2 v[0:1], v[8:9], off
	s_or_b64 exec, exec, s[6:7]
	s_and_b64 vcc, exec, s[0:1]
	v_mov_b32_e32 v2, 1.0
	s_cbranch_vccnz .LBB21_25
.LBB21_63:
	v_div_scale_f32 v0, s[0:1], v5, v5, 1.0
	v_rcp_f32_e32 v1, v0
	v_div_scale_f32 v2, vcc, 1.0, v5, 1.0
	v_fma_f32 v4, -v0, v1, 1.0
	v_fmac_f32_e32 v1, v4, v1
	v_mul_f32_e32 v4, v2, v1
	v_fma_f32 v6, -v0, v4, v2
	v_fmac_f32_e32 v4, v6, v1
	v_fma_f32 v0, -v0, v4, v2
	v_div_fmas_f32 v0, v0, v1, v4
	v_div_fixup_f32 v2, v0, v5, 1.0
	s_add_i32 s3, s3, s2
	v_add_u32_e32 v0, s3, v7
	s_and_saveexec_b64 s[0:1], s[30:31]
	s_cbranch_execz .LBB21_26
.LBB21_64:
	v_cvt_f32_f16_sdwa v9, v85 dst_sel:DWORD dst_unused:UNUSED_PAD src0_sel:WORD_1
	v_cvt_f32_f16_e32 v8, v85
	v_cvt_f32_f16_sdwa v11, v91 dst_sel:DWORD dst_unused:UNUSED_PAD src0_sel:WORD_1
	v_cvt_f32_f16_e32 v10, v91
	s_movk_i32 s2, 0x70
	v_mad_u64_u32 v[6:7], s[2:3], v0, s2, v[68:69]
	v_mov_b32_e32 v7, 0
	v_lshl_add_u64 v[12:13], v[6:7], 2, s[48:49]
	v_pk_mul_f32 v[6:7], v[2:3], v[8:9] op_sel_hi:[0,1]
	v_pk_mul_f32 v[8:9], v[2:3], v[10:11] op_sel_hi:[0,1]
	global_store_dwordx4 v[12:13], v[6:9], off
	s_or_b64 exec, exec, s[0:1]
	s_and_b64 exec, exec, s[4:5]
	s_cbranch_execnz .LBB21_27
	s_branch .LBB21_28
	.section	.rodata,"a",@progbits
	.p2align	6, 0x0
	.amdhsa_kernel _ZL15flash_attn_tileILi112ELi112ELi8ELi4ELb0EEvPKcS1_S1_S1_S1_PKiPfP15HIP_vector_typeIfLj2EEffffjfiS5_IjLj3EEiiiiiiiiiiiliiliiiiil
		.amdhsa_group_segment_fixed_size 13376
		.amdhsa_private_segment_fixed_size 0
		.amdhsa_kernarg_size 464
		.amdhsa_user_sgpr_count 2
		.amdhsa_user_sgpr_dispatch_ptr 0
		.amdhsa_user_sgpr_queue_ptr 0
		.amdhsa_user_sgpr_kernarg_segment_ptr 1
		.amdhsa_user_sgpr_dispatch_id 0
		.amdhsa_user_sgpr_kernarg_preload_length 0
		.amdhsa_user_sgpr_kernarg_preload_offset 0
		.amdhsa_user_sgpr_private_segment_size 0
		.amdhsa_uses_dynamic_stack 0
		.amdhsa_enable_private_segment 0
		.amdhsa_system_sgpr_workgroup_id_x 1
		.amdhsa_system_sgpr_workgroup_id_y 1
		.amdhsa_system_sgpr_workgroup_id_z 1
		.amdhsa_system_sgpr_workgroup_info 0
		.amdhsa_system_vgpr_workitem_id 1
		.amdhsa_next_free_vgpr 166
		.amdhsa_next_free_sgpr 62
		.amdhsa_accum_offset 168
		.amdhsa_reserve_vcc 1
		.amdhsa_float_round_mode_32 0
		.amdhsa_float_round_mode_16_64 0
		.amdhsa_float_denorm_mode_32 3
		.amdhsa_float_denorm_mode_16_64 3
		.amdhsa_dx10_clamp 1
		.amdhsa_ieee_mode 1
		.amdhsa_fp16_overflow 0
		.amdhsa_tg_split 0
		.amdhsa_exception_fp_ieee_invalid_op 0
		.amdhsa_exception_fp_denorm_src 0
		.amdhsa_exception_fp_ieee_div_zero 0
		.amdhsa_exception_fp_ieee_overflow 0
		.amdhsa_exception_fp_ieee_underflow 0
		.amdhsa_exception_fp_ieee_inexact 0
		.amdhsa_exception_int_div_zero 0
	.end_amdhsa_kernel
	.section	.text._ZL15flash_attn_tileILi112ELi112ELi8ELi4ELb0EEvPKcS1_S1_S1_S1_PKiPfP15HIP_vector_typeIfLj2EEffffjfiS5_IjLj3EEiiiiiiiiiiiliiliiiiil,"axG",@progbits,_ZL15flash_attn_tileILi112ELi112ELi8ELi4ELb0EEvPKcS1_S1_S1_S1_PKiPfP15HIP_vector_typeIfLj2EEffffjfiS5_IjLj3EEiiiiiiiiiiiliiliiiiil,comdat
.Lfunc_end21:
	.size	_ZL15flash_attn_tileILi112ELi112ELi8ELi4ELb0EEvPKcS1_S1_S1_S1_PKiPfP15HIP_vector_typeIfLj2EEffffjfiS5_IjLj3EEiiiiiiiiiiiliiliiiiil, .Lfunc_end21-_ZL15flash_attn_tileILi112ELi112ELi8ELi4ELb0EEvPKcS1_S1_S1_S1_PKiPfP15HIP_vector_typeIfLj2EEffffjfiS5_IjLj3EEiiiiiiiiiiiliiliiiiil
                                        ; -- End function
	.set _ZL15flash_attn_tileILi112ELi112ELi8ELi4ELb0EEvPKcS1_S1_S1_S1_PKiPfP15HIP_vector_typeIfLj2EEffffjfiS5_IjLj3EEiiiiiiiiiiiliiliiiiil.num_vgpr, 166
	.set _ZL15flash_attn_tileILi112ELi112ELi8ELi4ELb0EEvPKcS1_S1_S1_S1_PKiPfP15HIP_vector_typeIfLj2EEffffjfiS5_IjLj3EEiiiiiiiiiiiliiliiiiil.num_agpr, 0
	.set _ZL15flash_attn_tileILi112ELi112ELi8ELi4ELb0EEvPKcS1_S1_S1_S1_PKiPfP15HIP_vector_typeIfLj2EEffffjfiS5_IjLj3EEiiiiiiiiiiiliiliiiiil.numbered_sgpr, 62
	.set _ZL15flash_attn_tileILi112ELi112ELi8ELi4ELb0EEvPKcS1_S1_S1_S1_PKiPfP15HIP_vector_typeIfLj2EEffffjfiS5_IjLj3EEiiiiiiiiiiiliiliiiiil.num_named_barrier, 0
	.set _ZL15flash_attn_tileILi112ELi112ELi8ELi4ELb0EEvPKcS1_S1_S1_S1_PKiPfP15HIP_vector_typeIfLj2EEffffjfiS5_IjLj3EEiiiiiiiiiiiliiliiiiil.private_seg_size, 0
	.set _ZL15flash_attn_tileILi112ELi112ELi8ELi4ELb0EEvPKcS1_S1_S1_S1_PKiPfP15HIP_vector_typeIfLj2EEffffjfiS5_IjLj3EEiiiiiiiiiiiliiliiiiil.uses_vcc, 1
	.set _ZL15flash_attn_tileILi112ELi112ELi8ELi4ELb0EEvPKcS1_S1_S1_S1_PKiPfP15HIP_vector_typeIfLj2EEffffjfiS5_IjLj3EEiiiiiiiiiiiliiliiiiil.uses_flat_scratch, 0
	.set _ZL15flash_attn_tileILi112ELi112ELi8ELi4ELb0EEvPKcS1_S1_S1_S1_PKiPfP15HIP_vector_typeIfLj2EEffffjfiS5_IjLj3EEiiiiiiiiiiiliiliiiiil.has_dyn_sized_stack, 0
	.set _ZL15flash_attn_tileILi112ELi112ELi8ELi4ELb0EEvPKcS1_S1_S1_S1_PKiPfP15HIP_vector_typeIfLj2EEffffjfiS5_IjLj3EEiiiiiiiiiiiliiliiiiil.has_recursion, 0
	.set _ZL15flash_attn_tileILi112ELi112ELi8ELi4ELb0EEvPKcS1_S1_S1_S1_PKiPfP15HIP_vector_typeIfLj2EEffffjfiS5_IjLj3EEiiiiiiiiiiiliiliiiiil.has_indirect_call, 0
	.section	.AMDGPU.csdata,"",@progbits
; Kernel info:
; codeLenInByte = 15100
; TotalNumSgprs: 68
; NumVgprs: 166
; NumAgprs: 0
; TotalNumVgprs: 166
; ScratchSize: 0
; MemoryBound: 0
; FloatMode: 240
; IeeeMode: 1
; LDSByteSize: 13376 bytes/workgroup (compile time only)
; SGPRBlocks: 8
; VGPRBlocks: 20
; NumSGPRsForWavesPerEU: 68
; NumVGPRsForWavesPerEU: 166
; AccumOffset: 168
; Occupancy: 3
; WaveLimiterHint : 1
; COMPUTE_PGM_RSRC2:SCRATCH_EN: 0
; COMPUTE_PGM_RSRC2:USER_SGPR: 2
; COMPUTE_PGM_RSRC2:TRAP_HANDLER: 0
; COMPUTE_PGM_RSRC2:TGID_X_EN: 1
; COMPUTE_PGM_RSRC2:TGID_Y_EN: 1
; COMPUTE_PGM_RSRC2:TGID_Z_EN: 1
; COMPUTE_PGM_RSRC2:TIDIG_COMP_CNT: 1
; COMPUTE_PGM_RSRC3_GFX90A:ACCUM_OFFSET: 41
; COMPUTE_PGM_RSRC3_GFX90A:TG_SPLIT: 0
	.section	.text._ZL33flash_attn_stream_k_fixup_uniformILi112ELi8ELi4EEvPfPK15HIP_vector_typeIfLj2EEiiiiiiS1_IjLj3EES5_S5_,"axG",@progbits,_ZL33flash_attn_stream_k_fixup_uniformILi112ELi8ELi4EEvPfPK15HIP_vector_typeIfLj2EEiiiiiiS1_IjLj3EES5_S5_,comdat
	.globl	_ZL33flash_attn_stream_k_fixup_uniformILi112ELi8ELi4EEvPfPK15HIP_vector_typeIfLj2EEiiiiiiS1_IjLj3EES5_S5_ ; -- Begin function _ZL33flash_attn_stream_k_fixup_uniformILi112ELi8ELi4EEvPfPK15HIP_vector_typeIfLj2EEiiiiiiS1_IjLj3EES5_S5_
	.p2align	8
	.type	_ZL33flash_attn_stream_k_fixup_uniformILi112ELi8ELi4EEvPfPK15HIP_vector_typeIfLj2EEiiiiiiS1_IjLj3EES5_S5_,@function
_ZL33flash_attn_stream_k_fixup_uniformILi112ELi8ELi4EEvPfPK15HIP_vector_typeIfLj2EEiiiiiiS1_IjLj3EES5_S5_: ; @_ZL33flash_attn_stream_k_fixup_uniformILi112ELi8ELi4EEvPfPK15HIP_vector_typeIfLj2EEiiiiiiS1_IjLj3EES5_S5_
; %bb.0:
	s_load_dwordx8 s[8:15], s[0:1], 0x1c
	s_load_dwordx2 s[6:7], s[0:1], 0x10
	s_load_dwordx4 s[16:19], s[0:1], 0x3c
	s_waitcnt lgkmcnt(0)
	s_mul_hi_u32 s5, s11, s2
	s_add_i32 s5, s2, s5
	s_lshr_b32 s5, s5, s12
	s_mul_i32 s11, s5, s13
	s_sub_i32 s12, s2, s11
	s_mul_hi_u32 s11, s12, s14
	s_add_i32 s11, s12, s11
	s_lshr_b32 s11, s11, s15
	s_mul_i32 s13, s11, s16
	s_sub_i32 s12, s12, s13
	;; [unrolled: 5-line block ×3, first 2 shown]
	s_lshl_b32 s12, s16, 3
	s_lshl_b32 s17, s13, 2
	s_add_i32 s12, s12, s3
	s_cmp_lt_i32 s12, s6
	s_cselect_b64 s[12:13], -1, 0
	s_add_i32 s17, s17, s4
	s_cmp_lt_i32 s17, s9
	s_cselect_b64 s[14:15], -1, 0
	s_and_b64 s[12:13], s[12:13], s[14:15]
	s_andn2_b64 vcc, exec, s[12:13]
	s_cbranch_vccnz .LBB22_6
; %bb.1:
	s_load_dwordx4 s[12:15], s[0:1], 0x0
	s_mul_i32 s0, s5, s6
	s_mul_i32 s11, s11, s9
	s_add_i32 s0, s0, s3
	s_mul_i32 s0, s0, s7
	s_add_i32 s5, s17, s11
	;; [unrolled: 2-line block ×3, first 2 shown]
	s_mulk_i32 s1, 0x380
	s_mulk_i32 s0, 0x70
	s_add_i32 s0, s0, s1
	v_add_u32_e32 v4, s0, v0
	s_waitcnt lgkmcnt(0)
	v_mov_b32_e32 v2, s12
	v_mov_b32_e32 v3, s13
	v_ashrrev_i32_e32 v5, 31, v4
	v_lshl_add_u64 v[2:3], v[4:5], 2, v[2:3]
	global_load_dword v5, v[2:3], off
	s_mul_i32 s5, s10, s2
	s_lshl_b32 s11, s3, 2
	s_add_i32 s9, s5, s10
	s_add_i32 s0, s11, s4
	s_lshl_b32 s1, s9, 5
	s_add_i32 s0, s0, s1
	s_sub_i32 s0, s0, 32
	s_ashr_i32 s1, s0, 31
	s_lshl_b64 s[0:1], s[0:1], 3
	s_add_u32 s0, s14, s0
	s_addc_u32 s1, s15, s1
	s_load_dword s12, s[0:1], 0x4
	s_add_i32 s6, s9, -2
	s_cmp_lt_i32 s6, s5
	s_cbranch_scc1 .LBB22_4
; %bb.2:
	s_lshl_b32 s6, s8, 7
	s_ashr_i32 s7, s6, 31
	s_lshl_b64 s[6:7], s[6:7], 2
	s_add_u32 s6, s14, s6
	s_addc_u32 s7, s15, s7
	s_add_i32 s2, s2, 1
	s_load_dword s0, s[0:1], 0x0
	s_mul_i32 s1, s10, s2
	s_lshl_b32 s2, s1, 5
	s_add_i32 s2, s4, s2
	s_mulk_i32 s3, 0x1c0
	s_mulk_i32 s4, 0x70
	s_lshl_b32 s8, s8, 5
	s_mulk_i32 s1, 0xe00
	s_add_i32 s3, s4, s3
	s_add_i32 s2, s2, s8
	;; [unrolled: 1-line block ×4, first 2 shown]
	v_add_u32_e32 v0, s3, v0
	s_add_i32 s9, s9, -1
	s_sub_i32 s2, s2, 64
	v_add_u32_e32 v0, 0xffffe400, v0
	s_waitcnt lgkmcnt(0)
	v_mov_b32_e32 v7, s0
	v_mov_b32_e32 v4, s12
	s_mov_b32 s4, 0x3fb8aa3b
	s_mov_b32 s8, 0xc2ce8ed0
	;; [unrolled: 1-line block ×3, first 2 shown]
	v_mov_b32_e32 v6, 0x7f800000
	s_mov_b32 s11, 0xc1a00000
.LBB22_3:                               ; =>This Inner Loop Header: Depth=1
	v_ashrrev_i32_e32 v1, 31, v0
	v_lshl_add_u64 v[8:9], v[0:1], 2, s[6:7]
	global_load_dword v9, v[8:9], off
	s_ashr_i32 s3, s2, 31
	s_lshl_b64 s[0:1], s[2:3], 3
	s_add_u32 s0, s14, s0
	s_addc_u32 s1, s15, s1
	s_load_dwordx2 s[0:1], s[0:1], 0x0
	v_max_f32_e32 v1, v7, v7
	s_add_i32 s9, s9, -1
	s_sub_i32 s2, s2, 32
	v_add_u32_e32 v0, 0xfffff200, v0
	s_waitcnt lgkmcnt(0)
	v_max_f32_e64 v10, s0, s0
	v_max_f32_e32 v1, v1, v10
	v_sub_f32_e32 v11, s0, v1
	v_sub_f32_e32 v10, v7, v1
	v_mul_f32_e32 v12, 0x3fb8aa3b, v11
	v_mov_b32_e32 v7, v1
	v_mul_f32_e32 v1, 0x3fb8aa3b, v10
	v_fma_f32 v15, v11, s4, -v12
	v_rndne_f32_e32 v16, v12
	v_fma_f32 v13, v10, s4, -v1
	v_rndne_f32_e32 v14, v1
	v_fmac_f32_e32 v15, 0x32a5705f, v11
	v_sub_f32_e32 v12, v12, v16
	v_fmac_f32_e32 v13, 0x32a5705f, v10
	v_sub_f32_e32 v1, v1, v14
	v_add_f32_e32 v12, v12, v15
	v_cvt_i32_f32_e32 v16, v16
	v_add_f32_e32 v1, v1, v13
	v_exp_f32_e32 v12, v12
	v_cvt_i32_f32_e32 v14, v14
	v_exp_f32_e32 v1, v1
	v_cmp_ngt_f32_e32 vcc, s8, v11
	v_ldexp_f32 v12, v12, v16
	v_mov_b32_e32 v8, s1
	v_ldexp_f32 v1, v1, v14
	v_cmp_ngt_f32_e64 s[0:1], s8, v10
	v_cndmask_b32_e32 v12, 0, v12, vcc
	v_cmp_nlt_f32_e32 vcc, s10, v11
	v_cndmask_b32_e64 v1, 0, v1, s[0:1]
	v_cmp_nlt_f32_e64 s[0:1], s10, v10
	v_cndmask_b32_e32 v12, v6, v12, vcc
	v_cmp_le_f32_e32 vcc, s11, v11
	v_cndmask_b32_e64 v1, v6, v1, s[0:1]
	v_cmp_le_f32_e64 s[0:1], s11, v10
	v_cndmask_b32_e32 v12, 0, v12, vcc
	s_cmp_le_i32 s9, s5
	v_cndmask_b32_e64 v10, 0, v1, s[0:1]
	s_waitcnt vmcnt(0)
	v_pk_mul_f32 v[8:9], v[8:9], v[12:13] op_sel_hi:[1,0]
	s_nop 0
	v_pk_fma_f32 v[4:5], v[4:5], v[10:11], v[8:9] op_sel_hi:[1,0,1]
	s_cbranch_scc0 .LBB22_3
	s_branch .LBB22_5
.LBB22_4:
	s_waitcnt lgkmcnt(0)
	v_mov_b32_e32 v4, s12
.LBB22_5:
	s_waitcnt vmcnt(0)
	v_div_scale_f32 v0, s[0:1], v4, v4, v5
	v_rcp_f32_e32 v1, v0
	v_div_scale_f32 v6, vcc, v5, v4, v5
	v_fma_f32 v7, -v0, v1, 1.0
	v_fmac_f32_e32 v1, v7, v1
	v_mul_f32_e32 v7, v6, v1
	v_fma_f32 v8, -v0, v7, v6
	v_fmac_f32_e32 v7, v8, v1
	v_fma_f32 v0, -v0, v7, v6
	v_div_fmas_f32 v0, v0, v1, v7
	v_div_fixup_f32 v0, v0, v4, v5
	global_store_dword v[2:3], v0, off
.LBB22_6:
	s_endpgm
	.section	.rodata,"a",@progbits
	.p2align	6, 0x0
	.amdhsa_kernel _ZL33flash_attn_stream_k_fixup_uniformILi112ELi8ELi4EEvPfPK15HIP_vector_typeIfLj2EEiiiiiiS1_IjLj3EES5_S5_
		.amdhsa_group_segment_fixed_size 0
		.amdhsa_private_segment_fixed_size 0
		.amdhsa_kernarg_size 76
		.amdhsa_user_sgpr_count 2
		.amdhsa_user_sgpr_dispatch_ptr 0
		.amdhsa_user_sgpr_queue_ptr 0
		.amdhsa_user_sgpr_kernarg_segment_ptr 1
		.amdhsa_user_sgpr_dispatch_id 0
		.amdhsa_user_sgpr_kernarg_preload_length 0
		.amdhsa_user_sgpr_kernarg_preload_offset 0
		.amdhsa_user_sgpr_private_segment_size 0
		.amdhsa_uses_dynamic_stack 0
		.amdhsa_enable_private_segment 0
		.amdhsa_system_sgpr_workgroup_id_x 1
		.amdhsa_system_sgpr_workgroup_id_y 1
		.amdhsa_system_sgpr_workgroup_id_z 1
		.amdhsa_system_sgpr_workgroup_info 0
		.amdhsa_system_vgpr_workitem_id 0
		.amdhsa_next_free_vgpr 17
		.amdhsa_next_free_sgpr 20
		.amdhsa_accum_offset 20
		.amdhsa_reserve_vcc 1
		.amdhsa_float_round_mode_32 0
		.amdhsa_float_round_mode_16_64 0
		.amdhsa_float_denorm_mode_32 3
		.amdhsa_float_denorm_mode_16_64 3
		.amdhsa_dx10_clamp 1
		.amdhsa_ieee_mode 1
		.amdhsa_fp16_overflow 0
		.amdhsa_tg_split 0
		.amdhsa_exception_fp_ieee_invalid_op 0
		.amdhsa_exception_fp_denorm_src 0
		.amdhsa_exception_fp_ieee_div_zero 0
		.amdhsa_exception_fp_ieee_overflow 0
		.amdhsa_exception_fp_ieee_underflow 0
		.amdhsa_exception_fp_ieee_inexact 0
		.amdhsa_exception_int_div_zero 0
	.end_amdhsa_kernel
	.section	.text._ZL33flash_attn_stream_k_fixup_uniformILi112ELi8ELi4EEvPfPK15HIP_vector_typeIfLj2EEiiiiiiS1_IjLj3EES5_S5_,"axG",@progbits,_ZL33flash_attn_stream_k_fixup_uniformILi112ELi8ELi4EEvPfPK15HIP_vector_typeIfLj2EEiiiiiiS1_IjLj3EES5_S5_,comdat
.Lfunc_end22:
	.size	_ZL33flash_attn_stream_k_fixup_uniformILi112ELi8ELi4EEvPfPK15HIP_vector_typeIfLj2EEiiiiiiS1_IjLj3EES5_S5_, .Lfunc_end22-_ZL33flash_attn_stream_k_fixup_uniformILi112ELi8ELi4EEvPfPK15HIP_vector_typeIfLj2EEiiiiiiS1_IjLj3EES5_S5_
                                        ; -- End function
	.set _ZL33flash_attn_stream_k_fixup_uniformILi112ELi8ELi4EEvPfPK15HIP_vector_typeIfLj2EEiiiiiiS1_IjLj3EES5_S5_.num_vgpr, 17
	.set _ZL33flash_attn_stream_k_fixup_uniformILi112ELi8ELi4EEvPfPK15HIP_vector_typeIfLj2EEiiiiiiS1_IjLj3EES5_S5_.num_agpr, 0
	.set _ZL33flash_attn_stream_k_fixup_uniformILi112ELi8ELi4EEvPfPK15HIP_vector_typeIfLj2EEiiiiiiS1_IjLj3EES5_S5_.numbered_sgpr, 20
	.set _ZL33flash_attn_stream_k_fixup_uniformILi112ELi8ELi4EEvPfPK15HIP_vector_typeIfLj2EEiiiiiiS1_IjLj3EES5_S5_.num_named_barrier, 0
	.set _ZL33flash_attn_stream_k_fixup_uniformILi112ELi8ELi4EEvPfPK15HIP_vector_typeIfLj2EEiiiiiiS1_IjLj3EES5_S5_.private_seg_size, 0
	.set _ZL33flash_attn_stream_k_fixup_uniformILi112ELi8ELi4EEvPfPK15HIP_vector_typeIfLj2EEiiiiiiS1_IjLj3EES5_S5_.uses_vcc, 1
	.set _ZL33flash_attn_stream_k_fixup_uniformILi112ELi8ELi4EEvPfPK15HIP_vector_typeIfLj2EEiiiiiiS1_IjLj3EES5_S5_.uses_flat_scratch, 0
	.set _ZL33flash_attn_stream_k_fixup_uniformILi112ELi8ELi4EEvPfPK15HIP_vector_typeIfLj2EEiiiiiiS1_IjLj3EES5_S5_.has_dyn_sized_stack, 0
	.set _ZL33flash_attn_stream_k_fixup_uniformILi112ELi8ELi4EEvPfPK15HIP_vector_typeIfLj2EEiiiiiiS1_IjLj3EES5_S5_.has_recursion, 0
	.set _ZL33flash_attn_stream_k_fixup_uniformILi112ELi8ELi4EEvPfPK15HIP_vector_typeIfLj2EEiiiiiiS1_IjLj3EES5_S5_.has_indirect_call, 0
	.section	.AMDGPU.csdata,"",@progbits
; Kernel info:
; codeLenInByte = 832
; TotalNumSgprs: 26
; NumVgprs: 17
; NumAgprs: 0
; TotalNumVgprs: 17
; ScratchSize: 0
; MemoryBound: 0
; FloatMode: 240
; IeeeMode: 1
; LDSByteSize: 0 bytes/workgroup (compile time only)
; SGPRBlocks: 3
; VGPRBlocks: 2
; NumSGPRsForWavesPerEU: 26
; NumVGPRsForWavesPerEU: 17
; AccumOffset: 20
; Occupancy: 8
; WaveLimiterHint : 0
; COMPUTE_PGM_RSRC2:SCRATCH_EN: 0
; COMPUTE_PGM_RSRC2:USER_SGPR: 2
; COMPUTE_PGM_RSRC2:TRAP_HANDLER: 0
; COMPUTE_PGM_RSRC2:TGID_X_EN: 1
; COMPUTE_PGM_RSRC2:TGID_Y_EN: 1
; COMPUTE_PGM_RSRC2:TGID_Z_EN: 1
; COMPUTE_PGM_RSRC2:TIDIG_COMP_CNT: 0
; COMPUTE_PGM_RSRC3_GFX90A:ACCUM_OFFSET: 4
; COMPUTE_PGM_RSRC3_GFX90A:TG_SPLIT: 0
	.section	.text._ZL33flash_attn_stream_k_fixup_generalILi112ELi8ELi4EEvPfPK15HIP_vector_typeIfLj2EEiiiiS1_IjLj3EES5_S5_S5_,"axG",@progbits,_ZL33flash_attn_stream_k_fixup_generalILi112ELi8ELi4EEvPfPK15HIP_vector_typeIfLj2EEiiiiS1_IjLj3EES5_S5_S5_,comdat
	.globl	_ZL33flash_attn_stream_k_fixup_generalILi112ELi8ELi4EEvPfPK15HIP_vector_typeIfLj2EEiiiiS1_IjLj3EES5_S5_S5_ ; -- Begin function _ZL33flash_attn_stream_k_fixup_generalILi112ELi8ELi4EEvPfPK15HIP_vector_typeIfLj2EEiiiiS1_IjLj3EES5_S5_S5_
	.p2align	8
	.type	_ZL33flash_attn_stream_k_fixup_generalILi112ELi8ELi4EEvPfPK15HIP_vector_typeIfLj2EEiiiiS1_IjLj3EES5_S5_S5_,@function
_ZL33flash_attn_stream_k_fixup_generalILi112ELi8ELi4EEvPfPK15HIP_vector_typeIfLj2EEiiiiS1_IjLj3EES5_S5_S5_: ; @_ZL33flash_attn_stream_k_fixup_generalILi112ELi8ELi4EEvPfPK15HIP_vector_typeIfLj2EEiiiiS1_IjLj3EES5_S5_S5_
; %bb.0:
	s_load_dwordx4 s[8:11], s[0:1], 0x10
	s_load_dword s22, s[0:1], 0x50
	s_mov_b32 s12, 0
	s_waitcnt lgkmcnt(0)
	s_mul_hi_i32 s13, s11, s2
	s_cmp_lg_u64 s[12:13], 0
	s_mul_i32 s5, s11, s2
	s_cbranch_scc0 .LBB23_20
; %bb.1:
	s_add_u32 s6, s22, 0
	s_addc_u32 s7, 0, 0
	s_xor_b64 s[6:7], s[6:7], 0
	v_cvt_f32_u32_e32 v1, s6
	v_cvt_f32_u32_e32 v2, s7
	s_sub_u32 s12, 0, s6
	s_subb_u32 s18, 0, s7
	v_fmamk_f32 v1, v2, 0x4f800000, v1
	v_rcp_f32_e32 v1, v1
	s_nop 0
	v_mul_f32_e32 v1, 0x5f7ffffc, v1
	v_mul_f32_e32 v2, 0x2f800000, v1
	v_trunc_f32_e32 v2, v2
	v_fmamk_f32 v1, v2, 0xcf800000, v1
	v_cvt_u32_f32_e32 v2, v2
	v_cvt_u32_f32_e32 v1, v1
	v_readfirstlane_b32 s19, v2
	v_readfirstlane_b32 s14, v1
	s_mul_i32 s15, s12, s19
	s_mul_hi_u32 s21, s12, s14
	s_mul_i32 s20, s18, s14
	s_add_i32 s15, s21, s15
	s_add_i32 s15, s15, s20
	s_mul_i32 s23, s12, s14
	s_mul_i32 s21, s14, s15
	s_mul_hi_u32 s24, s14, s23
	s_mul_hi_u32 s20, s14, s15
	s_add_u32 s21, s24, s21
	s_addc_u32 s20, 0, s20
	s_mul_hi_u32 s25, s19, s23
	s_mul_i32 s23, s19, s23
	s_add_u32 s21, s21, s23
	s_mul_hi_u32 s24, s19, s15
	s_addc_u32 s20, s20, s25
	s_addc_u32 s21, s24, 0
	s_mul_i32 s15, s19, s15
	s_add_u32 s15, s20, s15
	s_addc_u32 s20, 0, s21
	s_add_u32 s21, s14, s15
	s_cselect_b64 s[14:15], -1, 0
	s_cmp_lg_u64 s[14:15], 0
	s_addc_u32 s19, s19, s20
	s_mul_i32 s14, s12, s19
	s_mul_hi_u32 s15, s12, s21
	s_add_i32 s14, s15, s14
	s_mul_i32 s18, s18, s21
	s_add_i32 s14, s14, s18
	s_mul_i32 s12, s12, s21
	s_mul_hi_u32 s18, s19, s12
	s_mul_i32 s20, s19, s12
	s_mul_i32 s24, s21, s14
	s_mul_hi_u32 s12, s21, s12
	s_mul_hi_u32 s23, s21, s14
	s_add_u32 s12, s12, s24
	s_addc_u32 s23, 0, s23
	s_add_u32 s12, s12, s20
	s_mul_hi_u32 s15, s19, s14
	s_addc_u32 s12, s23, s18
	s_addc_u32 s15, s15, 0
	s_mul_i32 s14, s19, s14
	s_add_u32 s12, s12, s14
	s_addc_u32 s18, 0, s15
	s_add_u32 s20, s21, s12
	s_cselect_b64 s[14:15], -1, 0
	s_cmp_lg_u64 s[14:15], 0
	s_addc_u32 s18, s19, s18
	s_ashr_i32 s14, s13, 31
	s_add_u32 s12, s5, s14
	s_mov_b32 s15, s14
	s_addc_u32 s13, s13, s14
	s_xor_b64 s[12:13], s[12:13], s[14:15]
	s_mul_i32 s21, s12, s18
	s_mul_hi_u32 s23, s12, s20
	s_mul_hi_u32 s19, s12, s18
	s_add_u32 s21, s23, s21
	s_addc_u32 s19, 0, s19
	s_mul_hi_u32 s24, s13, s20
	s_mul_i32 s20, s13, s20
	s_add_u32 s20, s21, s20
	s_mul_hi_u32 s23, s13, s18
	s_addc_u32 s19, s19, s24
	s_addc_u32 s20, s23, 0
	s_mul_i32 s18, s13, s18
	s_add_u32 s23, s19, s18
	s_addc_u32 s24, 0, s20
	s_mul_i32 s18, s6, s24
	s_mul_hi_u32 s19, s6, s23
	s_add_i32 s18, s19, s18
	s_mul_i32 s19, s7, s23
	s_add_i32 s25, s18, s19
	s_sub_i32 s20, s13, s25
	s_mul_i32 s18, s6, s23
	s_sub_u32 s12, s12, s18
	s_cselect_b64 s[18:19], -1, 0
	s_cmp_lg_u64 s[18:19], 0
	s_subb_u32 s26, s20, s7
	s_sub_u32 s27, s12, s6
	s_cselect_b64 s[20:21], -1, 0
	s_cmp_lg_u64 s[20:21], 0
	s_subb_u32 s20, s26, 0
	s_cmp_ge_u32 s20, s7
	s_cselect_b32 s21, -1, 0
	s_cmp_ge_u32 s27, s6
	s_cselect_b32 s26, -1, 0
	s_cmp_eq_u32 s20, s7
	s_cselect_b32 s20, s26, s21
	s_add_u32 s21, s23, 1
	s_addc_u32 s26, s24, 0
	s_add_u32 s27, s23, 2
	s_addc_u32 s28, s24, 0
	s_cmp_lg_u32 s20, 0
	s_cselect_b32 s20, s27, s21
	s_cselect_b32 s21, s28, s26
	s_cmp_lg_u64 s[18:19], 0
	s_subb_u32 s13, s13, s25
	s_cmp_ge_u32 s13, s7
	s_cselect_b32 s18, -1, 0
	s_cmp_ge_u32 s12, s6
	s_cselect_b32 s6, -1, 0
	s_cmp_eq_u32 s13, s7
	s_cselect_b32 s6, s6, s18
	s_cmp_lg_u32 s6, 0
	s_cselect_b32 s7, s21, s24
	s_cselect_b32 s6, s20, s23
	s_xor_b64 s[12:13], s[14:15], 0
	s_xor_b64 s[6:7], s[6:7], s[12:13]
	s_sub_u32 s6, s6, s12
	s_load_dwordx4 s[12:15], s[0:1], 0x44
	s_cbranch_execnz .LBB23_3
.LBB23_2:
	v_cvt_f32_u32_e32 v1, s22
	s_sub_i32 s6, 0, s22
	v_rcp_iflag_f32_e32 v1, v1
	s_nop 0
	v_mul_f32_e32 v1, 0x4f7ffffe, v1
	v_cvt_u32_f32_e32 v1, v1
	s_nop 0
	v_readfirstlane_b32 s7, v1
	s_mul_i32 s6, s6, s7
	s_mul_hi_u32 s6, s7, s6
	s_add_i32 s7, s7, s6
	s_mul_hi_u32 s6, s5, s7
	s_waitcnt lgkmcnt(0)
	s_mul_i32 s15, s6, s22
	s_sub_i32 s5, s5, s15
	s_add_i32 s7, s6, 1
	s_sub_i32 s15, s5, s22
	s_cmp_ge_u32 s5, s22
	s_cselect_b32 s6, s7, s6
	s_cselect_b32 s5, s15, s5
	s_add_i32 s7, s6, 1
	s_cmp_ge_u32 s5, s22
	s_cselect_b32 s6, s7, s6
.LBB23_3:
	s_add_i32 s5, s2, 1
	s_mul_hi_i32 s21, s11, s5
	s_mov_b32 s20, 0
	s_cmp_lg_u64 s[20:21], 0
	s_mul_i32 s5, s11, s5
	s_cbranch_scc0 .LBB23_21
; %bb.4:
	s_add_u32 s16, s22, 0
	s_addc_u32 s17, 0, 0
	s_xor_b64 s[18:19], s[16:17], 0
	v_cvt_f32_u32_e32 v1, s18
	v_cvt_f32_u32_e32 v2, s19
	s_sub_u32 s7, 0, s18
	s_waitcnt lgkmcnt(0)
	s_subb_u32 s15, 0, s19
	v_fmamk_f32 v1, v2, 0x4f800000, v1
	v_rcp_f32_e32 v1, v1
	s_nop 0
	v_mul_f32_e32 v1, 0x5f7ffffc, v1
	v_mul_f32_e32 v2, 0x2f800000, v1
	v_trunc_f32_e32 v2, v2
	v_fmamk_f32 v1, v2, 0xcf800000, v1
	v_cvt_u32_f32_e32 v2, v2
	v_cvt_u32_f32_e32 v1, v1
	v_readfirstlane_b32 s20, v2
	v_readfirstlane_b32 s23, v1
	s_mul_i32 s24, s7, s20
	s_mul_hi_u32 s26, s7, s23
	s_mul_i32 s25, s15, s23
	s_add_i32 s24, s26, s24
	s_add_i32 s24, s24, s25
	s_mul_i32 s27, s7, s23
	s_mul_i32 s26, s23, s24
	s_mul_hi_u32 s28, s23, s27
	s_mul_hi_u32 s25, s23, s24
	s_add_u32 s26, s28, s26
	s_addc_u32 s25, 0, s25
	s_mul_hi_u32 s29, s20, s27
	s_mul_i32 s27, s20, s27
	s_add_u32 s26, s26, s27
	s_mul_hi_u32 s28, s20, s24
	s_addc_u32 s25, s25, s29
	s_addc_u32 s26, s28, 0
	s_mul_i32 s24, s20, s24
	s_add_u32 s24, s25, s24
	s_addc_u32 s26, 0, s26
	s_add_u32 s23, s23, s24
	s_cselect_b64 s[24:25], -1, 0
	s_cmp_lg_u64 s[24:25], 0
	s_addc_u32 s20, s20, s26
	s_mul_i32 s24, s7, s20
	s_mul_hi_u32 s25, s7, s23
	s_add_i32 s24, s25, s24
	s_mul_i32 s15, s15, s23
	s_add_i32 s24, s24, s15
	s_mul_i32 s7, s7, s23
	s_mul_hi_u32 s25, s20, s7
	s_mul_i32 s26, s20, s7
	s_mul_i32 s28, s23, s24
	s_mul_hi_u32 s7, s23, s7
	s_mul_hi_u32 s27, s23, s24
	s_add_u32 s7, s7, s28
	s_addc_u32 s27, 0, s27
	s_add_u32 s7, s7, s26
	s_mul_hi_u32 s15, s20, s24
	s_addc_u32 s7, s27, s25
	s_addc_u32 s15, s15, 0
	s_mul_i32 s24, s20, s24
	s_add_u32 s7, s7, s24
	s_addc_u32 s15, 0, s15
	s_add_u32 s7, s23, s7
	s_cselect_b64 s[24:25], -1, 0
	s_cmp_lg_u64 s[24:25], 0
	s_addc_u32 s15, s20, s15
	s_ashr_i32 s24, s21, 31
	s_add_u32 s20, s5, s24
	s_mov_b32 s25, s24
	s_addc_u32 s21, s21, s24
	s_xor_b64 s[20:21], s[20:21], s[24:25]
	s_mul_i32 s26, s20, s15
	s_mul_hi_u32 s27, s20, s7
	s_mul_hi_u32 s23, s20, s15
	s_add_u32 s26, s27, s26
	s_addc_u32 s23, 0, s23
	s_mul_hi_u32 s28, s21, s7
	s_mul_i32 s7, s21, s7
	s_add_u32 s7, s26, s7
	s_mul_hi_u32 s27, s21, s15
	s_addc_u32 s7, s23, s28
	s_addc_u32 s23, s27, 0
	s_mul_i32 s15, s21, s15
	s_add_u32 s7, s7, s15
	s_addc_u32 s15, 0, s23
	s_mul_i32 s23, s18, s15
	s_mul_hi_u32 s26, s18, s7
	s_add_i32 s23, s26, s23
	s_mul_i32 s26, s19, s7
	s_add_i32 s23, s23, s26
	s_sub_i32 s28, s21, s23
	s_mul_i32 s26, s18, s7
	s_sub_u32 s20, s20, s26
	s_cselect_b64 s[26:27], -1, 0
	s_cmp_lg_u64 s[26:27], 0
	s_subb_u32 s30, s28, s19
	s_sub_u32 s31, s20, s18
	s_cselect_b64 s[28:29], -1, 0
	s_cmp_lg_u64 s[28:29], 0
	s_subb_u32 s28, s30, 0
	s_cmp_ge_u32 s28, s19
	s_cselect_b32 s29, -1, 0
	s_cmp_ge_u32 s31, s18
	s_cselect_b32 s30, -1, 0
	s_cmp_eq_u32 s28, s19
	s_cselect_b32 s28, s30, s29
	s_add_u32 s29, s7, 1
	s_addc_u32 s30, s15, 0
	s_add_u32 s31, s7, 2
	s_addc_u32 s33, s15, 0
	s_cmp_lg_u32 s28, 0
	s_cselect_b32 s28, s31, s29
	s_cselect_b32 s29, s33, s30
	s_cmp_lg_u64 s[26:27], 0
	s_subb_u32 s21, s21, s23
	s_cmp_ge_u32 s21, s19
	s_cselect_b32 s23, -1, 0
	s_cmp_ge_u32 s20, s18
	s_cselect_b32 s18, -1, 0
	s_cmp_eq_u32 s21, s19
	s_cselect_b32 s18, s18, s23
	s_cmp_lg_u32 s18, 0
	s_cselect_b32 s19, s29, s15
	s_cselect_b32 s18, s28, s7
	s_xor_b64 s[20:21], s[24:25], 0
	s_xor_b64 s[18:19], s[18:19], s[20:21]
	s_sub_u32 s18, s18, s20
	s_cbranch_execnz .LBB23_6
.LBB23_5:
	v_cvt_f32_u32_e32 v1, s22
	s_sub_i32 s7, 0, s22
	v_rcp_iflag_f32_e32 v1, v1
	s_nop 0
	v_mul_f32_e32 v1, 0x4f7ffffe, v1
	v_cvt_u32_f32_e32 v1, v1
	s_waitcnt lgkmcnt(0)
	v_readfirstlane_b32 s15, v1
	s_mul_i32 s7, s7, s15
	s_mul_hi_u32 s7, s15, s7
	s_add_i32 s15, s15, s7
	s_mul_hi_u32 s7, s5, s15
	s_mul_i32 s16, s7, s22
	s_sub_i32 s5, s5, s16
	s_add_i32 s15, s7, 1
	s_sub_i32 s16, s5, s22
	s_cmp_ge_u32 s5, s22
	s_cselect_b32 s7, s15, s7
	s_cselect_b32 s5, s16, s5
	s_add_i32 s15, s7, 1
	s_cmp_ge_u32 s5, s22
	s_cselect_b32 s18, s15, s7
.LBB23_6:
	s_cmp_eq_u32 s6, s18
	s_waitcnt lgkmcnt(0)
	s_mul_hi_u32 s5, s6, s12
	s_cselect_b64 s[16:17], -1, 0
	s_add_i32 s5, s5, s6
	s_lshr_b32 s7, s5, s13
	s_mul_i32 s5, s7, s14
	s_cmp_eq_u32 s5, s6
	s_mul_hi_u32 s5, s18, s12
	s_cselect_b64 s[20:21], -1, 0
	s_add_i32 s5, s5, s18
	s_lshr_b32 s5, s5, s13
	s_cmp_eq_u32 s7, s5
	s_mul_i32 s5, s5, s14
	s_cselect_b64 s[24:25], -1, 0
	s_cmp_lg_u32 s5, s18
	s_cselect_b64 s[18:19], -1, 0
	s_and_b64 s[18:19], s[24:25], s[18:19]
	s_or_b64 s[16:17], s[16:17], s[20:21]
	s_or_b64 s[16:17], s[16:17], s[18:19]
	s_and_b64 vcc, exec, s[16:17]
	s_cbranch_vccnz .LBB23_23
; %bb.7:
	s_load_dwordx8 s[24:31], s[0:1], 0x20
	s_load_dword s5, s[0:1], 0x40
	s_waitcnt lgkmcnt(0)
	s_mul_hi_u32 s15, s6, s24
	s_add_i32 s15, s15, s6
	s_lshr_b32 s20, s15, s25
	s_mul_i32 s15, s20, s26
	s_sub_i32 s15, s6, s15
	s_mul_hi_u32 s16, s15, s27
	s_add_i32 s16, s15, s16
	s_lshr_b32 s21, s16, s28
	s_mul_i32 s16, s21, s29
	s_sub_i32 s15, s15, s16
	;; [unrolled: 5-line block ×3, first 2 shown]
	s_mul_hi_u32 s15, s5, s12
	s_add_i32 s5, s5, s15
	s_lshr_b32 s23, s5, s13
	s_lshl_b32 s5, s23, 3
	s_lshl_b32 s24, s16, 2
	s_add_i32 s5, s5, s3
	s_cmp_lt_i32 s5, s8
	s_cselect_b64 s[16:17], -1, 0
	s_add_i32 s24, s24, s4
	s_cmp_lt_i32 s24, s10
	s_cselect_b64 s[18:19], -1, 0
	s_and_b64 s[16:17], s[16:17], s[18:19]
	s_andn2_b64 vcc, exec, s[16:17]
	s_cbranch_vccnz .LBB23_23
; %bb.8:
	s_load_dwordx4 s[16:19], s[0:1], 0x0
	s_mov_b32 s0, 0
	s_lshl_b32 s15, s3, 2
	s_lshl_b32 s26, s22, 7
	s_mov_b32 s27, s0
	s_add_i32 s15, s15, s4
	s_lshl_b64 s[4:5], s[26:27], 2
	s_waitcnt lgkmcnt(0)
	s_add_u32 s4, s18, s4
	s_mul_i32 s1, s20, s8
	s_addc_u32 s5, s19, s5
	s_mul_i32 s21, s21, s10
	s_add_i32 s1, s1, s3
	s_mul_i32 s1, s1, s9
	s_add_i32 s3, s24, s21
	;; [unrolled: 2-line block ×3, first 2 shown]
	s_mulk_i32 s8, 0x380
	s_mulk_i32 s1, 0x70
	s_add_i32 s8, s8, s1
	v_add_u32_e32 v4, s8, v0
	v_mov_b32_e32 v2, s16
	v_mov_b32_e32 v3, s17
	v_ashrrev_i32_e32 v5, 31, v4
	v_lshl_add_u64 v[2:3], v[4:5], 2, v[2:3]
	global_load_dword v1, v[2:3], off
	v_cvt_f32_u32_e32 v4, s22
	s_lshl_b32 s1, s2, 5
	s_add_i32 s8, s15, s1
	s_ashr_i32 s9, s8, 31
	s_lshl_b64 s[8:9], s[8:9], 3
	v_rcp_iflag_f32_e32 v4, v4
	s_add_u32 s8, s18, s8
	s_addc_u32 s9, s19, s9
	s_load_dwordx2 s[8:9], s[8:9], 0x0
	v_mul_f32_e32 v4, 0x4f7ffffe, v4
	v_cvt_u32_f32_e32 v7, v4
	s_mul_i32 s1, s15, 0x70
	s_add_i32 s21, s2, -1
	v_add_u32_e32 v6, s1, v0
	s_waitcnt lgkmcnt(0)
	v_mov_b32_e32 v0, s9
	v_mov_b32_e32 v9, s8
	s_mov_b32 s10, 0x3fb8aa3b
	s_mov_b32 s20, 0xc2ce8ed0
	;; [unrolled: 1-line block ×4, first 2 shown]
	v_mov_b32_e32 v8, 0x7f800000
	s_mul_hi_i32 s1, s21, s11
	s_cmp_lg_u64 s[0:1], 0
	s_mul_i32 s16, s21, s11
	s_cbranch_scc0 .LBB23_19
.LBB23_9:
	s_add_u32 s2, s22, 0
	s_addc_u32 s3, 0, 0
	s_xor_b64 s[2:3], s[2:3], 0
	v_cvt_f32_u32_e32 v4, s2
	v_cvt_f32_u32_e32 v5, s3
	s_sub_u32 s17, 0, s2
	s_subb_u32 s25, 0, s3
	v_fmac_f32_e32 v4, 0x4f800000, v5
	v_rcp_f32_e32 v4, v4
	s_nop 0
	v_mul_f32_e32 v4, 0x5f7ffffc, v4
	v_mul_f32_e32 v5, 0x2f800000, v4
	v_trunc_f32_e32 v5, v5
	v_fmac_f32_e32 v4, 0xcf800000, v5
	v_cvt_u32_f32_e32 v5, v5
	v_cvt_u32_f32_e32 v4, v4
	v_readfirstlane_b32 s26, v5
	v_readfirstlane_b32 s8, v4
	s_mul_i32 s9, s17, s26
	s_mul_hi_u32 s28, s17, s8
	s_mul_i32 s27, s25, s8
	s_add_i32 s9, s28, s9
	s_mul_i32 s29, s17, s8
	s_add_i32 s9, s9, s27
	s_mul_i32 s28, s8, s9
	s_mul_hi_u32 s30, s8, s29
	s_mul_hi_u32 s27, s8, s9
	s_add_u32 s28, s30, s28
	s_addc_u32 s27, 0, s27
	s_mul_hi_u32 s31, s26, s29
	s_mul_i32 s29, s26, s29
	s_add_u32 s28, s28, s29
	s_mul_hi_u32 s30, s26, s9
	s_addc_u32 s27, s27, s31
	s_addc_u32 s28, s30, 0
	s_mul_i32 s9, s26, s9
	s_add_u32 s9, s27, s9
	s_addc_u32 s27, 0, s28
	s_add_u32 s28, s8, s9
	s_cselect_b64 s[8:9], -1, 0
	s_cmp_lg_u64 s[8:9], 0
	s_addc_u32 s26, s26, s27
	s_mul_i32 s8, s17, s26
	s_mul_hi_u32 s9, s17, s28
	s_add_i32 s8, s9, s8
	s_mul_i32 s25, s25, s28
	s_add_i32 s8, s8, s25
	s_mul_i32 s17, s17, s28
	s_mul_hi_u32 s25, s26, s17
	s_mul_i32 s27, s26, s17
	s_mul_i32 s30, s28, s8
	s_mul_hi_u32 s17, s28, s17
	s_mul_hi_u32 s29, s28, s8
	s_add_u32 s17, s17, s30
	s_addc_u32 s29, 0, s29
	s_add_u32 s17, s17, s27
	s_mul_hi_u32 s9, s26, s8
	s_addc_u32 s17, s29, s25
	s_addc_u32 s9, s9, 0
	s_mul_i32 s8, s26, s8
	s_add_u32 s8, s17, s8
	s_addc_u32 s17, 0, s9
	s_add_u32 s25, s28, s8
	s_cselect_b64 s[8:9], -1, 0
	s_cmp_lg_u64 s[8:9], 0
	s_addc_u32 s17, s26, s17
	s_ashr_i32 s8, s1, 31
	s_add_u32 s26, s16, s8
	s_mov_b32 s9, s8
	s_addc_u32 s27, s1, s8
	s_xor_b64 s[26:27], s[26:27], s[8:9]
	s_mul_i32 s28, s26, s17
	s_mul_hi_u32 s29, s26, s25
	s_mul_hi_u32 s1, s26, s17
	s_add_u32 s28, s29, s28
	s_addc_u32 s1, 0, s1
	s_mul_hi_u32 s30, s27, s25
	s_mul_i32 s25, s27, s25
	s_add_u32 s25, s28, s25
	s_mul_hi_u32 s29, s27, s17
	s_addc_u32 s1, s1, s30
	s_addc_u32 s25, s29, 0
	s_mul_i32 s17, s27, s17
	s_add_u32 s1, s1, s17
	s_addc_u32 s17, 0, s25
	s_mul_i32 s25, s2, s17
	s_mul_hi_u32 s28, s2, s1
	s_add_i32 s25, s28, s25
	s_mul_i32 s28, s3, s1
	s_add_i32 s25, s25, s28
	s_sub_i32 s30, s27, s25
	s_mul_i32 s28, s2, s1
	s_sub_u32 s26, s26, s28
	s_cselect_b64 s[28:29], -1, 0
	s_cmp_lg_u64 s[28:29], 0
	s_subb_u32 s33, s30, s3
	s_sub_u32 s34, s26, s2
	s_cselect_b64 s[30:31], -1, 0
	s_cmp_lg_u64 s[30:31], 0
	s_subb_u32 s30, s33, 0
	s_cmp_ge_u32 s30, s3
	s_cselect_b32 s31, -1, 0
	s_cmp_ge_u32 s34, s2
	s_cselect_b32 s33, -1, 0
	s_cmp_eq_u32 s30, s3
	s_cselect_b32 s30, s33, s31
	s_add_u32 s31, s1, 1
	s_addc_u32 s33, s17, 0
	s_add_u32 s34, s1, 2
	s_addc_u32 s35, s17, 0
	s_cmp_lg_u32 s30, 0
	s_cselect_b32 s30, s34, s31
	s_cselect_b32 s31, s35, s33
	s_cmp_lg_u64 s[28:29], 0
	s_subb_u32 s25, s27, s25
	s_cmp_ge_u32 s25, s3
	s_cselect_b32 s27, -1, 0
	s_cmp_ge_u32 s26, s2
	s_cselect_b32 s2, -1, 0
	s_cmp_eq_u32 s25, s3
	s_cselect_b32 s2, s2, s27
	s_cmp_lg_u32 s2, 0
	s_cselect_b32 s3, s31, s17
	s_cselect_b32 s2, s30, s1
	s_xor_b64 s[8:9], s[8:9], 0
	s_xor_b64 s[2:3], s[2:3], s[8:9]
	s_sub_u32 s8, s2, s8
	s_cbranch_execnz .LBB23_11
.LBB23_10:
	s_sub_i32 s1, 0, s22
	v_readfirstlane_b32 s2, v7
	s_mul_i32 s1, s1, s2
	s_mul_hi_u32 s1, s2, s1
	s_add_i32 s2, s2, s1
	s_mul_hi_u32 s1, s16, s2
	s_mul_i32 s3, s1, s22
	s_sub_i32 s3, s16, s3
	s_add_i32 s2, s1, 1
	s_sub_i32 s8, s3, s22
	s_cmp_ge_u32 s3, s22
	s_cselect_b32 s1, s2, s1
	s_cselect_b32 s3, s8, s3
	s_add_i32 s2, s1, 1
	s_cmp_ge_u32 s3, s22
	s_cselect_b32 s8, s2, s1
.LBB23_11:
	s_cmp_lg_u32 s6, s8
	s_cbranch_scc0 .LBB23_15
; %bb.12:
	s_add_i32 s1, s21, s22
	s_lshl_b32 s1, s1, 5
	s_add_i32 s2, s1, s15
	s_mov_b32 s3, s0
	s_lshl_b64 s[2:3], s[2:3], 3
	s_add_u32 s16, s18, s2
	s_mul_hi_u32 s1, s8, s12
	s_addc_u32 s17, s19, s3
	s_add_i32 s1, s1, s8
	s_lshr_b32 s1, s1, s13
	s_mul_i32 s2, s1, s14
	s_cmp_eq_u32 s2, s8
	s_cselect_b64 s[2:3], -1, 0
	s_cmp_lt_u32 s1, s7
	s_cselect_b64 s[26:27], -1, 0
	s_or_b64 s[26:27], s[26:27], s[2:3]
	s_mov_b64 s[2:3], -1
	s_and_b64 vcc, exec, s[26:27]
	s_mov_b32 s1, s21
	s_mov_b32 s25, s6
	s_cbranch_vccnz .LBB23_14
; %bb.13:
	s_add_i32 s1, s21, -1
	s_mov_b64 s[2:3], 0
	s_mov_b32 s25, s8
.LBB23_14:
	s_mul_i32 s8, s21, 0xe00
	v_add_u32_e32 v4, s8, v6
	v_ashrrev_i32_e32 v5, 31, v4
	v_lshl_add_u64 v[4:5], v[4:5], 2, s[4:5]
	global_load_dword v5, v[4:5], off
	s_load_dwordx2 s[8:9], s[16:17], 0x0
	v_max_f32_e32 v4, v9, v9
	s_waitcnt lgkmcnt(0)
	v_max_f32_e64 v10, s8, s8
	v_max_f32_e32 v10, v4, v10
	v_sub_f32_e32 v11, v9, v10
	v_sub_f32_e32 v13, s8, v10
	v_mul_f32_e32 v4, 0x3fb8aa3b, v11
	v_mul_f32_e32 v12, 0x3fb8aa3b, v13
	v_fma_f32 v14, v11, s10, -v4
	v_rndne_f32_e32 v15, v4
	v_fma_f32 v16, v13, s10, -v12
	v_rndne_f32_e32 v17, v12
	v_fmac_f32_e32 v14, 0x32a5705f, v11
	v_sub_f32_e32 v4, v4, v15
	v_fmac_f32_e32 v16, 0x32a5705f, v13
	v_sub_f32_e32 v12, v12, v17
	v_add_f32_e32 v4, v4, v14
	v_cvt_i32_f32_e32 v15, v15
	v_add_f32_e32 v12, v12, v16
	v_exp_f32_e32 v14, v4
	v_cvt_i32_f32_e32 v17, v17
	v_exp_f32_e32 v12, v12
	v_cmp_ngt_f32_e32 vcc, s20, v11
	v_ldexp_f32 v14, v14, v15
	v_mov_b32_e32 v4, s9
	v_ldexp_f32 v12, v12, v17
	v_cndmask_b32_e32 v14, 0, v14, vcc
	v_cmp_ngt_f32_e32 vcc, s20, v13
	s_nop 1
	v_cndmask_b32_e32 v12, 0, v12, vcc
	v_cmp_nlt_f32_e32 vcc, s23, v11
	s_nop 1
	v_cndmask_b32_e32 v14, v8, v14, vcc
	v_cmp_nlt_f32_e32 vcc, s23, v13
	s_nop 1
	v_cndmask_b32_e32 v15, v8, v12, vcc
	v_cmp_le_f32_e32 vcc, s24, v11
	s_nop 1
	v_cndmask_b32_e32 v12, 0, v14, vcc
	v_cmp_le_f32_e32 vcc, s24, v13
	s_nop 1
	v_cndmask_b32_e32 v14, 0, v15, vcc
	s_waitcnt vmcnt(0)
	v_pk_mul_f32 v[4:5], v[4:5], v[14:15] op_sel_hi:[1,0]
	s_nop 0
	v_pk_fma_f32 v[4:5], v[0:1], v[12:13], v[4:5] op_sel_hi:[1,0,1]
	s_cbranch_execz .LBB23_16
	s_branch .LBB23_17
.LBB23_15:
                                        ; implicit-def: $vgpr4_vgpr5
                                        ; implicit-def: $sgpr2_sgpr3
                                        ; implicit-def: $vgpr10
                                        ; implicit-def: $sgpr1
                                        ; implicit-def: $sgpr25
.LBB23_16:
	s_add_i32 s1, s21, -1
	s_mov_b64 s[2:3], 0
	s_mov_b32 s25, s6
	v_mov_b32_e32 v10, v9
	s_waitcnt vmcnt(0)
	v_mov_b64_e32 v[4:5], v[0:1]
.LBB23_17:
	s_andn2_b64 vcc, exec, s[2:3]
	s_cbranch_vccz .LBB23_22
; %bb.18:
	s_mov_b32 s6, s25
	s_mov_b32 s21, s1
	v_mov_b32_e32 v9, v10
	s_waitcnt vmcnt(0)
	v_mov_b64_e32 v[0:1], v[4:5]
	s_mul_hi_i32 s1, s21, s11
	s_cmp_lg_u64 s[0:1], 0
	s_mul_i32 s16, s21, s11
	s_cbranch_scc1 .LBB23_9
.LBB23_19:
                                        ; implicit-def: $sgpr8_sgpr9
	s_branch .LBB23_10
.LBB23_20:
                                        ; implicit-def: $sgpr6_sgpr7
	s_load_dwordx4 s[12:15], s[0:1], 0x44
	s_branch .LBB23_2
.LBB23_21:
                                        ; implicit-def: $sgpr18_sgpr19
	s_branch .LBB23_5
.LBB23_22:
	v_div_scale_f32 v0, s[0:1], v4, v4, v5
	s_waitcnt vmcnt(0)
	v_rcp_f32_e32 v1, v0
	v_div_scale_f32 v6, vcc, v5, v4, v5
	v_fma_f32 v7, -v0, v1, 1.0
	v_fmac_f32_e32 v1, v7, v1
	v_mul_f32_e32 v7, v6, v1
	v_fma_f32 v8, -v0, v7, v6
	v_fmac_f32_e32 v7, v8, v1
	v_fma_f32 v0, -v0, v7, v6
	v_div_fmas_f32 v0, v0, v1, v7
	v_div_fixup_f32 v0, v0, v4, v5
	global_store_dword v[2:3], v0, off
.LBB23_23:
	s_endpgm
	.section	.rodata,"a",@progbits
	.p2align	6, 0x0
	.amdhsa_kernel _ZL33flash_attn_stream_k_fixup_generalILi112ELi8ELi4EEvPfPK15HIP_vector_typeIfLj2EEiiiiS1_IjLj3EES5_S5_S5_
		.amdhsa_group_segment_fixed_size 0
		.amdhsa_private_segment_fixed_size 0
		.amdhsa_kernarg_size 336
		.amdhsa_user_sgpr_count 2
		.amdhsa_user_sgpr_dispatch_ptr 0
		.amdhsa_user_sgpr_queue_ptr 0
		.amdhsa_user_sgpr_kernarg_segment_ptr 1
		.amdhsa_user_sgpr_dispatch_id 0
		.amdhsa_user_sgpr_kernarg_preload_length 0
		.amdhsa_user_sgpr_kernarg_preload_offset 0
		.amdhsa_user_sgpr_private_segment_size 0
		.amdhsa_uses_dynamic_stack 0
		.amdhsa_enable_private_segment 0
		.amdhsa_system_sgpr_workgroup_id_x 1
		.amdhsa_system_sgpr_workgroup_id_y 1
		.amdhsa_system_sgpr_workgroup_id_z 1
		.amdhsa_system_sgpr_workgroup_info 0
		.amdhsa_system_vgpr_workitem_id 0
		.amdhsa_next_free_vgpr 18
		.amdhsa_next_free_sgpr 36
		.amdhsa_accum_offset 20
		.amdhsa_reserve_vcc 1
		.amdhsa_float_round_mode_32 0
		.amdhsa_float_round_mode_16_64 0
		.amdhsa_float_denorm_mode_32 3
		.amdhsa_float_denorm_mode_16_64 3
		.amdhsa_dx10_clamp 1
		.amdhsa_ieee_mode 1
		.amdhsa_fp16_overflow 0
		.amdhsa_tg_split 0
		.amdhsa_exception_fp_ieee_invalid_op 0
		.amdhsa_exception_fp_denorm_src 0
		.amdhsa_exception_fp_ieee_div_zero 0
		.amdhsa_exception_fp_ieee_overflow 0
		.amdhsa_exception_fp_ieee_underflow 0
		.amdhsa_exception_fp_ieee_inexact 0
		.amdhsa_exception_int_div_zero 0
	.end_amdhsa_kernel
	.section	.text._ZL33flash_attn_stream_k_fixup_generalILi112ELi8ELi4EEvPfPK15HIP_vector_typeIfLj2EEiiiiS1_IjLj3EES5_S5_S5_,"axG",@progbits,_ZL33flash_attn_stream_k_fixup_generalILi112ELi8ELi4EEvPfPK15HIP_vector_typeIfLj2EEiiiiS1_IjLj3EES5_S5_S5_,comdat
.Lfunc_end23:
	.size	_ZL33flash_attn_stream_k_fixup_generalILi112ELi8ELi4EEvPfPK15HIP_vector_typeIfLj2EEiiiiS1_IjLj3EES5_S5_S5_, .Lfunc_end23-_ZL33flash_attn_stream_k_fixup_generalILi112ELi8ELi4EEvPfPK15HIP_vector_typeIfLj2EEiiiiS1_IjLj3EES5_S5_S5_
                                        ; -- End function
	.set _ZL33flash_attn_stream_k_fixup_generalILi112ELi8ELi4EEvPfPK15HIP_vector_typeIfLj2EEiiiiS1_IjLj3EES5_S5_S5_.num_vgpr, 18
	.set _ZL33flash_attn_stream_k_fixup_generalILi112ELi8ELi4EEvPfPK15HIP_vector_typeIfLj2EEiiiiS1_IjLj3EES5_S5_S5_.num_agpr, 0
	.set _ZL33flash_attn_stream_k_fixup_generalILi112ELi8ELi4EEvPfPK15HIP_vector_typeIfLj2EEiiiiS1_IjLj3EES5_S5_S5_.numbered_sgpr, 36
	.set _ZL33flash_attn_stream_k_fixup_generalILi112ELi8ELi4EEvPfPK15HIP_vector_typeIfLj2EEiiiiS1_IjLj3EES5_S5_S5_.num_named_barrier, 0
	.set _ZL33flash_attn_stream_k_fixup_generalILi112ELi8ELi4EEvPfPK15HIP_vector_typeIfLj2EEiiiiS1_IjLj3EES5_S5_S5_.private_seg_size, 0
	.set _ZL33flash_attn_stream_k_fixup_generalILi112ELi8ELi4EEvPfPK15HIP_vector_typeIfLj2EEiiiiS1_IjLj3EES5_S5_S5_.uses_vcc, 1
	.set _ZL33flash_attn_stream_k_fixup_generalILi112ELi8ELi4EEvPfPK15HIP_vector_typeIfLj2EEiiiiS1_IjLj3EES5_S5_S5_.uses_flat_scratch, 0
	.set _ZL33flash_attn_stream_k_fixup_generalILi112ELi8ELi4EEvPfPK15HIP_vector_typeIfLj2EEiiiiS1_IjLj3EES5_S5_S5_.has_dyn_sized_stack, 0
	.set _ZL33flash_attn_stream_k_fixup_generalILi112ELi8ELi4EEvPfPK15HIP_vector_typeIfLj2EEiiiiS1_IjLj3EES5_S5_S5_.has_recursion, 0
	.set _ZL33flash_attn_stream_k_fixup_generalILi112ELi8ELi4EEvPfPK15HIP_vector_typeIfLj2EEiiiiS1_IjLj3EES5_S5_S5_.has_indirect_call, 0
	.section	.AMDGPU.csdata,"",@progbits
; Kernel info:
; codeLenInByte = 2944
; TotalNumSgprs: 42
; NumVgprs: 18
; NumAgprs: 0
; TotalNumVgprs: 18
; ScratchSize: 0
; MemoryBound: 0
; FloatMode: 240
; IeeeMode: 1
; LDSByteSize: 0 bytes/workgroup (compile time only)
; SGPRBlocks: 5
; VGPRBlocks: 2
; NumSGPRsForWavesPerEU: 42
; NumVGPRsForWavesPerEU: 18
; AccumOffset: 20
; Occupancy: 8
; WaveLimiterHint : 0
; COMPUTE_PGM_RSRC2:SCRATCH_EN: 0
; COMPUTE_PGM_RSRC2:USER_SGPR: 2
; COMPUTE_PGM_RSRC2:TRAP_HANDLER: 0
; COMPUTE_PGM_RSRC2:TGID_X_EN: 1
; COMPUTE_PGM_RSRC2:TGID_Y_EN: 1
; COMPUTE_PGM_RSRC2:TGID_Z_EN: 1
; COMPUTE_PGM_RSRC2:TIDIG_COMP_CNT: 0
; COMPUTE_PGM_RSRC3_GFX90A:ACCUM_OFFSET: 4
; COMPUTE_PGM_RSRC3_GFX90A:TG_SPLIT: 0
	.section	.text._ZL15flash_attn_tileILi112ELi112ELi4ELi4ELb0EEvPKcS1_S1_S1_S1_PKiPfP15HIP_vector_typeIfLj2EEffffjfiS5_IjLj3EEiiiiiiiiiiiliiliiiiil,"axG",@progbits,_ZL15flash_attn_tileILi112ELi112ELi4ELi4ELb0EEvPKcS1_S1_S1_S1_PKiPfP15HIP_vector_typeIfLj2EEffffjfiS5_IjLj3EEiiiiiiiiiiiliiliiiiil,comdat
	.globl	_ZL15flash_attn_tileILi112ELi112ELi4ELi4ELb0EEvPKcS1_S1_S1_S1_PKiPfP15HIP_vector_typeIfLj2EEffffjfiS5_IjLj3EEiiiiiiiiiiiliiliiiiil ; -- Begin function _ZL15flash_attn_tileILi112ELi112ELi4ELi4ELb0EEvPKcS1_S1_S1_S1_PKiPfP15HIP_vector_typeIfLj2EEffffjfiS5_IjLj3EEiiiiiiiiiiiliiliiiiil
	.p2align	8
	.type	_ZL15flash_attn_tileILi112ELi112ELi4ELi4ELb0EEvPKcS1_S1_S1_S1_PKiPfP15HIP_vector_typeIfLj2EEffffjfiS5_IjLj3EEiiiiiiiiiiiliiliiiiil,@function
_ZL15flash_attn_tileILi112ELi112ELi4ELi4ELb0EEvPKcS1_S1_S1_S1_PKiPfP15HIP_vector_typeIfLj2EEffffjfiS5_IjLj3EEiiiiiiiiiiiliiliiiiil: ; @_ZL15flash_attn_tileILi112ELi112ELi4ELi4ELb0EEvPKcS1_S1_S1_S1_PKiPfP15HIP_vector_typeIfLj2EEffffjfiS5_IjLj3EEiiiiiiiiiiiliiliiiiil
; %bb.0:
	s_load_dwordx4 s[36:39], s[0:1], 0x5c
	s_load_dwordx2 s[34:35], s[0:1], 0x80
	s_load_dwordx16 s[16:31], s[0:1], 0x0
	s_mov_b64 s[40:41], 0
	s_waitcnt lgkmcnt(0)
	s_ashr_i32 s5, s39, 31
	s_lshr_b32 s5, s5, 30
	s_add_i32 s5, s39, s5
	s_ashr_i32 s5, s5, 2
	v_cvt_f32_u32_e32 v1, s5
	s_sub_i32 s6, 0, s5
	v_rcp_iflag_f32_e32 v1, v1
	s_nop 0
	v_mul_f32_e32 v1, 0x4f7ffffe, v1
	v_cvt_u32_f32_e32 v1, v1
	s_nop 0
	v_readfirstlane_b32 s7, v1
	s_mul_i32 s6, s6, s7
	s_mul_hi_u32 s6, s7, s6
	s_add_i32 s7, s7, s6
	s_mul_hi_u32 s6, s4, s7
	s_mul_i32 s7, s6, s5
	s_sub_i32 s7, s4, s7
	s_add_i32 s8, s6, 1
	s_sub_i32 s9, s7, s5
	s_cmp_ge_u32 s7, s5
	s_cselect_b32 s6, s8, s6
	s_cselect_b32 s7, s9, s7
	s_add_i32 s8, s6, 1
	s_cmp_ge_u32 s7, s5
	s_cselect_b32 s33, s8, s6
	s_abs_i32 s5, s35
	v_cvt_f32_u32_e32 v1, s5
	s_sub_i32 s8, 0, s5
	s_abs_i32 s7, s39
	s_lshl_b32 s6, s4, 2
	v_rcp_iflag_f32_e32 v1, v1
	s_xor_b32 s4, s39, s35
	s_ashr_i32 s4, s4, 31
	v_mul_f32_e32 v1, 0x4f7ffffe, v1
	v_cvt_u32_f32_e32 v1, v1
	s_nop 0
	v_readfirstlane_b32 s9, v1
	s_mul_i32 s8, s8, s9
	s_mul_hi_u32 s8, s9, s8
	s_add_i32 s9, s9, s8
	s_mul_hi_u32 s8, s7, s9
	s_mul_i32 s9, s8, s5
	s_sub_i32 s7, s7, s9
	s_add_i32 s10, s8, 1
	s_sub_i32 s9, s7, s5
	s_cmp_ge_u32 s7, s5
	s_cselect_b32 s8, s10, s8
	s_cselect_b32 s7, s9, s7
	s_add_i32 s9, s8, 1
	s_cmp_ge_u32 s7, s5
	s_cselect_b32 s5, s9, s8
	s_xor_b32 s5, s5, s4
	s_sub_i32 s9, s5, s4
	s_abs_i32 s8, s9
	v_cvt_f32_u32_e32 v1, s8
	s_load_dwordx2 s[4:5], s[0:1], 0xb8
	s_mul_i32 s7, s33, s39
	s_cmp_eq_u64 s[22:23], 0
	v_rcp_iflag_f32_e32 v1, v1
	s_nop 0
	v_mul_f32_e32 v1, 0x4f7ffffe, v1
	v_cvt_u32_f32_e32 v1, v1
	s_nop 0
	v_readfirstlane_b32 s10, v1
	s_cbranch_scc1 .LBB24_2
; %bb.1:
	s_waitcnt lgkmcnt(0)
	s_abs_i32 s4, s4
	v_cvt_f32_u32_e32 v1, s4
	s_sub_i32 s15, 0, s4
	s_abs_i32 s14, s33
	s_ashr_i32 s11, s33, 31
	v_rcp_iflag_f32_e32 v1, v1
	s_load_dwordx2 s[12:13], s[0:1], 0xc8
	v_mul_f32_e32 v1, 0x4f7ffffe, v1
	v_cvt_u32_f32_e32 v1, v1
	s_nop 0
	v_readfirstlane_b32 s35, v1
	s_mul_i32 s15, s15, s35
	s_mul_hi_u32 s15, s35, s15
	s_add_i32 s35, s35, s15
	s_mul_hi_u32 s15, s14, s35
	s_mul_i32 s15, s15, s4
	s_sub_i32 s14, s14, s15
	s_sub_i32 s15, s14, s4
	s_cmp_ge_u32 s14, s4
	s_cselect_b32 s14, s15, s14
	s_sub_i32 s15, s14, s4
	s_cmp_ge_u32 s14, s4
	s_cselect_b32 s4, s15, s14
	s_xor_b32 s4, s4, s11
	s_sub_i32 s4, s4, s11
	s_ashr_i32 s11, s4, 31
	s_waitcnt lgkmcnt(0)
	s_mul_hi_u32 s14, s12, s4
	s_mul_i32 s11, s12, s11
	s_mul_i32 s13, s13, s4
	s_add_i32 s11, s14, s11
	s_add_i32 s11, s11, s13
	s_mul_i32 s4, s12, s4
	s_add_u32 s40, s22, s4
	s_addc_u32 s41, s23, s11
.LBB24_2:
	v_lshrrev_b32_e32 v3, 10, v0
	v_bfe_u32 v3, v3, 1, 9
	v_lshl_add_u32 v49, s2, 2, v3
	v_bfe_u32 v1, v0, 10, 10
	v_and_b32_e32 v50, 0x3ff, v0
	v_mul_hi_u32 v0, s36, v49
	v_add_u32_e32 v0, v49, v0
	v_lshrrev_b32_e32 v0, s37, v0
	v_lshlrev_b32_e32 v2, 1, v1
	v_mul_lo_u32 v0, v0, s38
	s_sub_i32 s35, s6, s7
	v_cmp_gt_u32_e64 s[22:23], 28, v50
	v_sub_u32_e32 v0, v49, v0
	v_lshlrev_b32_e32 v48, 2, v50
	v_lshlrev_b32_e32 v69, 3, v50
	v_and_b32_e32 v51, 2, v2
	s_and_saveexec_b64 s[6:7], s[22:23]
	s_cbranch_execz .LBB24_4
; %bb.3:
	s_load_dwordx4 s[12:15], s[0:1], 0x70
	s_waitcnt lgkmcnt(0)
	s_mul_i32 s4, s33, s14
	s_ashr_i32 s15, s4, 31
	s_mul_i32 s11, s35, s13
	s_add_u32 s4, s16, s4
	s_addc_u32 s15, s17, s15
	s_ashr_i32 s17, s11, 31
	s_add_u32 s16, s4, s11
	s_mov_b32 s14, s12
	s_addc_u32 s17, s15, s17
	s_ashr_i32 s15, s12, 31
	s_lshr_b64 s[36:37], s[14:15], 2
	s_lshr_b32 s4, s15, 2
	v_mad_u64_u32 v[4:5], s[14:15], s36, v0, 0
	v_mov_b32_e32 v6, v5
	v_mad_u64_u32 v[6:7], s[14:15], s4, v0, v[6:7]
	v_mov_b32_e32 v5, v6
	s_ashr_i32 s15, s13, 31
	s_mov_b32 s14, s13
	v_lshl_add_u64 v[4:5], v[4:5], 2, s[16:17]
	v_lshlrev_b32_e32 v6, 2, v48
	v_mov_b32_e32 v7, 0
	s_lshr_b64 s[12:13], s[14:15], 2
	s_lshr_b32 s4, s15, 2
	v_lshl_add_u64 v[8:9], v[4:5], 0, v[6:7]
	v_mul_lo_u32 v3, s4, v51
	v_mad_u64_u32 v[4:5], s[14:15], s12, v51, 0
	v_or_b32_e32 v5, v5, v3
	v_bitop3_b32 v3, v2, 3, 1 bitop3:0xc8
	v_mad_u64_u32 v[10:11], s[12:13], s12, v3, 0
	v_mov_b32_e32 v12, v11
	v_mad_u64_u32 v[12:13], s[12:13], s4, v3, v[12:13]
	v_lshl_add_u64 v[4:5], v[4:5], 2, v[8:9]
	v_mov_b32_e32 v11, v12
	global_load_dwordx4 v[4:7], v[4:5], off
	v_lshl_add_u64 v[8:9], v[10:11], 2, v[8:9]
	global_load_dwordx4 v[8:11], v[8:9], off
	s_load_dword s4, s[0:1], 0x40
	v_add_u32_e32 v3, 0x1040, v69
	s_movk_i32 s11, 0x1c0
	v_or_b32_e32 v2, 1, v2
	s_movk_i32 s12, 0xe0
	v_mad_u32_u24 v12, v1, s11, v3
	v_mad_u32_u24 v13, v2, s12, v3
	s_waitcnt vmcnt(1) lgkmcnt(0)
	v_fma_mixlo_f16 v2, s4, v4, 0
	v_fma_mixlo_f16 v3, s4, v5, 0
	v_fma_mixlo_f16 v4, s4, v6, 0
	v_fma_mixlo_f16 v5, s4, v7, 0
	s_waitcnt vmcnt(0)
	v_fma_mixlo_f16 v6, s4, v8, 0
	v_fma_mixlo_f16 v7, s4, v9, 0
	v_lshlrev_b32_e32 v3, 16, v3
	v_and_b32_e32 v2, 0xffff, v2
	v_fma_mixlo_f16 v8, s4, v10, 0
	v_fma_mixlo_f16 v9, s4, v11, 0
	v_lshlrev_b32_e32 v5, 16, v5
	v_and_b32_e32 v4, 0xffff, v4
	v_lshlrev_b32_e32 v7, 16, v7
	v_and_b32_e32 v6, 0xffff, v6
	v_or_b32_e32 v2, v3, v2
	v_lshlrev_b32_e32 v9, 16, v9
	v_and_b32_e32 v8, 0xffff, v8
	v_or3_b32 v3, v5, v4, 0
	v_or_b32_e32 v4, v7, v6
	v_or3_b32 v2, 0, 0, v2
	v_or3_b32 v5, v9, v8, 0
	;; [unrolled: 1-line block ×3, first 2 shown]
	ds_write_b64 v12, v[2:3]
	ds_write_b64 v13, v[4:5]
.LBB24_4:
	s_or_b64 exec, exec, s[6:7]
	s_cmp_eq_u64 s[26:27], 0
	s_waitcnt lgkmcnt(0)
	s_barrier
	s_cbranch_scc1 .LBB24_6
; %bb.5:
	s_load_dword s4, s[0:1], 0xd0
	s_mov_b32 s7, 0
	s_waitcnt lgkmcnt(0)
	s_mul_i32 s4, s4, s33
	s_add_i32 s6, s4, s2
	s_lshl_b64 s[6:7], s[6:7], 2
	s_add_u32 s6, s26, s6
	s_addc_u32 s7, s27, s7
	s_load_dword s34, s[6:7], 0x0
.LBB24_6:
	s_lshl_b32 s2, s3, 5
	s_waitcnt lgkmcnt(0)
	s_cmp_lt_i32 s2, s34
	v_mbcnt_lo_u32_b32 v2, -1, 0
	s_cbranch_scc1 .LBB24_22
; %bb.7:
	v_mbcnt_hi_u32_b32 v81, -1, v2
	v_and_b32_e32 v3, 0x60, v81
	v_add_u32_e32 v99, 32, v3
	v_xor_b32_e32 v98, 16, v81
	v_xor_b32_e32 v97, 8, v81
	;; [unrolled: 1-line block ×5, first 2 shown]
	s_cbranch_execz .LBB24_23
; %bb.8:
	v_mov_b32_e32 v53, 0
	v_mov_b32_e32 v75, 0xfeffffff
	;; [unrolled: 1-line block ×8, first 2 shown]
.LBB24_9:
	v_cmp_lt_i32_e32 vcc, v98, v99
	s_cmp_lg_u64 s[24:25], 0
	s_cselect_b64 s[4:5], -1, 0
	v_cndmask_b32_e32 v0, v81, v98, vcc
	v_lshlrev_b32_e32 v1, 2, v0
	ds_bpermute_b32 v0, v1, v52
	ds_bpermute_b32 v1, v1, v53
	v_cmp_lt_i32_e32 vcc, v97, v99
	s_cmp_eq_u32 s3, 0
	s_cselect_b64 s[6:7], -1, 0
	v_cndmask_b32_e32 v2, v81, v97, vcc
	v_lshlrev_b32_e32 v3, 2, v2
	s_waitcnt lgkmcnt(0)
	v_pk_add_f32 v[0:1], v[52:53], v[0:1]
	ds_bpermute_b32 v2, v3, v0
	ds_bpermute_b32 v3, v3, v1
	v_cmp_lt_i32_e32 vcc, v96, v99
	s_and_b64 s[4:5], s[6:7], s[4:5]
	s_waitcnt lgkmcnt(0)
	v_pk_add_f32 v[0:1], v[0:1], v[2:3]
	v_cndmask_b32_e32 v4, v81, v96, vcc
	v_lshlrev_b32_e32 v4, 2, v4
	ds_bpermute_b32 v2, v4, v0
	ds_bpermute_b32 v3, v4, v1
	v_cmp_lt_i32_e32 vcc, v95, v99
	s_waitcnt lgkmcnt(0)
	v_pk_add_f32 v[0:1], v[0:1], v[2:3]
	v_cndmask_b32_e32 v4, v81, v95, vcc
	v_lshlrev_b32_e32 v4, 2, v4
	ds_bpermute_b32 v2, v4, v0
	ds_bpermute_b32 v3, v4, v1
	v_cmp_lt_i32_e32 vcc, v94, v99
	s_waitcnt lgkmcnt(0)
	v_pk_add_f32 v[0:1], v[0:1], v[2:3]
	v_cndmask_b32_e32 v4, v81, v94, vcc
	v_lshlrev_b32_e32 v4, 2, v4
	ds_bpermute_b32 v2, v4, v0
	ds_bpermute_b32 v3, v4, v1
	s_and_b64 vcc, exec, s[4:5]
	s_waitcnt lgkmcnt(0)
	v_pk_add_f32 v[0:1], v[0:1], v[2:3]
	s_cbranch_vccz .LBB24_11
; %bb.10:
	v_add_u32_e32 v2, s35, v51
	v_ashrrev_i32_e32 v3, 31, v2
	v_lshl_add_u64 v[2:3], v[2:3], 2, s[24:25]
	global_load_dwordx2 v[2:3], v[2:3], off
	v_max_f32_e32 v4, v74, v74
	v_max_f32_e32 v5, v75, v75
	s_mov_b32 s2, 0x3fb8aa3b
	s_mov_b32 s4, 0xc2ce8ed0
	;; [unrolled: 1-line block ×3, first 2 shown]
	v_mov_b32_e32 v7, 0x7f800000
	s_waitcnt vmcnt(0)
	v_max_f32_e32 v6, v2, v2
	v_max_f32_e32 v4, v4, v6
	;; [unrolled: 1-line block ×3, first 2 shown]
	v_sub_f32_e32 v6, v74, v4
	v_max_f32_e32 v5, v5, v8
	v_sub_f32_e32 v8, v2, v4
	v_mul_f32_e32 v2, 0x3fb8aa3b, v6
	v_sub_f32_e32 v9, v75, v5
	v_sub_f32_e32 v10, v3, v5
	v_mul_f32_e32 v3, 0x3fb8aa3b, v8
	v_fma_f32 v13, v6, s2, -v2
	v_rndne_f32_e32 v14, v2
	v_mul_f32_e32 v11, 0x3fb8aa3b, v9
	v_fma_f32 v15, v8, s2, -v3
	v_rndne_f32_e32 v16, v3
	v_fmac_f32_e32 v13, 0x32a5705f, v6
	v_sub_f32_e32 v2, v2, v14
	v_mul_f32_e32 v12, 0x3fb8aa3b, v10
	v_fma_f32 v17, v9, s2, -v11
	v_rndne_f32_e32 v18, v11
	v_fmac_f32_e32 v15, 0x32a5705f, v8
	v_sub_f32_e32 v3, v3, v16
	v_add_f32_e32 v2, v2, v13
	v_fma_f32 v19, v10, s2, -v12
	v_rndne_f32_e32 v20, v12
	v_cvt_i32_f32_e32 v14, v14
	v_fmac_f32_e32 v17, 0x32a5705f, v9
	v_sub_f32_e32 v11, v11, v18
	v_add_f32_e32 v3, v3, v15
	v_exp_f32_e32 v2, v2
	v_cvt_i32_f32_e32 v16, v16
	v_fmac_f32_e32 v19, 0x32a5705f, v10
	v_sub_f32_e32 v12, v12, v20
	v_add_f32_e32 v11, v11, v17
	v_exp_f32_e32 v3, v3
	v_cvt_i32_f32_e32 v18, v18
	v_add_f32_e32 v12, v12, v19
	v_exp_f32_e32 v11, v11
	v_cvt_i32_f32_e32 v20, v20
	v_exp_f32_e32 v12, v12
	v_ldexp_f32 v2, v2, v14
	v_cmp_ngt_f32_e32 vcc, s4, v6
	v_ldexp_f32 v3, v3, v16
	v_ldexp_f32 v11, v11, v18
	v_cndmask_b32_e32 v2, 0, v2, vcc
	v_cmp_ngt_f32_e32 vcc, s4, v8
	v_ldexp_f32 v12, v12, v20
	v_mov_b64_e32 v[74:75], v[4:5]
	v_cndmask_b32_e32 v3, 0, v3, vcc
	v_cmp_ngt_f32_e32 vcc, s4, v9
	s_nop 1
	v_cndmask_b32_e32 v11, 0, v11, vcc
	v_cmp_ngt_f32_e32 vcc, s4, v10
	s_nop 1
	v_cndmask_b32_e32 v12, 0, v12, vcc
	v_cmp_nlt_f32_e32 vcc, s5, v6
	s_nop 1
	v_cndmask_b32_e32 v2, v7, v2, vcc
	v_cmp_nlt_f32_e32 vcc, s5, v8
	v_cvt_f16_f32_e32 v8, v2
	s_nop 0
	v_cndmask_b32_e32 v6, v7, v3, vcc
	v_cmp_nlt_f32_e32 vcc, s5, v9
	s_nop 1
	v_cndmask_b32_e32 v3, v7, v11, vcc
	v_cvt_f16_f32_e32 v9, v3
	v_cmp_nlt_f32_e32 vcc, s5, v10
	s_nop 1
	v_cndmask_b32_e32 v7, v7, v12, vcc
	v_pk_fma_f32 v[0:1], v[0:1], v[2:3], v[6:7]
	v_mul_u32_u24_e32 v2, 0x10001, v8
	v_mul_u32_u24_e32 v3, 0x10001, v9
	v_pk_mul_f16 v82, v82, v2
	v_pk_mul_f16 v83, v83, v2
	;; [unrolled: 1-line block ×4, first 2 shown]
.LBB24_11:
	v_cmp_gt_i32_e32 vcc, s38, v49
	s_and_saveexec_b64 s[4:5], vcc
	s_cbranch_execz .LBB24_21
; %bb.12:
	s_load_dword s2, s[0:1], 0xd4
	v_mov_b32_e32 v2, 1.0
	s_waitcnt lgkmcnt(0)
	s_cmp_lg_u32 s2, 1
	s_cselect_b64 s[4:5], -1, 0
	s_cmp_eq_u32 s2, 1
	s_cselect_b64 s[0:1], -1, 0
	s_and_b64 vcc, exec, s[4:5]
	s_cbranch_vccnz .LBB24_14
; %bb.13:
	v_div_scale_f32 v2, s[6:7], v0, v0, 1.0
	v_rcp_f32_e32 v3, v2
	v_div_scale_f32 v4, vcc, 1.0, v0, 1.0
	v_fma_f32 v5, -v2, v3, 1.0
	v_fmac_f32_e32 v3, v5, v3
	v_mul_f32_e32 v5, v4, v3
	v_fma_f32 v6, -v2, v5, v4
	v_fmac_f32_e32 v5, v6, v3
	v_fma_f32 v2, -v2, v5, v4
	v_div_fmas_f32 v2, v2, v3, v5
	v_div_fixup_f32 v2, v2, v0, 1.0
.LBB24_14:
	s_mul_i32 s33, s33, s38
	v_add_u32_e32 v3, s33, v49
	v_mul_lo_u32 v3, v3, s39
	v_add3_u32 v3, s35, v51, v3
	v_mul_lo_u32 v3, s2, v3
	v_add_u32_e32 v4, s3, v3
	s_and_saveexec_b64 s[6:7], s[22:23]
	s_cbranch_execz .LBB24_16
; %bb.15:
	v_cvt_f32_f16_sdwa v9, v82 dst_sel:DWORD dst_unused:UNUSED_PAD src0_sel:WORD_1
	v_cvt_f32_f16_e32 v8, v82
	v_cvt_f32_f16_sdwa v11, v83 dst_sel:DWORD dst_unused:UNUSED_PAD src0_sel:WORD_1
	v_cvt_f32_f16_e32 v10, v83
	s_movk_i32 s8, 0x70
	v_mad_u64_u32 v[6:7], s[8:9], v4, s8, v[48:49]
	v_mov_b32_e32 v7, 0
	v_lshl_add_u64 v[12:13], v[6:7], 2, s[28:29]
	v_pk_mul_f32 v[6:7], v[2:3], v[8:9] op_sel_hi:[0,1]
	v_pk_mul_f32 v[8:9], v[2:3], v[10:11] op_sel_hi:[0,1]
	global_store_dwordx4 v[12:13], v[6:9], off
.LBB24_16:
	s_or_b64 exec, exec, s[6:7]
	v_cmp_eq_u32_e32 vcc, 0, v50
	s_and_b64 s[4:5], vcc, s[4:5]
	s_and_saveexec_b64 s[6:7], s[4:5]
	s_cbranch_execnz .LBB24_50
; %bb.17:
	s_or_b64 exec, exec, s[6:7]
	s_andn2_b64 vcc, exec, s[0:1]
	v_mov_b32_e32 v0, 1.0
	s_cbranch_vccz .LBB24_51
.LBB24_18:
	s_add_i32 s3, s3, s2
	v_add_u32_e32 v2, s3, v3
	s_and_saveexec_b64 s[0:1], s[22:23]
	s_cbranch_execnz .LBB24_52
.LBB24_19:
	s_or_b64 exec, exec, s[0:1]
	s_and_b64 exec, exec, s[4:5]
	s_cbranch_execz .LBB24_21
.LBB24_20:
	v_ashrrev_i32_e32 v3, 31, v2
	v_lshl_add_u64 v[2:3], v[2:3], 3, s[30:31]
	v_mov_b32_e32 v0, v75
	global_store_dwordx2 v[2:3], v[0:1], off
.LBB24_21:
	s_endpgm
.LBB24_22:
                                        ; implicit-def: $vgpr81
                                        ; implicit-def: $vgpr99
                                        ; implicit-def: $vgpr98
                                        ; implicit-def: $vgpr97
                                        ; implicit-def: $vgpr96
                                        ; implicit-def: $vgpr95
                                        ; implicit-def: $vgpr94
.LBB24_23:
	s_load_dwordx2 s[6:7], s[0:1], 0x8c
	s_load_dwordx4 s[12:15], s[0:1], 0x98
	s_sub_i32 s4, 0, s8
	s_mul_i32 s4, s4, s10
	s_mul_hi_u32 s4, s10, s4
	s_waitcnt lgkmcnt(0)
	s_ashr_i32 s45, s6, 2
	s_ashr_i32 s44, s14, 2
	;; [unrolled: 1-line block ×4, first 2 shown]
	s_mul_hi_u32 s6, s12, s33
	s_mul_i32 s26, s12, s5
	s_abs_i32 s16, s35
	s_add_i32 s10, s10, s4
	s_add_i32 s6, s6, s26
	s_mul_i32 s13, s13, s33
	s_mul_hi_u32 s4, s16, s10
	s_ashr_i32 s17, s35, 31
	s_ashr_i32 s9, s9, 31
	s_add_i32 s6, s6, s13
	s_mul_i32 s12, s12, s33
	s_add_u32 s12, s18, s12
	s_mul_i32 s13, s4, s8
	s_addc_u32 s6, s19, s6
	s_sub_i32 s13, s16, s13
	s_xor_b32 s9, s17, s9
	s_add_i32 s16, s4, 1
	s_sub_i32 s17, s13, s8
	s_cmp_ge_u32 s13, s8
	s_cselect_b32 s4, s16, s4
	s_cselect_b32 s13, s17, s13
	s_add_i32 s16, s4, 1
	s_cmp_ge_u32 s13, s8
	s_cselect_b32 s4, s16, s4
	s_load_dwordx2 s[10:11], s[0:1], 0xa8
	s_xor_b32 s4, s4, s9
	s_sub_i32 s4, s4, s9
	s_mul_i32 s7, s4, s7
	s_ashr_i32 s8, s7, 31
	s_add_u32 s46, s12, s7
	s_addc_u32 s47, s6, s8
	s_waitcnt lgkmcnt(0)
	s_mul_hi_u32 s6, s10, s33
	s_mul_i32 s5, s10, s5
	s_add_i32 s5, s6, s5
	s_mul_i32 s6, s11, s33
	v_lshrrev_b32_e32 v4, 1, v50
	s_movk_i32 s8, 0x1c0
	v_mov_b32_e32 v9, 0x1040
	s_add_i32 s5, s5, s6
	s_mul_i32 s6, s10, s33
	v_lshl_add_u32 v5, v1, 4, v4
	v_lshrrev_b32_e32 v4, 2, v50
	v_mad_u32_u24 v88, v1, s8, v9
	v_mad_u64_u32 v[62:63], s[8:9], v0, s14, v[50:51]
	v_mov_b32_e32 v0, 0x1e40
	s_add_u32 s6, s20, s6
	s_mul_i32 s4, s4, s15
	v_lshl_add_u32 v6, v1, 3, v4
	v_and_b32_e32 v4, 4, v48
	v_lshl_add_u32 v89, v1, 7, v0
	v_lshrrev_b32_e32 v0, 3, v50
	s_addc_u32 s5, s21, s5
	s_ashr_i32 s7, s4, 31
	v_lshl_add_u32 v3, v1, 5, v50
	v_lshlrev_b32_e32 v7, 2, v4
	v_lshl_add_u32 v0, v1, 2, v0
	v_mul_u32_u24_e32 v1, 0xe0, v5
	s_add_u32 s48, s6, s4
	v_cmp_gt_u32_e32 vcc, 32, v3
	v_mul_lo_u32 v54, s45, v3
	v_lshlrev_b32_e32 v3, 7, v5
	v_and_b32_e32 v8, 12, v48
	v_or_b32_e32 v1, v1, v7
	s_addc_u32 s49, s5, s7
	v_or3_b32 v86, v3, v7, 64
	v_lshlrev_b32_e32 v3, 2, v8
	v_add_u32_e32 v90, 0xc0, v1
	v_mul_u32_u24_e32 v1, 0xe0, v6
	s_movk_i32 s15, 0x80
	v_and_b32_e32 v68, 28, v48
	v_lshlrev_b32_e32 v84, 7, v50
	v_mul_lo_u32 v56, s45, v5
	v_mov_b32_e32 v59, 0
	v_mul_lo_u32 v60, s45, v6
	s_movk_i32 s14, 0xe0
	v_mul_lo_u32 v64, s44, v5
	v_add3_u32 v91, v1, v3, s15
	v_mul_lo_u32 v66, s44, v6
	v_lshlrev_b32_e32 v1, 2, v68
	v_mul_lo_u32 v70, s44, v0
	s_add_u32 s26, s0, 0xd0
	v_cmp_gt_u32_e64 s[4:5], 32, v5
	v_cmp_gt_u32_e64 s[6:7], 32, v6
	v_or_b32_e32 v85, 0x60, v84
	v_ashrrev_i32_e32 v55, 31, v54
	v_ashrrev_i32_e32 v57, 31, v56
	v_lshl_or_b32 v87, v6, 7, v3
	v_ashrrev_i32_e32 v61, 31, v60
	v_cmp_gt_u32_e64 s[8:9], 16, v5
	v_cmp_gt_u32_e64 s[10:11], 16, v6
	;; [unrolled: 1-line block ×3, first 2 shown]
	v_ashrrev_i32_e32 v65, 31, v64
	v_ashrrev_i32_e32 v67, 31, v66
	v_mad_u32_u24 v92, v0, s14, v1
	v_ashrrev_i32_e32 v71, 31, v70
	s_addc_u32 s27, s1, 0
	v_mov_b32_e32 v6, 0xfeffffff
	s_mov_b32 s50, 0x3fb8aa3b
	s_mov_b32 s51, 0xc2ce8ed0
	;; [unrolled: 1-line block ×4, first 2 shown]
	v_lshlrev_b32_e32 v58, 2, v4
	v_lshlrev_b32_e32 v72, 2, v8
	v_mbcnt_hi_u32_b32 v81, -1, v2
	v_mov_b32_e32 v93, 0x7f800000
	v_mov_b32_e32 v80, v59
	;; [unrolled: 1-line block ×8, first 2 shown]
.LBB24_24:                              ; =>This Inner Loop Header: Depth=1
	s_mul_hi_i32 s15, s2, s45
	s_mul_i32 s14, s2, s45
	s_lshl_b64 s[14:15], s[14:15], 2
	s_add_u32 s14, s46, s14
	s_addc_u32 s15, s47, s15
	v_lshl_add_u64 v[4:5], v[54:55], 2, s[14:15]
	s_and_saveexec_b64 s[16:17], vcc
	s_cbranch_execnz .LBB24_42
; %bb.25:                               ;   in Loop: Header=BB24_24 Depth=1
	s_or_b64 exec, exec, s[16:17]
	v_lshl_add_u64 v[0:1], v[56:57], 2, s[14:15]
	s_and_saveexec_b64 s[16:17], s[4:5]
	s_cbranch_execnz .LBB24_43
.LBB24_26:                              ;   in Loop: Header=BB24_24 Depth=1
	s_or_b64 exec, exec, s[16:17]
	v_lshl_add_u64 v[2:3], v[60:61], 2, s[14:15]
	s_and_saveexec_b64 s[14:15], s[6:7]
	s_cbranch_execz .LBB24_28
.LBB24_27:                              ;   in Loop: Header=BB24_24 Depth=1
	v_mov_b32_e32 v73, v59
	v_lshl_add_u64 v[8:9], v[2:3], 0, v[72:73]
	global_load_dwordx4 v[8:11], v[8:9], off
	s_waitcnt vmcnt(0)
	ds_write_b128 v87, v[8:11]
.LBB24_28:                              ;   in Loop: Header=BB24_24 Depth=1
	s_or_b64 exec, exec, s[14:15]
	s_waitcnt lgkmcnt(0)
	s_barrier
	ds_read_b128 v[10:13], v84
	ds_read_b128 v[14:17], v88
	ds_read_b128 v[18:21], v88 offset:224
	v_mov_b32_e32 v8, 0
	s_waitcnt lgkmcnt(1)
	;;#ASMSTART
	v_dot2_f32_f16 v8, v10, v14, v8
	;;#ASMEND
	s_nop 0
	;;#ASMSTART
	v_dot2_f32_f16 v8, v11, v15, v8
	;;#ASMEND
	v_mov_b32_e32 v9, 0
	;;#ASMSTART
	v_dot2_f32_f16 v8, v12, v16, v8
	;;#ASMEND
	s_nop 0
	;;#ASMSTART
	v_dot2_f32_f16 v8, v13, v17, v8
	;;#ASMEND
	s_waitcnt lgkmcnt(0)
	;;#ASMSTART
	v_dot2_f32_f16 v9, v10, v18, v9
	;;#ASMEND
	s_nop 0
	;;#ASMSTART
	v_dot2_f32_f16 v9, v11, v19, v9
	;;#ASMEND
	s_nop 0
	;;#ASMSTART
	v_dot2_f32_f16 v9, v12, v20, v9
	;;#ASMEND
	s_nop 0
	;;#ASMSTART
	v_dot2_f32_f16 v9, v13, v21, v9
	;;#ASMEND
	ds_read_b128 v[10:13], v84 offset:16
	ds_read_b128 v[14:17], v88 offset:16
	ds_read_b128 v[18:21], v88 offset:240
	s_waitcnt lgkmcnt(1)
	;;#ASMSTART
	v_dot2_f32_f16 v8, v10, v14, v8
	;;#ASMEND
	s_nop 0
	;;#ASMSTART
	v_dot2_f32_f16 v8, v11, v15, v8
	;;#ASMEND
	s_nop 0
	;;#ASMSTART
	v_dot2_f32_f16 v8, v12, v16, v8
	;;#ASMEND
	s_nop 0
	;;#ASMSTART
	v_dot2_f32_f16 v8, v13, v17, v8
	;;#ASMEND
	s_waitcnt lgkmcnt(0)
	;;#ASMSTART
	v_dot2_f32_f16 v9, v10, v18, v9
	;;#ASMEND
	s_nop 0
	;;#ASMSTART
	v_dot2_f32_f16 v9, v11, v19, v9
	;;#ASMEND
	s_nop 0
	;;#ASMSTART
	v_dot2_f32_f16 v9, v12, v20, v9
	;;#ASMEND
	s_nop 0
	;;#ASMSTART
	v_dot2_f32_f16 v9, v13, v21, v9
	;;#ASMEND
	ds_read_b128 v[10:13], v84 offset:32
	ds_read_b128 v[14:17], v88 offset:32
	ds_read_b128 v[18:21], v88 offset:256
	s_waitcnt lgkmcnt(1)
	;;#ASMSTART
	v_dot2_f32_f16 v8, v10, v14, v8
	;;#ASMEND
	s_nop 0
	;;#ASMSTART
	v_dot2_f32_f16 v8, v11, v15, v8
	;;#ASMEND
	s_nop 0
	;; [unrolled: 35-line block ×6, first 2 shown]
	;;#ASMSTART
	v_dot2_f32_f16 v8, v12, v16, v8
	;;#ASMEND
	s_nop 0
	;;#ASMSTART
	v_dot2_f32_f16 v8, v13, v17, v8
	;;#ASMEND
	s_waitcnt lgkmcnt(0)
	;;#ASMSTART
	v_dot2_f32_f16 v9, v10, v18, v9
	;;#ASMEND
	s_nop 0
	;;#ASMSTART
	v_dot2_f32_f16 v9, v11, v19, v9
	;;#ASMEND
	s_nop 0
	;; [unrolled: 4-line block ×3, first 2 shown]
	;;#ASMSTART
	v_dot2_f32_f16 v9, v13, v21, v9
	;;#ASMEND
	s_barrier
	s_and_saveexec_b64 s[14:15], vcc
	s_cbranch_execnz .LBB24_44
; %bb.29:                               ;   in Loop: Header=BB24_24 Depth=1
	s_or_b64 exec, exec, s[14:15]
	s_and_saveexec_b64 s[14:15], s[4:5]
	s_cbranch_execnz .LBB24_45
.LBB24_30:                              ;   in Loop: Header=BB24_24 Depth=1
	s_or_b64 exec, exec, s[14:15]
	s_and_saveexec_b64 s[14:15], s[6:7]
	s_cbranch_execz .LBB24_32
.LBB24_31:                              ;   in Loop: Header=BB24_24 Depth=1
	v_mov_b32_e32 v73, v59
	v_lshl_add_u64 v[0:1], v[2:3], 0, v[72:73]
	global_load_dwordx4 v[0:3], v[0:1], off offset:112
	s_waitcnt vmcnt(0)
	ds_write_b128 v87, v[0:3]
.LBB24_32:                              ;   in Loop: Header=BB24_24 Depth=1
	s_or_b64 exec, exec, s[14:15]
	s_waitcnt lgkmcnt(0)
	s_barrier
	ds_read_b128 v[0:3], v84
	ds_read_b128 v[10:13], v88 offset:112
	ds_read_b128 v[14:17], v88 offset:336
	s_waitcnt lgkmcnt(1)
	;;#ASMSTART
	v_dot2_f32_f16 v8, v0, v10, v8
	;;#ASMEND
	s_nop 0
	;;#ASMSTART
	v_dot2_f32_f16 v8, v1, v11, v8
	;;#ASMEND
	v_xor_b32_e32 v98, 16, v81
	;;#ASMSTART
	v_dot2_f32_f16 v8, v2, v12, v8
	;;#ASMEND
	v_xor_b32_e32 v97, 8, v81
	;;#ASMSTART
	v_dot2_f32_f16 v8, v3, v13, v8
	;;#ASMEND
	s_waitcnt lgkmcnt(0)
	;;#ASMSTART
	v_dot2_f32_f16 v9, v0, v14, v9
	;;#ASMEND
	v_xor_b32_e32 v96, 4, v81
	;;#ASMSTART
	v_dot2_f32_f16 v9, v1, v15, v9
	;;#ASMEND
	v_xor_b32_e32 v95, 2, v81
	;; [unrolled: 4-line block ×3, first 2 shown]
	;;#ASMSTART
	v_dot2_f32_f16 v9, v3, v17, v9
	;;#ASMEND
	ds_read_b128 v[0:3], v84 offset:16
	ds_read_b128 v[10:13], v88 offset:128
	;; [unrolled: 1-line block ×3, first 2 shown]
	s_waitcnt lgkmcnt(1)
	;;#ASMSTART
	v_dot2_f32_f16 v8, v0, v10, v8
	;;#ASMEND
	s_nop 0
	;;#ASMSTART
	v_dot2_f32_f16 v8, v1, v11, v8
	;;#ASMEND
	s_mul_hi_i32 s17, s2, s44
	;;#ASMSTART
	v_dot2_f32_f16 v8, v2, v12, v8
	;;#ASMEND
	s_mul_i32 s16, s2, s44
	;;#ASMSTART
	v_dot2_f32_f16 v8, v3, v13, v8
	;;#ASMEND
	s_waitcnt lgkmcnt(0)
	;;#ASMSTART
	v_dot2_f32_f16 v9, v0, v14, v9
	;;#ASMEND
	s_lshl_b64 s[16:17], s[16:17], 2
	;;#ASMSTART
	v_dot2_f32_f16 v9, v1, v15, v9
	;;#ASMEND
	s_add_u32 s16, s48, s16
	;;#ASMSTART
	v_dot2_f32_f16 v9, v2, v16, v9
	;;#ASMEND
	v_add_u32_e32 v4, v89, v48
	;;#ASMSTART
	v_dot2_f32_f16 v9, v3, v17, v9
	;;#ASMEND
	ds_read_b128 v[0:3], v84 offset:32
	ds_read_b128 v[10:13], v88 offset:144
	;; [unrolled: 1-line block ×3, first 2 shown]
	s_waitcnt lgkmcnt(1)
	;;#ASMSTART
	v_dot2_f32_f16 v8, v0, v10, v8
	;;#ASMEND
	s_nop 0
	;;#ASMSTART
	v_dot2_f32_f16 v8, v1, v11, v8
	;;#ASMEND
	s_addc_u32 s17, s49, s17
	;;#ASMSTART
	v_dot2_f32_f16 v8, v2, v12, v8
	;;#ASMEND
	s_nop 0
	;;#ASMSTART
	v_dot2_f32_f16 v8, v3, v13, v8
	;;#ASMEND
	s_waitcnt lgkmcnt(0)
	;;#ASMSTART
	v_dot2_f32_f16 v9, v0, v14, v9
	;;#ASMEND
	s_nop 0
	;;#ASMSTART
	v_dot2_f32_f16 v9, v1, v15, v9
	;;#ASMEND
	s_nop 0
	;;#ASMSTART
	v_dot2_f32_f16 v9, v2, v16, v9
	;;#ASMEND
	s_nop 0
	;;#ASMSTART
	v_dot2_f32_f16 v9, v3, v17, v9
	;;#ASMEND
	ds_read_b128 v[0:3], v84 offset:48
	ds_read_b128 v[10:13], v88 offset:160
	ds_read_b128 v[14:17], v88 offset:384
	s_waitcnt lgkmcnt(1)
	;;#ASMSTART
	v_dot2_f32_f16 v8, v0, v10, v8
	;;#ASMEND
	s_nop 0
	;;#ASMSTART
	v_dot2_f32_f16 v8, v1, v11, v8
	;;#ASMEND
	s_nop 0
	;;#ASMSTART
	v_dot2_f32_f16 v8, v2, v12, v8
	;;#ASMEND
	s_nop 0
	;;#ASMSTART
	v_dot2_f32_f16 v8, v3, v13, v8
	;;#ASMEND
	s_waitcnt lgkmcnt(0)
	;;#ASMSTART
	v_dot2_f32_f16 v9, v0, v14, v9
	;;#ASMEND
	s_nop 0
	;;#ASMSTART
	v_dot2_f32_f16 v9, v1, v15, v9
	;;#ASMEND
	s_nop 0
	;;#ASMSTART
	v_dot2_f32_f16 v9, v2, v16, v9
	;;#ASMEND
	s_nop 0
	;;#ASMSTART
	v_dot2_f32_f16 v9, v3, v17, v9
	;;#ASMEND
	ds_read_b128 v[0:3], v84 offset:64
	ds_read_b128 v[10:13], v88 offset:176
	ds_read_b128 v[14:17], v88 offset:400
	s_waitcnt lgkmcnt(1)
	;;#ASMSTART
	v_dot2_f32_f16 v8, v0, v10, v8
	;;#ASMEND
	s_nop 0
	;;#ASMSTART
	v_dot2_f32_f16 v8, v1, v11, v8
	;;#ASMEND
	s_nop 0
	;; [unrolled: 35-line block ×4, first 2 shown]
	;;#ASMSTART
	v_dot2_f32_f16 v8, v2, v12, v8
	;;#ASMEND
	s_nop 0
	;;#ASMSTART
	v_dot2_f32_f16 v8, v3, v13, v8
	;;#ASMEND
	s_waitcnt lgkmcnt(0)
	;;#ASMSTART
	v_dot2_f32_f16 v9, v0, v14, v9
	;;#ASMEND
	v_add_u32_e32 v0, s2, v62
	;;#ASMSTART
	v_dot2_f32_f16 v9, v1, v15, v9
	;;#ASMEND
	v_ashrrev_i32_e32 v1, 31, v0
	;;#ASMSTART
	v_dot2_f32_f16 v9, v2, v16, v9
	;;#ASMEND
	v_lshl_add_u64 v[0:1], v[0:1], 1, s[40:41]
	;;#ASMSTART
	v_dot2_f32_f16 v9, v3, v17, v9
	;;#ASMEND
	global_load_ushort v0, v[0:1], off
	v_and_b32_e32 v1, 0x60, v81
	v_add_u32_e32 v99, 32, v1
	v_cmp_lt_i32_e64 s[14:15], v98, v99
	v_max_f32_e32 v2, v6, v6
	v_max_f32_e32 v3, v7, v7
	v_cndmask_b32_e64 v1, v81, v98, s[14:15]
	v_lshlrev_b32_e32 v1, 2, v1
	v_cmp_lt_i32_e64 s[14:15], v97, v99
	s_barrier
	s_waitcnt vmcnt(0)
	v_cvt_f32_f16_e32 v0, v0
	v_add_f32_e32 v5, v8, v0
	v_add_f32_e32 v0, v9, v0
	v_add_f32_e32 v8, 0x40051340, v5
	v_add_f32_e32 v9, 0x40051340, v0
	v_max_f32_e32 v2, v2, v8
	v_max_f32_e32 v3, v3, v9
	ds_bpermute_b32 v8, v1, v2
	ds_bpermute_b32 v1, v1, v3
	v_cndmask_b32_e64 v9, v81, v97, s[14:15]
	v_lshlrev_b32_e32 v9, 2, v9
	v_cmp_lt_i32_e64 s[14:15], v96, v99
	s_waitcnt lgkmcnt(1)
	v_max_f32_e32 v8, v8, v8
	s_waitcnt lgkmcnt(0)
	v_max_f32_e32 v1, v1, v1
	v_max_f32_e32 v2, v2, v8
	v_max_f32_e32 v1, v3, v1
	ds_bpermute_b32 v3, v9, v2
	ds_bpermute_b32 v8, v9, v1
	v_cndmask_b32_e64 v9, v81, v96, s[14:15]
	v_lshlrev_b32_e32 v9, 2, v9
	v_cmp_lt_i32_e64 s[14:15], v95, v99
	s_waitcnt lgkmcnt(1)
	v_max_f32_e32 v3, v3, v3
	s_waitcnt lgkmcnt(0)
	v_max_f32_e32 v8, v8, v8
	;; [unrolled: 11-line block ×3, first 2 shown]
	v_max_f32_e32 v2, v2, v3
	v_max_f32_e32 v1, v1, v8
	ds_bpermute_b32 v3, v9, v2
	ds_bpermute_b32 v8, v9, v1
	v_cndmask_b32_e64 v9, v81, v94, s[14:15]
	v_lshlrev_b32_e32 v9, 2, v9
	s_waitcnt lgkmcnt(1)
	v_max_f32_e32 v3, v3, v3
	s_waitcnt lgkmcnt(0)
	v_max_f32_e32 v8, v8, v8
	v_max_f32_e32 v2, v2, v3
	;; [unrolled: 1-line block ×3, first 2 shown]
	ds_bpermute_b32 v3, v9, v2
	ds_bpermute_b32 v8, v9, v1
	s_waitcnt lgkmcnt(1)
	v_max_f32_e32 v3, v3, v3
	s_waitcnt lgkmcnt(0)
	v_max_f32_e32 v8, v8, v8
	v_max_f32_e32 v74, v2, v3
	;; [unrolled: 1-line block ×3, first 2 shown]
	v_sub_f32_e32 v1, v5, v74
	v_sub_f32_e32 v0, v0, v75
	v_mul_f32_e32 v2, 0x3fb8aa3b, v1
	v_mul_f32_e32 v3, 0x3fb8aa3b, v0
	v_fma_f32 v5, v1, s50, -v2
	v_rndne_f32_e32 v8, v2
	v_fma_f32 v9, v0, s50, -v3
	v_rndne_f32_e32 v10, v3
	v_fmac_f32_e32 v5, 0x32a5705f, v1
	v_sub_f32_e32 v2, v2, v8
	v_fmac_f32_e32 v9, 0x32a5705f, v0
	v_sub_f32_e32 v3, v3, v10
	v_add_f32_e32 v2, v2, v5
	v_cvt_i32_f32_e32 v8, v8
	v_add_f32_e32 v3, v3, v9
	v_exp_f32_e32 v2, v2
	v_cvt_i32_f32_e32 v10, v10
	v_exp_f32_e32 v3, v3
	v_cmp_ngt_f32_e64 s[14:15], s51, v1
	v_ldexp_f32 v2, v2, v8
	v_ldexp_f32 v3, v3, v10
	v_cndmask_b32_e64 v2, 0, v2, s[14:15]
	v_cmp_ngt_f32_e64 s[14:15], s51, v0
	s_nop 1
	v_cndmask_b32_e64 v3, 0, v3, s[14:15]
	v_cmp_nlt_f32_e64 s[14:15], s52, v1
	s_nop 1
	v_cndmask_b32_e64 v76, v93, v2, s[14:15]
	v_cmp_nlt_f32_e64 s[14:15], s52, v0
	s_nop 1
	v_cndmask_b32_e64 v77, v93, v3, s[14:15]
	v_cvt_pk_f16_f32 v0, v76, v77
	ds_write_b32 v4, v0
	s_and_saveexec_b64 s[14:15], s[8:9]
	s_cbranch_execnz .LBB24_46
; %bb.33:                               ;   in Loop: Header=BB24_24 Depth=1
	s_or_b64 exec, exec, s[14:15]
	s_and_saveexec_b64 s[14:15], s[10:11]
	s_cbranch_execnz .LBB24_47
.LBB24_34:                              ;   in Loop: Header=BB24_24 Depth=1
	s_or_b64 exec, exec, s[14:15]
	v_lshlrev_b32_e32 v78, 2, v68
	s_and_saveexec_b64 s[14:15], s[12:13]
	s_cbranch_execz .LBB24_36
.LBB24_35:                              ;   in Loop: Header=BB24_24 Depth=1
	v_lshl_add_u64 v[0:1], v[70:71], 2, s[16:17]
	v_mov_b32_e32 v79, v59
	v_lshl_add_u64 v[0:1], v[0:1], 0, v[78:79]
	global_load_dwordx4 v[0:3], v[0:1], off
	s_waitcnt vmcnt(0)
	ds_write_b128 v92, v[0:3]
.LBB24_36:                              ;   in Loop: Header=BB24_24 Depth=1
	s_or_b64 exec, exec, s[14:15]
	s_waitcnt lgkmcnt(0)
	s_barrier
	ds_read2_b64 v[28:31], v69 offset1:28
	ds_read_b128 v[44:47], v89
	ds_read_b128 v[40:43], v89 offset:16
	ds_read_b128 v[36:39], v89 offset:32
	;; [unrolled: 1-line block ×3, first 2 shown]
	ds_read2_b64 v[24:27], v69 offset0:56 offset1:84
	ds_read2_b64 v[20:23], v69 offset0:112 offset1:140
	;; [unrolled: 1-line block ×4, first 2 shown]
	v_add_u32_e32 v100, 0x800, v69
	v_sub_f32_e32 v102, v6, v74
	v_sub_f32_e32 v101, v7, v75
	ds_read2_b64 v[8:11], v100 offset0:24 offset1:52
	ds_read2_b64 v[4:7], v100 offset0:80 offset1:108
	;; [unrolled: 1-line block ×3, first 2 shown]
	s_or_b32 s36, s2, 16
	s_mul_hi_i32 s37, s36, s44
	s_mul_i32 s36, s36, s44
	s_lshl_b64 s[36:37], s[36:37], 2
	s_add_u32 s36, s48, s36
	v_cmp_ngt_f32_e64 s[18:19], s51, v102
	v_cmp_nlt_f32_e64 s[20:21], s52, v102
	v_cmp_ngt_f32_e64 s[14:15], s51, v101
	v_cmp_nlt_f32_e64 s[16:17], s52, v101
	s_addc_u32 s37, s49, s37
	s_waitcnt lgkmcnt(0)
	s_barrier
	s_and_saveexec_b64 s[42:43], s[8:9]
	s_cbranch_execnz .LBB24_48
; %bb.37:                               ;   in Loop: Header=BB24_24 Depth=1
	s_or_b64 exec, exec, s[42:43]
	s_and_saveexec_b64 s[42:43], s[10:11]
	s_cbranch_execnz .LBB24_49
.LBB24_38:                              ;   in Loop: Header=BB24_24 Depth=1
	s_or_b64 exec, exec, s[42:43]
	s_and_saveexec_b64 s[42:43], s[12:13]
	s_cbranch_execz .LBB24_40
.LBB24_39:                              ;   in Loop: Header=BB24_24 Depth=1
	v_lshl_add_u64 v[104:105], v[70:71], 2, s[36:37]
	v_mov_b32_e32 v79, v59
	v_lshl_add_u64 v[78:79], v[104:105], 0, v[78:79]
	global_load_dwordx4 v[104:107], v[78:79], off
	s_waitcnt vmcnt(0)
	ds_write_b128 v92, v[104:107]
.LBB24_40:                              ;   in Loop: Header=BB24_24 Depth=1
	s_or_b64 exec, exec, s[42:43]
	v_mul_f32_e32 v73, 0x3fb8aa3b, v102
	v_fma_f32 v78, v102, s50, -v73
	v_rndne_f32_e32 v79, v73
	v_fmac_f32_e32 v78, 0x32a5705f, v102
	v_sub_f32_e32 v73, v73, v79
	v_add_f32_e32 v73, v73, v78
	v_cvt_i32_f32_e32 v78, v79
	v_exp_f32_e32 v73, v73
	v_mul_u32_u24_sdwa v102, v44, s53 dst_sel:DWORD dst_unused:UNUSED_PAD src0_sel:WORD_0 src1_sel:DWORD
	v_mul_u32_u24_sdwa v44, v44, s53 dst_sel:DWORD dst_unused:UNUSED_PAD src0_sel:WORD_1 src1_sel:DWORD
	v_pk_mul_f16 v118, v28, v102
	v_ldexp_f32 v73, v73, v78
	v_mul_f32_e32 v78, 0x3fb8aa3b, v101
	v_fma_f32 v79, v101, s50, -v78
	v_fmac_f32_e32 v79, 0x32a5705f, v101
	v_rndne_f32_e32 v101, v78
	v_sub_f32_e32 v78, v78, v101
	v_add_f32_e32 v78, v78, v79
	v_exp_f32_e32 v79, v78
	v_cvt_i32_f32_e32 v101, v101
	v_cndmask_b32_e64 v73, 0, v73, s[18:19]
	v_cndmask_b32_e64 v78, v93, v73, s[20:21]
	v_cvt_f16_f32_e32 v73, v78
	v_ldexp_f32 v79, v79, v101
	v_cndmask_b32_e64 v79, 0, v79, s[14:15]
	v_cndmask_b32_e64 v79, v93, v79, s[16:17]
	v_cvt_f16_f32_e32 v101, v79
	v_mul_u32_u24_e32 v73, 0x10001, v73
	v_pk_mul_f16 v83, v83, v73
	v_pk_mul_f16 v28, v28, v44
	v_mul_u32_u24_e32 v101, 0x10001, v101
	v_pk_mul_f16 v80, v80, v101
	v_mul_u32_u24_sdwa v103, v45, s53 dst_sel:DWORD dst_unused:UNUSED_PAD src0_sel:WORD_0 src1_sel:DWORD
	v_mul_u32_u24_sdwa v45, v45, s53 dst_sel:DWORD dst_unused:UNUSED_PAD src0_sel:WORD_1 src1_sel:DWORD
	v_pk_fma_f16 v73, v82, v73, v118
	v_pk_fma_f16 v28, v63, v101, v28
	v_pk_fma_f16 v63, v29, v102, v83
	v_pk_fma_f16 v29, v29, v44, v80
	v_mul_u32_u24_sdwa v104, v46, s53 dst_sel:DWORD dst_unused:UNUSED_PAD src0_sel:WORD_0 src1_sel:DWORD
	v_mul_u32_u24_sdwa v46, v46, s53 dst_sel:DWORD dst_unused:UNUSED_PAD src0_sel:WORD_1 src1_sel:DWORD
	v_pk_fma_f16 v44, v30, v103, v73
	v_pk_fma_f16 v28, v30, v45, v28
	v_pk_fma_f16 v30, v31, v103, v63
	v_pk_fma_f16 v29, v31, v45, v29
	;; [unrolled: 6-line block ×15, first 2 shown]
	v_pk_fma_f16 v20, v2, v117, v7
	v_pk_fma_f16 v21, v2, v35, v0
	;; [unrolled: 1-line block ×4, first 2 shown]
	s_waitcnt lgkmcnt(0)
	s_barrier
	ds_read_b128 v[0:3], v89 offset:64
	ds_read2_b64 v[4:7], v69 offset1:28
	ds_read_b128 v[8:11], v89 offset:80
	ds_read_b128 v[12:15], v89 offset:96
	ds_read_b128 v[16:19], v89 offset:112
	s_waitcnt lgkmcnt(4)
	v_mul_u32_u24_sdwa v24, v0, s53 dst_sel:DWORD dst_unused:UNUSED_PAD src0_sel:WORD_0 src1_sel:DWORD
	v_mul_u32_u24_sdwa v0, v0, s53 dst_sel:DWORD dst_unused:UNUSED_PAD src0_sel:WORD_1 src1_sel:DWORD
	s_waitcnt lgkmcnt(3)
	v_pk_fma_f16 v20, v4, v24, v20
	v_pk_fma_f16 v4, v4, v0, v21
	;; [unrolled: 1-line block ×4, first 2 shown]
	v_mul_u32_u24_sdwa v5, v1, s53 dst_sel:DWORD dst_unused:UNUSED_PAD src0_sel:WORD_0 src1_sel:DWORD
	v_pk_fma_f16 v25, v6, v5, v20
	ds_read2_b64 v[20:23], v69 offset0:56 offset1:84
	v_mul_u32_u24_sdwa v1, v1, s53 dst_sel:DWORD dst_unused:UNUSED_PAD src0_sel:WORD_1 src1_sel:DWORD
	v_pk_fma_f16 v4, v6, v1, v4
	v_pk_fma_f16 v5, v7, v5, v24
	;; [unrolled: 1-line block ×3, first 2 shown]
	v_mul_u32_u24_sdwa v1, v2, s53 dst_sel:DWORD dst_unused:UNUSED_PAD src0_sel:WORD_0 src1_sel:DWORD
	v_mul_u32_u24_sdwa v2, v2, s53 dst_sel:DWORD dst_unused:UNUSED_PAD src0_sel:WORD_1 src1_sel:DWORD
	s_waitcnt lgkmcnt(0)
	v_pk_fma_f16 v6, v20, v1, v25
	v_pk_fma_f16 v4, v20, v2, v4
	;; [unrolled: 1-line block ×4, first 2 shown]
	v_mul_u32_u24_sdwa v20, v3, s53 dst_sel:DWORD dst_unused:UNUSED_PAD src0_sel:WORD_0 src1_sel:DWORD
	v_mul_u32_u24_sdwa v21, v3, s53 dst_sel:DWORD dst_unused:UNUSED_PAD src0_sel:WORD_1 src1_sel:DWORD
	ds_read2_b64 v[0:3], v69 offset0:112 offset1:140
	v_pk_fma_f16 v6, v22, v20, v6
	v_pk_fma_f16 v4, v22, v21, v4
	;; [unrolled: 1-line block ×4, first 2 shown]
	v_mul_u32_u24_sdwa v20, v8, s53 dst_sel:DWORD dst_unused:UNUSED_PAD src0_sel:WORD_0 src1_sel:DWORD
	v_mul_u32_u24_sdwa v8, v8, s53 dst_sel:DWORD dst_unused:UNUSED_PAD src0_sel:WORD_1 src1_sel:DWORD
	s_waitcnt lgkmcnt(0)
	v_pk_fma_f16 v6, v0, v20, v6
	v_pk_fma_f16 v0, v0, v8, v4
	;; [unrolled: 1-line block ×4, first 2 shown]
	v_mul_u32_u24_sdwa v8, v9, s53 dst_sel:DWORD dst_unused:UNUSED_PAD src0_sel:WORD_0 src1_sel:DWORD
	v_pk_fma_f16 v21, v2, v8, v6
	ds_read2_b64 v[4:7], v69 offset0:168 offset1:196
	v_mul_u32_u24_sdwa v9, v9, s53 dst_sel:DWORD dst_unused:UNUSED_PAD src0_sel:WORD_1 src1_sel:DWORD
	v_pk_fma_f16 v0, v2, v9, v0
	v_pk_fma_f16 v2, v3, v8, v20
	;; [unrolled: 1-line block ×3, first 2 shown]
	v_mul_u32_u24_sdwa v3, v10, s53 dst_sel:DWORD dst_unused:UNUSED_PAD src0_sel:WORD_0 src1_sel:DWORD
	v_mul_u32_u24_sdwa v8, v10, s53 dst_sel:DWORD dst_unused:UNUSED_PAD src0_sel:WORD_1 src1_sel:DWORD
	s_waitcnt lgkmcnt(0)
	v_pk_fma_f16 v9, v4, v3, v21
	v_pk_fma_f16 v0, v4, v8, v0
	;; [unrolled: 1-line block ×4, first 2 shown]
	v_mul_u32_u24_sdwa v8, v11, s53 dst_sel:DWORD dst_unused:UNUSED_PAD src0_sel:WORD_0 src1_sel:DWORD
	v_mul_u32_u24_sdwa v10, v11, s53 dst_sel:DWORD dst_unused:UNUSED_PAD src0_sel:WORD_1 src1_sel:DWORD
	v_pk_fma_f16 v9, v6, v8, v9
	v_pk_fma_f16 v6, v6, v10, v0
	ds_read2_b64 v[0:3], v69 offset0:224 offset1:252
	v_pk_fma_f16 v4, v7, v8, v4
	v_pk_fma_f16 v5, v7, v10, v5
	v_mul_u32_u24_sdwa v7, v12, s53 dst_sel:DWORD dst_unused:UNUSED_PAD src0_sel:WORD_0 src1_sel:DWORD
	v_mul_u32_u24_sdwa v8, v12, s53 dst_sel:DWORD dst_unused:UNUSED_PAD src0_sel:WORD_1 src1_sel:DWORD
	s_waitcnt lgkmcnt(0)
	v_pk_fma_f16 v9, v0, v7, v9
	v_pk_fma_f16 v0, v0, v8, v6
	v_pk_fma_f16 v10, v1, v7, v4
	v_pk_fma_f16 v1, v1, v8, v5
	ds_read2_b64 v[4:7], v100 offset0:24 offset1:52
	v_mul_u32_u24_sdwa v8, v13, s53 dst_sel:DWORD dst_unused:UNUSED_PAD src0_sel:WORD_0 src1_sel:DWORD
	v_mul_u32_u24_sdwa v11, v13, s53 dst_sel:DWORD dst_unused:UNUSED_PAD src0_sel:WORD_1 src1_sel:DWORD
	v_pk_fma_f16 v9, v2, v8, v9
	v_pk_fma_f16 v0, v2, v11, v0
	;; [unrolled: 1-line block ×4, first 2 shown]
	v_mul_u32_u24_sdwa v3, v14, s53 dst_sel:DWORD dst_unused:UNUSED_PAD src0_sel:WORD_0 src1_sel:DWORD
	v_mul_u32_u24_sdwa v8, v14, s53 dst_sel:DWORD dst_unused:UNUSED_PAD src0_sel:WORD_1 src1_sel:DWORD
	s_waitcnt lgkmcnt(0)
	v_pk_fma_f16 v9, v4, v3, v9
	v_pk_fma_f16 v0, v4, v8, v0
	;; [unrolled: 1-line block ×4, first 2 shown]
	v_mul_u32_u24_sdwa v8, v15, s53 dst_sel:DWORD dst_unused:UNUSED_PAD src0_sel:WORD_0 src1_sel:DWORD
	v_mul_u32_u24_sdwa v10, v15, s53 dst_sel:DWORD dst_unused:UNUSED_PAD src0_sel:WORD_1 src1_sel:DWORD
	v_pk_fma_f16 v9, v6, v8, v9
	v_pk_fma_f16 v6, v6, v10, v0
	ds_read2_b64 v[0:3], v100 offset0:80 offset1:108
	v_pk_fma_f16 v4, v7, v8, v4
	v_pk_fma_f16 v5, v7, v10, v5
	v_mul_u32_u24_sdwa v7, v16, s53 dst_sel:DWORD dst_unused:UNUSED_PAD src0_sel:WORD_0 src1_sel:DWORD
	v_mul_u32_u24_sdwa v8, v16, s53 dst_sel:DWORD dst_unused:UNUSED_PAD src0_sel:WORD_1 src1_sel:DWORD
	s_waitcnt lgkmcnt(0)
	v_pk_fma_f16 v9, v0, v7, v9
	v_pk_fma_f16 v0, v0, v8, v6
	;; [unrolled: 1-line block ×4, first 2 shown]
	ds_read2_b64 v[4:7], v100 offset0:136 offset1:164
	s_waitcnt lgkmcnt(0)
	s_barrier
	s_load_dword s14, s[26:27], 0x4
	v_mul_u32_u24_sdwa v8, v17, s53 dst_sel:DWORD dst_unused:UNUSED_PAD src0_sel:WORD_0 src1_sel:DWORD
	v_mul_u32_u24_sdwa v11, v17, s53 dst_sel:DWORD dst_unused:UNUSED_PAD src0_sel:WORD_1 src1_sel:DWORD
	v_pk_fma_f16 v9, v2, v8, v9
	v_pk_fma_f16 v0, v2, v11, v0
	;; [unrolled: 1-line block ×4, first 2 shown]
	v_mul_u32_u24_sdwa v3, v18, s53 dst_sel:DWORD dst_unused:UNUSED_PAD src0_sel:WORD_0 src1_sel:DWORD
	v_mul_u32_u24_sdwa v8, v18, s53 dst_sel:DWORD dst_unused:UNUSED_PAD src0_sel:WORD_1 src1_sel:DWORD
	s_waitcnt lgkmcnt(0)
	s_lshl_b32 s14, s14, 5
	v_pk_fma_f16 v9, v4, v3, v9
	v_pk_fma_f16 v0, v4, v8, v0
	;; [unrolled: 1-line block ×4, first 2 shown]
	v_mul_u32_u24_sdwa v3, v19, s53 dst_sel:DWORD dst_unused:UNUSED_PAD src0_sel:WORD_0 src1_sel:DWORD
	v_mul_u32_u24_sdwa v4, v19, s53 dst_sel:DWORD dst_unused:UNUSED_PAD src0_sel:WORD_1 src1_sel:DWORD
	s_add_i32 s2, s14, s2
	v_pk_fma_f32 v[52:53], v[52:53], v[78:79], v[76:77]
	v_pk_fma_f16 v82, v6, v3, v9
	v_pk_fma_f16 v63, v6, v4, v0
	;; [unrolled: 1-line block ×3, first 2 shown]
	s_cmp_ge_i32 s2, s34
	v_pk_fma_f16 v80, v7, v4, v1
	s_cbranch_scc1 .LBB24_9
; %bb.41:                               ;   in Loop: Header=BB24_24 Depth=1
	v_mov_b32_e32 v6, v74
	v_mov_b32_e32 v7, v75
	s_branch .LBB24_24
.LBB24_42:                              ;   in Loop: Header=BB24_24 Depth=1
	global_load_dwordx4 v[0:3], v[4:5], off offset:96
	s_waitcnt vmcnt(0)
	ds_write_b128 v85, v[0:3]
	s_or_b64 exec, exec, s[16:17]
	v_lshl_add_u64 v[0:1], v[56:57], 2, s[14:15]
	s_and_saveexec_b64 s[16:17], s[4:5]
	s_cbranch_execz .LBB24_26
.LBB24_43:                              ;   in Loop: Header=BB24_24 Depth=1
	v_lshl_add_u64 v[2:3], v[0:1], 0, v[58:59]
	global_load_dwordx4 v[8:11], v[2:3], off offset:64
	s_waitcnt vmcnt(0)
	ds_write_b128 v86, v[8:11]
	s_or_b64 exec, exec, s[16:17]
	v_lshl_add_u64 v[2:3], v[60:61], 2, s[14:15]
	s_and_saveexec_b64 s[14:15], s[6:7]
	s_cbranch_execnz .LBB24_27
	s_branch .LBB24_28
.LBB24_44:                              ;   in Loop: Header=BB24_24 Depth=1
	global_load_dwordx4 v[10:13], v[4:5], off offset:208
	s_waitcnt vmcnt(0)
	ds_write_b128 v85, v[10:13]
	s_or_b64 exec, exec, s[14:15]
	s_and_saveexec_b64 s[14:15], s[4:5]
	s_cbranch_execz .LBB24_30
.LBB24_45:                              ;   in Loop: Header=BB24_24 Depth=1
	v_lshl_add_u64 v[0:1], v[0:1], 0, v[58:59]
	global_load_dwordx4 v[10:13], v[0:1], off offset:176
	s_waitcnt vmcnt(0)
	ds_write_b128 v86, v[10:13]
	s_or_b64 exec, exec, s[14:15]
	s_and_saveexec_b64 s[14:15], s[6:7]
	s_cbranch_execnz .LBB24_31
	s_branch .LBB24_32
.LBB24_46:                              ;   in Loop: Header=BB24_24 Depth=1
	v_lshl_add_u64 v[0:1], v[64:65], 2, s[16:17]
	v_lshl_add_u64 v[0:1], v[0:1], 0, v[58:59]
	global_load_dwordx4 v[0:3], v[0:1], off offset:192
	s_waitcnt vmcnt(0)
	ds_write_b128 v90, v[0:3]
	s_or_b64 exec, exec, s[14:15]
	s_and_saveexec_b64 s[14:15], s[10:11]
	s_cbranch_execz .LBB24_34
.LBB24_47:                              ;   in Loop: Header=BB24_24 Depth=1
	v_lshl_add_u64 v[0:1], v[66:67], 2, s[16:17]
	v_mov_b32_e32 v73, v59
	v_lshl_add_u64 v[0:1], v[0:1], 0, v[72:73]
	global_load_dwordx4 v[0:3], v[0:1], off offset:128
	s_waitcnt vmcnt(0)
	ds_write_b128 v91, v[0:3]
	s_or_b64 exec, exec, s[14:15]
	v_lshlrev_b32_e32 v78, 2, v68
	s_and_saveexec_b64 s[14:15], s[12:13]
	s_cbranch_execnz .LBB24_35
	s_branch .LBB24_36
.LBB24_48:                              ;   in Loop: Header=BB24_24 Depth=1
	v_lshl_add_u64 v[104:105], v[64:65], 2, s[36:37]
	v_lshl_add_u64 v[104:105], v[104:105], 0, v[58:59]
	global_load_dwordx4 v[104:107], v[104:105], off offset:192
	s_waitcnt vmcnt(0)
	ds_write_b128 v90, v[104:107]
	s_or_b64 exec, exec, s[42:43]
	s_and_saveexec_b64 s[42:43], s[10:11]
	s_cbranch_execz .LBB24_38
.LBB24_49:                              ;   in Loop: Header=BB24_24 Depth=1
	v_lshl_add_u64 v[104:105], v[66:67], 2, s[36:37]
	v_mov_b32_e32 v73, v59
	v_lshl_add_u64 v[104:105], v[104:105], 0, v[72:73]
	global_load_dwordx4 v[104:107], v[104:105], off offset:128
	s_waitcnt vmcnt(0)
	ds_write_b128 v91, v[104:107]
	s_or_b64 exec, exec, s[42:43]
	s_and_saveexec_b64 s[42:43], s[12:13]
	s_cbranch_execnz .LBB24_39
	s_branch .LBB24_40
.LBB24_50:
	v_ashrrev_i32_e32 v5, 31, v4
	v_lshl_add_u64 v[4:5], v[4:5], 3, s[30:31]
	v_mov_b32_e32 v6, v74
	v_mov_b32_e32 v7, v0
	global_store_dwordx2 v[4:5], v[6:7], off
	s_or_b64 exec, exec, s[6:7]
	s_andn2_b64 vcc, exec, s[0:1]
	v_mov_b32_e32 v0, 1.0
	s_cbranch_vccnz .LBB24_18
.LBB24_51:
	v_div_scale_f32 v0, s[0:1], v1, v1, 1.0
	v_rcp_f32_e32 v2, v0
	v_div_scale_f32 v4, vcc, 1.0, v1, 1.0
	v_fma_f32 v5, -v0, v2, 1.0
	v_fmac_f32_e32 v2, v5, v2
	v_mul_f32_e32 v5, v4, v2
	v_fma_f32 v6, -v0, v5, v4
	v_fmac_f32_e32 v5, v6, v2
	v_fma_f32 v0, -v0, v5, v4
	v_div_fmas_f32 v0, v0, v2, v5
	v_div_fixup_f32 v0, v0, v1, 1.0
	s_add_i32 s3, s3, s2
	v_add_u32_e32 v2, s3, v3
	s_and_saveexec_b64 s[0:1], s[22:23]
	s_cbranch_execz .LBB24_19
.LBB24_52:
	v_cvt_f32_f16_sdwa v7, v63 dst_sel:DWORD dst_unused:UNUSED_PAD src0_sel:WORD_1
	v_cvt_f32_f16_e32 v6, v63
	v_cvt_f32_f16_sdwa v9, v80 dst_sel:DWORD dst_unused:UNUSED_PAD src0_sel:WORD_1
	v_cvt_f32_f16_e32 v8, v80
	s_movk_i32 s2, 0x70
	v_mad_u64_u32 v[4:5], s[2:3], v2, s2, v[48:49]
	v_mov_b32_e32 v5, 0
	v_lshl_add_u64 v[10:11], v[4:5], 2, s[28:29]
	v_pk_mul_f32 v[4:5], v[0:1], v[6:7] op_sel_hi:[0,1]
	v_pk_mul_f32 v[6:7], v[0:1], v[8:9] op_sel_hi:[0,1]
	global_store_dwordx4 v[10:11], v[4:7], off
	s_or_b64 exec, exec, s[0:1]
	s_and_b64 exec, exec, s[4:5]
	s_cbranch_execnz .LBB24_20
	s_branch .LBB24_21
	.section	.rodata,"a",@progbits
	.p2align	6, 0x0
	.amdhsa_kernel _ZL15flash_attn_tileILi112ELi112ELi4ELi4ELb0EEvPKcS1_S1_S1_S1_PKiPfP15HIP_vector_typeIfLj2EEffffjfiS5_IjLj3EEiiiiiiiiiiiliiliiiiil
		.amdhsa_group_segment_fixed_size 8768
		.amdhsa_private_segment_fixed_size 0
		.amdhsa_kernarg_size 464
		.amdhsa_user_sgpr_count 2
		.amdhsa_user_sgpr_dispatch_ptr 0
		.amdhsa_user_sgpr_queue_ptr 0
		.amdhsa_user_sgpr_kernarg_segment_ptr 1
		.amdhsa_user_sgpr_dispatch_id 0
		.amdhsa_user_sgpr_kernarg_preload_length 0
		.amdhsa_user_sgpr_kernarg_preload_offset 0
		.amdhsa_user_sgpr_private_segment_size 0
		.amdhsa_uses_dynamic_stack 0
		.amdhsa_enable_private_segment 0
		.amdhsa_system_sgpr_workgroup_id_x 1
		.amdhsa_system_sgpr_workgroup_id_y 1
		.amdhsa_system_sgpr_workgroup_id_z 1
		.amdhsa_system_sgpr_workgroup_info 0
		.amdhsa_system_vgpr_workitem_id 1
		.amdhsa_next_free_vgpr 119
		.amdhsa_next_free_sgpr 54
		.amdhsa_accum_offset 120
		.amdhsa_reserve_vcc 1
		.amdhsa_float_round_mode_32 0
		.amdhsa_float_round_mode_16_64 0
		.amdhsa_float_denorm_mode_32 3
		.amdhsa_float_denorm_mode_16_64 3
		.amdhsa_dx10_clamp 1
		.amdhsa_ieee_mode 1
		.amdhsa_fp16_overflow 0
		.amdhsa_tg_split 0
		.amdhsa_exception_fp_ieee_invalid_op 0
		.amdhsa_exception_fp_denorm_src 0
		.amdhsa_exception_fp_ieee_div_zero 0
		.amdhsa_exception_fp_ieee_overflow 0
		.amdhsa_exception_fp_ieee_underflow 0
		.amdhsa_exception_fp_ieee_inexact 0
		.amdhsa_exception_int_div_zero 0
	.end_amdhsa_kernel
	.section	.text._ZL15flash_attn_tileILi112ELi112ELi4ELi4ELb0EEvPKcS1_S1_S1_S1_PKiPfP15HIP_vector_typeIfLj2EEffffjfiS5_IjLj3EEiiiiiiiiiiiliiliiiiil,"axG",@progbits,_ZL15flash_attn_tileILi112ELi112ELi4ELi4ELb0EEvPKcS1_S1_S1_S1_PKiPfP15HIP_vector_typeIfLj2EEffffjfiS5_IjLj3EEiiiiiiiiiiiliiliiiiil,comdat
.Lfunc_end24:
	.size	_ZL15flash_attn_tileILi112ELi112ELi4ELi4ELb0EEvPKcS1_S1_S1_S1_PKiPfP15HIP_vector_typeIfLj2EEffffjfiS5_IjLj3EEiiiiiiiiiiiliiliiiiil, .Lfunc_end24-_ZL15flash_attn_tileILi112ELi112ELi4ELi4ELb0EEvPKcS1_S1_S1_S1_PKiPfP15HIP_vector_typeIfLj2EEffffjfiS5_IjLj3EEiiiiiiiiiiiliiliiiiil
                                        ; -- End function
	.set _ZL15flash_attn_tileILi112ELi112ELi4ELi4ELb0EEvPKcS1_S1_S1_S1_PKiPfP15HIP_vector_typeIfLj2EEffffjfiS5_IjLj3EEiiiiiiiiiiiliiliiiiil.num_vgpr, 119
	.set _ZL15flash_attn_tileILi112ELi112ELi4ELi4ELb0EEvPKcS1_S1_S1_S1_PKiPfP15HIP_vector_typeIfLj2EEffffjfiS5_IjLj3EEiiiiiiiiiiiliiliiiiil.num_agpr, 0
	.set _ZL15flash_attn_tileILi112ELi112ELi4ELi4ELb0EEvPKcS1_S1_S1_S1_PKiPfP15HIP_vector_typeIfLj2EEffffjfiS5_IjLj3EEiiiiiiiiiiiliiliiiiil.numbered_sgpr, 54
	.set _ZL15flash_attn_tileILi112ELi112ELi4ELi4ELb0EEvPKcS1_S1_S1_S1_PKiPfP15HIP_vector_typeIfLj2EEffffjfiS5_IjLj3EEiiiiiiiiiiiliiliiiiil.num_named_barrier, 0
	.set _ZL15flash_attn_tileILi112ELi112ELi4ELi4ELb0EEvPKcS1_S1_S1_S1_PKiPfP15HIP_vector_typeIfLj2EEffffjfiS5_IjLj3EEiiiiiiiiiiiliiliiiiil.private_seg_size, 0
	.set _ZL15flash_attn_tileILi112ELi112ELi4ELi4ELb0EEvPKcS1_S1_S1_S1_PKiPfP15HIP_vector_typeIfLj2EEffffjfiS5_IjLj3EEiiiiiiiiiiiliiliiiiil.uses_vcc, 1
	.set _ZL15flash_attn_tileILi112ELi112ELi4ELi4ELb0EEvPKcS1_S1_S1_S1_PKiPfP15HIP_vector_typeIfLj2EEffffjfiS5_IjLj3EEiiiiiiiiiiiliiliiiiil.uses_flat_scratch, 0
	.set _ZL15flash_attn_tileILi112ELi112ELi4ELi4ELb0EEvPKcS1_S1_S1_S1_PKiPfP15HIP_vector_typeIfLj2EEffffjfiS5_IjLj3EEiiiiiiiiiiiliiliiiiil.has_dyn_sized_stack, 0
	.set _ZL15flash_attn_tileILi112ELi112ELi4ELi4ELb0EEvPKcS1_S1_S1_S1_PKiPfP15HIP_vector_typeIfLj2EEffffjfiS5_IjLj3EEiiiiiiiiiiiliiliiiiil.has_recursion, 0
	.set _ZL15flash_attn_tileILi112ELi112ELi4ELi4ELb0EEvPKcS1_S1_S1_S1_PKiPfP15HIP_vector_typeIfLj2EEffffjfiS5_IjLj3EEiiiiiiiiiiiliiliiiiil.has_indirect_call, 0
	.section	.AMDGPU.csdata,"",@progbits
; Kernel info:
; codeLenInByte = 9056
; TotalNumSgprs: 60
; NumVgprs: 119
; NumAgprs: 0
; TotalNumVgprs: 119
; ScratchSize: 0
; MemoryBound: 0
; FloatMode: 240
; IeeeMode: 1
; LDSByteSize: 8768 bytes/workgroup (compile time only)
; SGPRBlocks: 7
; VGPRBlocks: 14
; NumSGPRsForWavesPerEU: 60
; NumVGPRsForWavesPerEU: 119
; AccumOffset: 120
; Occupancy: 4
; WaveLimiterHint : 1
; COMPUTE_PGM_RSRC2:SCRATCH_EN: 0
; COMPUTE_PGM_RSRC2:USER_SGPR: 2
; COMPUTE_PGM_RSRC2:TRAP_HANDLER: 0
; COMPUTE_PGM_RSRC2:TGID_X_EN: 1
; COMPUTE_PGM_RSRC2:TGID_Y_EN: 1
; COMPUTE_PGM_RSRC2:TGID_Z_EN: 1
; COMPUTE_PGM_RSRC2:TIDIG_COMP_CNT: 1
; COMPUTE_PGM_RSRC3_GFX90A:ACCUM_OFFSET: 29
; COMPUTE_PGM_RSRC3_GFX90A:TG_SPLIT: 0
	.section	.text._ZL33flash_attn_stream_k_fixup_uniformILi112ELi4ELi4EEvPfPK15HIP_vector_typeIfLj2EEiiiiiiS1_IjLj3EES5_S5_,"axG",@progbits,_ZL33flash_attn_stream_k_fixup_uniformILi112ELi4ELi4EEvPfPK15HIP_vector_typeIfLj2EEiiiiiiS1_IjLj3EES5_S5_,comdat
	.globl	_ZL33flash_attn_stream_k_fixup_uniformILi112ELi4ELi4EEvPfPK15HIP_vector_typeIfLj2EEiiiiiiS1_IjLj3EES5_S5_ ; -- Begin function _ZL33flash_attn_stream_k_fixup_uniformILi112ELi4ELi4EEvPfPK15HIP_vector_typeIfLj2EEiiiiiiS1_IjLj3EES5_S5_
	.p2align	8
	.type	_ZL33flash_attn_stream_k_fixup_uniformILi112ELi4ELi4EEvPfPK15HIP_vector_typeIfLj2EEiiiiiiS1_IjLj3EES5_S5_,@function
_ZL33flash_attn_stream_k_fixup_uniformILi112ELi4ELi4EEvPfPK15HIP_vector_typeIfLj2EEiiiiiiS1_IjLj3EES5_S5_: ; @_ZL33flash_attn_stream_k_fixup_uniformILi112ELi4ELi4EEvPfPK15HIP_vector_typeIfLj2EEiiiiiiS1_IjLj3EES5_S5_
; %bb.0:
	s_load_dwordx8 s[8:15], s[0:1], 0x1c
	s_load_dwordx2 s[6:7], s[0:1], 0x10
	s_load_dwordx4 s[16:19], s[0:1], 0x3c
	s_waitcnt lgkmcnt(0)
	s_mul_hi_u32 s5, s11, s2
	s_add_i32 s5, s2, s5
	s_lshr_b32 s5, s5, s12
	s_mul_i32 s11, s5, s13
	s_sub_i32 s12, s2, s11
	s_mul_hi_u32 s11, s12, s14
	s_add_i32 s11, s12, s11
	s_lshr_b32 s11, s11, s15
	s_mul_i32 s13, s11, s16
	s_sub_i32 s12, s12, s13
	;; [unrolled: 5-line block ×3, first 2 shown]
	s_lshl_b32 s12, s16, 2
	s_lshl_b32 s17, s13, 2
	s_add_i32 s12, s12, s3
	s_cmp_lt_i32 s12, s6
	s_cselect_b64 s[12:13], -1, 0
	s_add_i32 s17, s17, s4
	s_cmp_lt_i32 s17, s9
	s_cselect_b64 s[14:15], -1, 0
	s_and_b64 s[12:13], s[12:13], s[14:15]
	s_andn2_b64 vcc, exec, s[12:13]
	s_cbranch_vccnz .LBB25_6
; %bb.1:
	s_load_dwordx4 s[12:15], s[0:1], 0x0
	s_mul_i32 s0, s5, s6
	s_mul_i32 s11, s11, s9
	s_add_i32 s0, s0, s3
	s_mul_i32 s0, s0, s7
	s_add_i32 s5, s17, s11
	;; [unrolled: 2-line block ×3, first 2 shown]
	s_mulk_i32 s1, 0x1c0
	s_mulk_i32 s0, 0x70
	s_add_i32 s0, s0, s1
	v_add_u32_e32 v4, s0, v0
	s_waitcnt lgkmcnt(0)
	v_mov_b32_e32 v2, s12
	v_mov_b32_e32 v3, s13
	v_ashrrev_i32_e32 v5, 31, v4
	v_lshl_add_u64 v[2:3], v[4:5], 2, v[2:3]
	global_load_dword v5, v[2:3], off
	s_mul_i32 s5, s10, s2
	s_lshl_b32 s11, s3, 2
	s_add_i32 s9, s5, s10
	s_add_i32 s0, s11, s4
	s_lshl_b32 s1, s9, 4
	s_add_i32 s0, s0, s1
	s_add_i32 s0, s0, -16
	s_ashr_i32 s1, s0, 31
	s_lshl_b64 s[0:1], s[0:1], 3
	s_add_u32 s0, s14, s0
	s_addc_u32 s1, s15, s1
	s_load_dword s12, s[0:1], 0x4
	s_add_i32 s6, s9, -2
	s_cmp_lt_i32 s6, s5
	s_cbranch_scc1 .LBB25_4
; %bb.2:
	s_lshl_b32 s6, s8, 6
	s_ashr_i32 s7, s6, 31
	s_lshl_b64 s[6:7], s[6:7], 2
	s_add_u32 s6, s14, s6
	s_addc_u32 s7, s15, s7
	s_add_i32 s2, s2, 1
	s_load_dword s0, s[0:1], 0x0
	s_mul_i32 s1, s10, s2
	s_lshl_b32 s2, s1, 4
	s_add_i32 s2, s4, s2
	s_mulk_i32 s3, 0x1c0
	s_mulk_i32 s4, 0x70
	s_lshl_b32 s8, s8, 4
	s_mulk_i32 s1, 0x700
	s_add_i32 s3, s4, s3
	s_add_i32 s2, s2, s8
	;; [unrolled: 1-line block ×4, first 2 shown]
	v_add_u32_e32 v0, s3, v0
	s_add_i32 s9, s9, -1
	s_sub_i32 s2, s2, 32
	v_add_u32_e32 v0, 0xfffff200, v0
	s_waitcnt lgkmcnt(0)
	v_mov_b32_e32 v7, s0
	v_mov_b32_e32 v4, s12
	s_mov_b32 s4, 0x3fb8aa3b
	s_mov_b32 s8, 0xc2ce8ed0
	;; [unrolled: 1-line block ×3, first 2 shown]
	v_mov_b32_e32 v6, 0x7f800000
	s_mov_b32 s11, 0xc1a00000
.LBB25_3:                               ; =>This Inner Loop Header: Depth=1
	v_ashrrev_i32_e32 v1, 31, v0
	v_lshl_add_u64 v[8:9], v[0:1], 2, s[6:7]
	global_load_dword v9, v[8:9], off
	s_ashr_i32 s3, s2, 31
	s_lshl_b64 s[0:1], s[2:3], 3
	s_add_u32 s0, s14, s0
	s_addc_u32 s1, s15, s1
	s_load_dwordx2 s[0:1], s[0:1], 0x0
	v_max_f32_e32 v1, v7, v7
	s_add_i32 s9, s9, -1
	s_add_i32 s2, s2, -16
	v_add_u32_e32 v0, 0xfffff900, v0
	s_waitcnt lgkmcnt(0)
	v_max_f32_e64 v10, s0, s0
	v_max_f32_e32 v1, v1, v10
	v_sub_f32_e32 v11, s0, v1
	v_sub_f32_e32 v10, v7, v1
	v_mul_f32_e32 v12, 0x3fb8aa3b, v11
	v_mov_b32_e32 v7, v1
	v_mul_f32_e32 v1, 0x3fb8aa3b, v10
	v_fma_f32 v15, v11, s4, -v12
	v_rndne_f32_e32 v16, v12
	v_fma_f32 v13, v10, s4, -v1
	v_rndne_f32_e32 v14, v1
	v_fmac_f32_e32 v15, 0x32a5705f, v11
	v_sub_f32_e32 v12, v12, v16
	v_fmac_f32_e32 v13, 0x32a5705f, v10
	v_sub_f32_e32 v1, v1, v14
	v_add_f32_e32 v12, v12, v15
	v_cvt_i32_f32_e32 v16, v16
	v_add_f32_e32 v1, v1, v13
	v_exp_f32_e32 v12, v12
	v_cvt_i32_f32_e32 v14, v14
	v_exp_f32_e32 v1, v1
	v_cmp_ngt_f32_e32 vcc, s8, v11
	v_ldexp_f32 v12, v12, v16
	v_mov_b32_e32 v8, s1
	v_ldexp_f32 v1, v1, v14
	v_cmp_ngt_f32_e64 s[0:1], s8, v10
	v_cndmask_b32_e32 v12, 0, v12, vcc
	v_cmp_nlt_f32_e32 vcc, s10, v11
	v_cndmask_b32_e64 v1, 0, v1, s[0:1]
	v_cmp_nlt_f32_e64 s[0:1], s10, v10
	v_cndmask_b32_e32 v12, v6, v12, vcc
	v_cmp_le_f32_e32 vcc, s11, v11
	v_cndmask_b32_e64 v1, v6, v1, s[0:1]
	v_cmp_le_f32_e64 s[0:1], s11, v10
	v_cndmask_b32_e32 v12, 0, v12, vcc
	s_cmp_le_i32 s9, s5
	v_cndmask_b32_e64 v10, 0, v1, s[0:1]
	s_waitcnt vmcnt(0)
	v_pk_mul_f32 v[8:9], v[8:9], v[12:13] op_sel_hi:[1,0]
	s_nop 0
	v_pk_fma_f32 v[4:5], v[4:5], v[10:11], v[8:9] op_sel_hi:[1,0,1]
	s_cbranch_scc0 .LBB25_3
	s_branch .LBB25_5
.LBB25_4:
	s_waitcnt lgkmcnt(0)
	v_mov_b32_e32 v4, s12
.LBB25_5:
	s_waitcnt vmcnt(0)
	v_div_scale_f32 v0, s[0:1], v4, v4, v5
	v_rcp_f32_e32 v1, v0
	v_div_scale_f32 v6, vcc, v5, v4, v5
	v_fma_f32 v7, -v0, v1, 1.0
	v_fmac_f32_e32 v1, v7, v1
	v_mul_f32_e32 v7, v6, v1
	v_fma_f32 v8, -v0, v7, v6
	v_fmac_f32_e32 v7, v8, v1
	v_fma_f32 v0, -v0, v7, v6
	v_div_fmas_f32 v0, v0, v1, v7
	v_div_fixup_f32 v0, v0, v4, v5
	global_store_dword v[2:3], v0, off
.LBB25_6:
	s_endpgm
	.section	.rodata,"a",@progbits
	.p2align	6, 0x0
	.amdhsa_kernel _ZL33flash_attn_stream_k_fixup_uniformILi112ELi4ELi4EEvPfPK15HIP_vector_typeIfLj2EEiiiiiiS1_IjLj3EES5_S5_
		.amdhsa_group_segment_fixed_size 0
		.amdhsa_private_segment_fixed_size 0
		.amdhsa_kernarg_size 76
		.amdhsa_user_sgpr_count 2
		.amdhsa_user_sgpr_dispatch_ptr 0
		.amdhsa_user_sgpr_queue_ptr 0
		.amdhsa_user_sgpr_kernarg_segment_ptr 1
		.amdhsa_user_sgpr_dispatch_id 0
		.amdhsa_user_sgpr_kernarg_preload_length 0
		.amdhsa_user_sgpr_kernarg_preload_offset 0
		.amdhsa_user_sgpr_private_segment_size 0
		.amdhsa_uses_dynamic_stack 0
		.amdhsa_enable_private_segment 0
		.amdhsa_system_sgpr_workgroup_id_x 1
		.amdhsa_system_sgpr_workgroup_id_y 1
		.amdhsa_system_sgpr_workgroup_id_z 1
		.amdhsa_system_sgpr_workgroup_info 0
		.amdhsa_system_vgpr_workitem_id 0
		.amdhsa_next_free_vgpr 17
		.amdhsa_next_free_sgpr 20
		.amdhsa_accum_offset 20
		.amdhsa_reserve_vcc 1
		.amdhsa_float_round_mode_32 0
		.amdhsa_float_round_mode_16_64 0
		.amdhsa_float_denorm_mode_32 3
		.amdhsa_float_denorm_mode_16_64 3
		.amdhsa_dx10_clamp 1
		.amdhsa_ieee_mode 1
		.amdhsa_fp16_overflow 0
		.amdhsa_tg_split 0
		.amdhsa_exception_fp_ieee_invalid_op 0
		.amdhsa_exception_fp_denorm_src 0
		.amdhsa_exception_fp_ieee_div_zero 0
		.amdhsa_exception_fp_ieee_overflow 0
		.amdhsa_exception_fp_ieee_underflow 0
		.amdhsa_exception_fp_ieee_inexact 0
		.amdhsa_exception_int_div_zero 0
	.end_amdhsa_kernel
	.section	.text._ZL33flash_attn_stream_k_fixup_uniformILi112ELi4ELi4EEvPfPK15HIP_vector_typeIfLj2EEiiiiiiS1_IjLj3EES5_S5_,"axG",@progbits,_ZL33flash_attn_stream_k_fixup_uniformILi112ELi4ELi4EEvPfPK15HIP_vector_typeIfLj2EEiiiiiiS1_IjLj3EES5_S5_,comdat
.Lfunc_end25:
	.size	_ZL33flash_attn_stream_k_fixup_uniformILi112ELi4ELi4EEvPfPK15HIP_vector_typeIfLj2EEiiiiiiS1_IjLj3EES5_S5_, .Lfunc_end25-_ZL33flash_attn_stream_k_fixup_uniformILi112ELi4ELi4EEvPfPK15HIP_vector_typeIfLj2EEiiiiiiS1_IjLj3EES5_S5_
                                        ; -- End function
	.set _ZL33flash_attn_stream_k_fixup_uniformILi112ELi4ELi4EEvPfPK15HIP_vector_typeIfLj2EEiiiiiiS1_IjLj3EES5_S5_.num_vgpr, 17
	.set _ZL33flash_attn_stream_k_fixup_uniformILi112ELi4ELi4EEvPfPK15HIP_vector_typeIfLj2EEiiiiiiS1_IjLj3EES5_S5_.num_agpr, 0
	.set _ZL33flash_attn_stream_k_fixup_uniformILi112ELi4ELi4EEvPfPK15HIP_vector_typeIfLj2EEiiiiiiS1_IjLj3EES5_S5_.numbered_sgpr, 20
	.set _ZL33flash_attn_stream_k_fixup_uniformILi112ELi4ELi4EEvPfPK15HIP_vector_typeIfLj2EEiiiiiiS1_IjLj3EES5_S5_.num_named_barrier, 0
	.set _ZL33flash_attn_stream_k_fixup_uniformILi112ELi4ELi4EEvPfPK15HIP_vector_typeIfLj2EEiiiiiiS1_IjLj3EES5_S5_.private_seg_size, 0
	.set _ZL33flash_attn_stream_k_fixup_uniformILi112ELi4ELi4EEvPfPK15HIP_vector_typeIfLj2EEiiiiiiS1_IjLj3EES5_S5_.uses_vcc, 1
	.set _ZL33flash_attn_stream_k_fixup_uniformILi112ELi4ELi4EEvPfPK15HIP_vector_typeIfLj2EEiiiiiiS1_IjLj3EES5_S5_.uses_flat_scratch, 0
	.set _ZL33flash_attn_stream_k_fixup_uniformILi112ELi4ELi4EEvPfPK15HIP_vector_typeIfLj2EEiiiiiiS1_IjLj3EES5_S5_.has_dyn_sized_stack, 0
	.set _ZL33flash_attn_stream_k_fixup_uniformILi112ELi4ELi4EEvPfPK15HIP_vector_typeIfLj2EEiiiiiiS1_IjLj3EES5_S5_.has_recursion, 0
	.set _ZL33flash_attn_stream_k_fixup_uniformILi112ELi4ELi4EEvPfPK15HIP_vector_typeIfLj2EEiiiiiiS1_IjLj3EES5_S5_.has_indirect_call, 0
	.section	.AMDGPU.csdata,"",@progbits
; Kernel info:
; codeLenInByte = 832
; TotalNumSgprs: 26
; NumVgprs: 17
; NumAgprs: 0
; TotalNumVgprs: 17
; ScratchSize: 0
; MemoryBound: 0
; FloatMode: 240
; IeeeMode: 1
; LDSByteSize: 0 bytes/workgroup (compile time only)
; SGPRBlocks: 3
; VGPRBlocks: 2
; NumSGPRsForWavesPerEU: 26
; NumVGPRsForWavesPerEU: 17
; AccumOffset: 20
; Occupancy: 8
; WaveLimiterHint : 0
; COMPUTE_PGM_RSRC2:SCRATCH_EN: 0
; COMPUTE_PGM_RSRC2:USER_SGPR: 2
; COMPUTE_PGM_RSRC2:TRAP_HANDLER: 0
; COMPUTE_PGM_RSRC2:TGID_X_EN: 1
; COMPUTE_PGM_RSRC2:TGID_Y_EN: 1
; COMPUTE_PGM_RSRC2:TGID_Z_EN: 1
; COMPUTE_PGM_RSRC2:TIDIG_COMP_CNT: 0
; COMPUTE_PGM_RSRC3_GFX90A:ACCUM_OFFSET: 4
; COMPUTE_PGM_RSRC3_GFX90A:TG_SPLIT: 0
	.section	.text._ZL33flash_attn_stream_k_fixup_generalILi112ELi4ELi4EEvPfPK15HIP_vector_typeIfLj2EEiiiiS1_IjLj3EES5_S5_S5_,"axG",@progbits,_ZL33flash_attn_stream_k_fixup_generalILi112ELi4ELi4EEvPfPK15HIP_vector_typeIfLj2EEiiiiS1_IjLj3EES5_S5_S5_,comdat
	.globl	_ZL33flash_attn_stream_k_fixup_generalILi112ELi4ELi4EEvPfPK15HIP_vector_typeIfLj2EEiiiiS1_IjLj3EES5_S5_S5_ ; -- Begin function _ZL33flash_attn_stream_k_fixup_generalILi112ELi4ELi4EEvPfPK15HIP_vector_typeIfLj2EEiiiiS1_IjLj3EES5_S5_S5_
	.p2align	8
	.type	_ZL33flash_attn_stream_k_fixup_generalILi112ELi4ELi4EEvPfPK15HIP_vector_typeIfLj2EEiiiiS1_IjLj3EES5_S5_S5_,@function
_ZL33flash_attn_stream_k_fixup_generalILi112ELi4ELi4EEvPfPK15HIP_vector_typeIfLj2EEiiiiS1_IjLj3EES5_S5_S5_: ; @_ZL33flash_attn_stream_k_fixup_generalILi112ELi4ELi4EEvPfPK15HIP_vector_typeIfLj2EEiiiiS1_IjLj3EES5_S5_S5_
; %bb.0:
	s_load_dwordx4 s[8:11], s[0:1], 0x10
	s_load_dword s22, s[0:1], 0x50
	s_mov_b32 s12, 0
	s_waitcnt lgkmcnt(0)
	s_mul_hi_i32 s13, s11, s2
	s_cmp_lg_u64 s[12:13], 0
	s_mul_i32 s5, s11, s2
	s_cbranch_scc0 .LBB26_20
; %bb.1:
	s_add_u32 s6, s22, 0
	s_addc_u32 s7, 0, 0
	s_xor_b64 s[6:7], s[6:7], 0
	v_cvt_f32_u32_e32 v1, s6
	v_cvt_f32_u32_e32 v2, s7
	s_sub_u32 s12, 0, s6
	s_subb_u32 s18, 0, s7
	v_fmamk_f32 v1, v2, 0x4f800000, v1
	v_rcp_f32_e32 v1, v1
	s_nop 0
	v_mul_f32_e32 v1, 0x5f7ffffc, v1
	v_mul_f32_e32 v2, 0x2f800000, v1
	v_trunc_f32_e32 v2, v2
	v_fmamk_f32 v1, v2, 0xcf800000, v1
	v_cvt_u32_f32_e32 v2, v2
	v_cvt_u32_f32_e32 v1, v1
	v_readfirstlane_b32 s19, v2
	v_readfirstlane_b32 s14, v1
	s_mul_i32 s15, s12, s19
	s_mul_hi_u32 s21, s12, s14
	s_mul_i32 s20, s18, s14
	s_add_i32 s15, s21, s15
	s_add_i32 s15, s15, s20
	s_mul_i32 s23, s12, s14
	s_mul_i32 s21, s14, s15
	s_mul_hi_u32 s24, s14, s23
	s_mul_hi_u32 s20, s14, s15
	s_add_u32 s21, s24, s21
	s_addc_u32 s20, 0, s20
	s_mul_hi_u32 s25, s19, s23
	s_mul_i32 s23, s19, s23
	s_add_u32 s21, s21, s23
	s_mul_hi_u32 s24, s19, s15
	s_addc_u32 s20, s20, s25
	s_addc_u32 s21, s24, 0
	s_mul_i32 s15, s19, s15
	s_add_u32 s15, s20, s15
	s_addc_u32 s20, 0, s21
	s_add_u32 s21, s14, s15
	s_cselect_b64 s[14:15], -1, 0
	s_cmp_lg_u64 s[14:15], 0
	s_addc_u32 s19, s19, s20
	s_mul_i32 s14, s12, s19
	s_mul_hi_u32 s15, s12, s21
	s_add_i32 s14, s15, s14
	s_mul_i32 s18, s18, s21
	s_add_i32 s14, s14, s18
	s_mul_i32 s12, s12, s21
	s_mul_hi_u32 s18, s19, s12
	s_mul_i32 s20, s19, s12
	s_mul_i32 s24, s21, s14
	s_mul_hi_u32 s12, s21, s12
	s_mul_hi_u32 s23, s21, s14
	s_add_u32 s12, s12, s24
	s_addc_u32 s23, 0, s23
	s_add_u32 s12, s12, s20
	s_mul_hi_u32 s15, s19, s14
	s_addc_u32 s12, s23, s18
	s_addc_u32 s15, s15, 0
	s_mul_i32 s14, s19, s14
	s_add_u32 s12, s12, s14
	s_addc_u32 s18, 0, s15
	s_add_u32 s20, s21, s12
	s_cselect_b64 s[14:15], -1, 0
	s_cmp_lg_u64 s[14:15], 0
	s_addc_u32 s18, s19, s18
	s_ashr_i32 s14, s13, 31
	s_add_u32 s12, s5, s14
	s_mov_b32 s15, s14
	s_addc_u32 s13, s13, s14
	s_xor_b64 s[12:13], s[12:13], s[14:15]
	s_mul_i32 s21, s12, s18
	s_mul_hi_u32 s23, s12, s20
	s_mul_hi_u32 s19, s12, s18
	s_add_u32 s21, s23, s21
	s_addc_u32 s19, 0, s19
	s_mul_hi_u32 s24, s13, s20
	s_mul_i32 s20, s13, s20
	s_add_u32 s20, s21, s20
	s_mul_hi_u32 s23, s13, s18
	s_addc_u32 s19, s19, s24
	s_addc_u32 s20, s23, 0
	s_mul_i32 s18, s13, s18
	s_add_u32 s23, s19, s18
	s_addc_u32 s24, 0, s20
	s_mul_i32 s18, s6, s24
	s_mul_hi_u32 s19, s6, s23
	s_add_i32 s18, s19, s18
	s_mul_i32 s19, s7, s23
	s_add_i32 s25, s18, s19
	s_sub_i32 s20, s13, s25
	s_mul_i32 s18, s6, s23
	s_sub_u32 s12, s12, s18
	s_cselect_b64 s[18:19], -1, 0
	s_cmp_lg_u64 s[18:19], 0
	s_subb_u32 s26, s20, s7
	s_sub_u32 s27, s12, s6
	s_cselect_b64 s[20:21], -1, 0
	s_cmp_lg_u64 s[20:21], 0
	s_subb_u32 s20, s26, 0
	s_cmp_ge_u32 s20, s7
	s_cselect_b32 s21, -1, 0
	s_cmp_ge_u32 s27, s6
	s_cselect_b32 s26, -1, 0
	s_cmp_eq_u32 s20, s7
	s_cselect_b32 s20, s26, s21
	s_add_u32 s21, s23, 1
	s_addc_u32 s26, s24, 0
	s_add_u32 s27, s23, 2
	s_addc_u32 s28, s24, 0
	s_cmp_lg_u32 s20, 0
	s_cselect_b32 s20, s27, s21
	s_cselect_b32 s21, s28, s26
	s_cmp_lg_u64 s[18:19], 0
	s_subb_u32 s13, s13, s25
	s_cmp_ge_u32 s13, s7
	s_cselect_b32 s18, -1, 0
	s_cmp_ge_u32 s12, s6
	s_cselect_b32 s6, -1, 0
	s_cmp_eq_u32 s13, s7
	s_cselect_b32 s6, s6, s18
	s_cmp_lg_u32 s6, 0
	s_cselect_b32 s7, s21, s24
	s_cselect_b32 s6, s20, s23
	s_xor_b64 s[12:13], s[14:15], 0
	s_xor_b64 s[6:7], s[6:7], s[12:13]
	s_sub_u32 s6, s6, s12
	s_load_dwordx4 s[12:15], s[0:1], 0x44
	s_cbranch_execnz .LBB26_3
.LBB26_2:
	v_cvt_f32_u32_e32 v1, s22
	s_sub_i32 s6, 0, s22
	v_rcp_iflag_f32_e32 v1, v1
	s_nop 0
	v_mul_f32_e32 v1, 0x4f7ffffe, v1
	v_cvt_u32_f32_e32 v1, v1
	s_nop 0
	v_readfirstlane_b32 s7, v1
	s_mul_i32 s6, s6, s7
	s_mul_hi_u32 s6, s7, s6
	s_add_i32 s7, s7, s6
	s_mul_hi_u32 s6, s5, s7
	s_waitcnt lgkmcnt(0)
	s_mul_i32 s15, s6, s22
	s_sub_i32 s5, s5, s15
	s_add_i32 s7, s6, 1
	s_sub_i32 s15, s5, s22
	s_cmp_ge_u32 s5, s22
	s_cselect_b32 s6, s7, s6
	s_cselect_b32 s5, s15, s5
	s_add_i32 s7, s6, 1
	s_cmp_ge_u32 s5, s22
	s_cselect_b32 s6, s7, s6
.LBB26_3:
	s_add_i32 s5, s2, 1
	s_mul_hi_i32 s21, s11, s5
	s_mov_b32 s20, 0
	s_cmp_lg_u64 s[20:21], 0
	s_mul_i32 s5, s11, s5
	s_cbranch_scc0 .LBB26_21
; %bb.4:
	s_add_u32 s16, s22, 0
	s_addc_u32 s17, 0, 0
	s_xor_b64 s[18:19], s[16:17], 0
	v_cvt_f32_u32_e32 v1, s18
	v_cvt_f32_u32_e32 v2, s19
	s_sub_u32 s7, 0, s18
	s_waitcnt lgkmcnt(0)
	s_subb_u32 s15, 0, s19
	v_fmamk_f32 v1, v2, 0x4f800000, v1
	v_rcp_f32_e32 v1, v1
	s_nop 0
	v_mul_f32_e32 v1, 0x5f7ffffc, v1
	v_mul_f32_e32 v2, 0x2f800000, v1
	v_trunc_f32_e32 v2, v2
	v_fmamk_f32 v1, v2, 0xcf800000, v1
	v_cvt_u32_f32_e32 v2, v2
	v_cvt_u32_f32_e32 v1, v1
	v_readfirstlane_b32 s20, v2
	v_readfirstlane_b32 s23, v1
	s_mul_i32 s24, s7, s20
	s_mul_hi_u32 s26, s7, s23
	s_mul_i32 s25, s15, s23
	s_add_i32 s24, s26, s24
	s_add_i32 s24, s24, s25
	s_mul_i32 s27, s7, s23
	s_mul_i32 s26, s23, s24
	s_mul_hi_u32 s28, s23, s27
	s_mul_hi_u32 s25, s23, s24
	s_add_u32 s26, s28, s26
	s_addc_u32 s25, 0, s25
	s_mul_hi_u32 s29, s20, s27
	s_mul_i32 s27, s20, s27
	s_add_u32 s26, s26, s27
	s_mul_hi_u32 s28, s20, s24
	s_addc_u32 s25, s25, s29
	s_addc_u32 s26, s28, 0
	s_mul_i32 s24, s20, s24
	s_add_u32 s24, s25, s24
	s_addc_u32 s26, 0, s26
	s_add_u32 s23, s23, s24
	s_cselect_b64 s[24:25], -1, 0
	s_cmp_lg_u64 s[24:25], 0
	s_addc_u32 s20, s20, s26
	s_mul_i32 s24, s7, s20
	s_mul_hi_u32 s25, s7, s23
	s_add_i32 s24, s25, s24
	s_mul_i32 s15, s15, s23
	s_add_i32 s24, s24, s15
	s_mul_i32 s7, s7, s23
	s_mul_hi_u32 s25, s20, s7
	s_mul_i32 s26, s20, s7
	s_mul_i32 s28, s23, s24
	s_mul_hi_u32 s7, s23, s7
	s_mul_hi_u32 s27, s23, s24
	s_add_u32 s7, s7, s28
	s_addc_u32 s27, 0, s27
	s_add_u32 s7, s7, s26
	s_mul_hi_u32 s15, s20, s24
	s_addc_u32 s7, s27, s25
	s_addc_u32 s15, s15, 0
	s_mul_i32 s24, s20, s24
	s_add_u32 s7, s7, s24
	s_addc_u32 s15, 0, s15
	s_add_u32 s7, s23, s7
	s_cselect_b64 s[24:25], -1, 0
	s_cmp_lg_u64 s[24:25], 0
	s_addc_u32 s15, s20, s15
	s_ashr_i32 s24, s21, 31
	s_add_u32 s20, s5, s24
	s_mov_b32 s25, s24
	s_addc_u32 s21, s21, s24
	s_xor_b64 s[20:21], s[20:21], s[24:25]
	s_mul_i32 s26, s20, s15
	s_mul_hi_u32 s27, s20, s7
	s_mul_hi_u32 s23, s20, s15
	s_add_u32 s26, s27, s26
	s_addc_u32 s23, 0, s23
	s_mul_hi_u32 s28, s21, s7
	s_mul_i32 s7, s21, s7
	s_add_u32 s7, s26, s7
	s_mul_hi_u32 s27, s21, s15
	s_addc_u32 s7, s23, s28
	s_addc_u32 s23, s27, 0
	s_mul_i32 s15, s21, s15
	s_add_u32 s7, s7, s15
	s_addc_u32 s15, 0, s23
	s_mul_i32 s23, s18, s15
	s_mul_hi_u32 s26, s18, s7
	s_add_i32 s23, s26, s23
	s_mul_i32 s26, s19, s7
	s_add_i32 s23, s23, s26
	s_sub_i32 s28, s21, s23
	s_mul_i32 s26, s18, s7
	s_sub_u32 s20, s20, s26
	s_cselect_b64 s[26:27], -1, 0
	s_cmp_lg_u64 s[26:27], 0
	s_subb_u32 s30, s28, s19
	s_sub_u32 s31, s20, s18
	s_cselect_b64 s[28:29], -1, 0
	s_cmp_lg_u64 s[28:29], 0
	s_subb_u32 s28, s30, 0
	s_cmp_ge_u32 s28, s19
	s_cselect_b32 s29, -1, 0
	s_cmp_ge_u32 s31, s18
	s_cselect_b32 s30, -1, 0
	s_cmp_eq_u32 s28, s19
	s_cselect_b32 s28, s30, s29
	s_add_u32 s29, s7, 1
	s_addc_u32 s30, s15, 0
	s_add_u32 s31, s7, 2
	s_addc_u32 s33, s15, 0
	s_cmp_lg_u32 s28, 0
	s_cselect_b32 s28, s31, s29
	s_cselect_b32 s29, s33, s30
	s_cmp_lg_u64 s[26:27], 0
	s_subb_u32 s21, s21, s23
	s_cmp_ge_u32 s21, s19
	s_cselect_b32 s23, -1, 0
	s_cmp_ge_u32 s20, s18
	s_cselect_b32 s18, -1, 0
	s_cmp_eq_u32 s21, s19
	s_cselect_b32 s18, s18, s23
	s_cmp_lg_u32 s18, 0
	s_cselect_b32 s19, s29, s15
	s_cselect_b32 s18, s28, s7
	s_xor_b64 s[20:21], s[24:25], 0
	s_xor_b64 s[18:19], s[18:19], s[20:21]
	s_sub_u32 s18, s18, s20
	s_cbranch_execnz .LBB26_6
.LBB26_5:
	v_cvt_f32_u32_e32 v1, s22
	s_sub_i32 s7, 0, s22
	v_rcp_iflag_f32_e32 v1, v1
	s_nop 0
	v_mul_f32_e32 v1, 0x4f7ffffe, v1
	v_cvt_u32_f32_e32 v1, v1
	s_waitcnt lgkmcnt(0)
	v_readfirstlane_b32 s15, v1
	s_mul_i32 s7, s7, s15
	s_mul_hi_u32 s7, s15, s7
	s_add_i32 s15, s15, s7
	s_mul_hi_u32 s7, s5, s15
	s_mul_i32 s16, s7, s22
	s_sub_i32 s5, s5, s16
	s_add_i32 s15, s7, 1
	s_sub_i32 s16, s5, s22
	s_cmp_ge_u32 s5, s22
	s_cselect_b32 s7, s15, s7
	s_cselect_b32 s5, s16, s5
	s_add_i32 s15, s7, 1
	s_cmp_ge_u32 s5, s22
	s_cselect_b32 s18, s15, s7
.LBB26_6:
	s_cmp_eq_u32 s6, s18
	s_waitcnt lgkmcnt(0)
	s_mul_hi_u32 s5, s6, s12
	s_cselect_b64 s[16:17], -1, 0
	s_add_i32 s5, s5, s6
	s_lshr_b32 s7, s5, s13
	s_mul_i32 s5, s7, s14
	s_cmp_eq_u32 s5, s6
	s_mul_hi_u32 s5, s18, s12
	s_cselect_b64 s[20:21], -1, 0
	s_add_i32 s5, s5, s18
	s_lshr_b32 s5, s5, s13
	s_cmp_eq_u32 s7, s5
	s_mul_i32 s5, s5, s14
	s_cselect_b64 s[24:25], -1, 0
	s_cmp_lg_u32 s5, s18
	s_cselect_b64 s[18:19], -1, 0
	s_and_b64 s[18:19], s[24:25], s[18:19]
	s_or_b64 s[16:17], s[16:17], s[20:21]
	s_or_b64 s[16:17], s[16:17], s[18:19]
	s_and_b64 vcc, exec, s[16:17]
	s_cbranch_vccnz .LBB26_23
; %bb.7:
	s_load_dwordx8 s[24:31], s[0:1], 0x20
	s_load_dword s5, s[0:1], 0x40
	s_waitcnt lgkmcnt(0)
	s_mul_hi_u32 s15, s6, s24
	s_add_i32 s15, s15, s6
	s_lshr_b32 s20, s15, s25
	s_mul_i32 s15, s20, s26
	s_sub_i32 s15, s6, s15
	s_mul_hi_u32 s16, s15, s27
	s_add_i32 s16, s15, s16
	s_lshr_b32 s21, s16, s28
	s_mul_i32 s16, s21, s29
	s_sub_i32 s15, s15, s16
	;; [unrolled: 5-line block ×3, first 2 shown]
	s_mul_hi_u32 s15, s5, s12
	s_add_i32 s5, s5, s15
	s_lshr_b32 s23, s5, s13
	s_lshl_b32 s5, s23, 2
	s_lshl_b32 s24, s16, 2
	s_add_i32 s5, s5, s3
	s_cmp_lt_i32 s5, s8
	s_cselect_b64 s[16:17], -1, 0
	s_add_i32 s24, s24, s4
	s_cmp_lt_i32 s24, s10
	s_cselect_b64 s[18:19], -1, 0
	s_and_b64 s[16:17], s[16:17], s[18:19]
	s_andn2_b64 vcc, exec, s[16:17]
	s_cbranch_vccnz .LBB26_23
; %bb.8:
	s_load_dwordx4 s[16:19], s[0:1], 0x0
	s_mov_b32 s0, 0
	s_lshl_b32 s15, s3, 2
	s_lshl_b32 s26, s22, 6
	s_mov_b32 s27, s0
	s_add_i32 s15, s15, s4
	s_lshl_b64 s[4:5], s[26:27], 2
	s_waitcnt lgkmcnt(0)
	s_add_u32 s4, s18, s4
	s_mul_i32 s1, s20, s8
	s_addc_u32 s5, s19, s5
	s_mul_i32 s21, s21, s10
	s_add_i32 s1, s1, s3
	s_mul_i32 s1, s1, s9
	s_add_i32 s3, s24, s21
	;; [unrolled: 2-line block ×3, first 2 shown]
	s_mulk_i32 s8, 0x1c0
	s_mulk_i32 s1, 0x70
	s_add_i32 s8, s8, s1
	v_add_u32_e32 v4, s8, v0
	v_mov_b32_e32 v2, s16
	v_mov_b32_e32 v3, s17
	v_ashrrev_i32_e32 v5, 31, v4
	v_lshl_add_u64 v[2:3], v[4:5], 2, v[2:3]
	global_load_dword v1, v[2:3], off
	v_cvt_f32_u32_e32 v4, s22
	s_lshl_b32 s1, s2, 4
	s_add_i32 s8, s15, s1
	s_ashr_i32 s9, s8, 31
	s_lshl_b64 s[8:9], s[8:9], 3
	v_rcp_iflag_f32_e32 v4, v4
	s_add_u32 s8, s18, s8
	s_addc_u32 s9, s19, s9
	s_load_dwordx2 s[8:9], s[8:9], 0x0
	v_mul_f32_e32 v4, 0x4f7ffffe, v4
	v_cvt_u32_f32_e32 v7, v4
	s_mul_i32 s1, s15, 0x70
	s_add_i32 s21, s2, -1
	v_add_u32_e32 v6, s1, v0
	s_waitcnt lgkmcnt(0)
	v_mov_b32_e32 v0, s9
	v_mov_b32_e32 v9, s8
	s_mov_b32 s10, 0x3fb8aa3b
	s_mov_b32 s20, 0xc2ce8ed0
	;; [unrolled: 1-line block ×4, first 2 shown]
	v_mov_b32_e32 v8, 0x7f800000
	s_mul_hi_i32 s1, s21, s11
	s_cmp_lg_u64 s[0:1], 0
	s_mul_i32 s16, s21, s11
	s_cbranch_scc0 .LBB26_19
.LBB26_9:
	s_add_u32 s2, s22, 0
	s_addc_u32 s3, 0, 0
	s_xor_b64 s[2:3], s[2:3], 0
	v_cvt_f32_u32_e32 v4, s2
	v_cvt_f32_u32_e32 v5, s3
	s_sub_u32 s17, 0, s2
	s_subb_u32 s25, 0, s3
	v_fmac_f32_e32 v4, 0x4f800000, v5
	v_rcp_f32_e32 v4, v4
	s_nop 0
	v_mul_f32_e32 v4, 0x5f7ffffc, v4
	v_mul_f32_e32 v5, 0x2f800000, v4
	v_trunc_f32_e32 v5, v5
	v_fmac_f32_e32 v4, 0xcf800000, v5
	v_cvt_u32_f32_e32 v5, v5
	v_cvt_u32_f32_e32 v4, v4
	v_readfirstlane_b32 s26, v5
	v_readfirstlane_b32 s8, v4
	s_mul_i32 s9, s17, s26
	s_mul_hi_u32 s28, s17, s8
	s_mul_i32 s27, s25, s8
	s_add_i32 s9, s28, s9
	s_mul_i32 s29, s17, s8
	s_add_i32 s9, s9, s27
	s_mul_i32 s28, s8, s9
	s_mul_hi_u32 s30, s8, s29
	s_mul_hi_u32 s27, s8, s9
	s_add_u32 s28, s30, s28
	s_addc_u32 s27, 0, s27
	s_mul_hi_u32 s31, s26, s29
	s_mul_i32 s29, s26, s29
	s_add_u32 s28, s28, s29
	s_mul_hi_u32 s30, s26, s9
	s_addc_u32 s27, s27, s31
	s_addc_u32 s28, s30, 0
	s_mul_i32 s9, s26, s9
	s_add_u32 s9, s27, s9
	s_addc_u32 s27, 0, s28
	s_add_u32 s28, s8, s9
	s_cselect_b64 s[8:9], -1, 0
	s_cmp_lg_u64 s[8:9], 0
	s_addc_u32 s26, s26, s27
	s_mul_i32 s8, s17, s26
	s_mul_hi_u32 s9, s17, s28
	s_add_i32 s8, s9, s8
	s_mul_i32 s25, s25, s28
	s_add_i32 s8, s8, s25
	s_mul_i32 s17, s17, s28
	s_mul_hi_u32 s25, s26, s17
	s_mul_i32 s27, s26, s17
	s_mul_i32 s30, s28, s8
	s_mul_hi_u32 s17, s28, s17
	s_mul_hi_u32 s29, s28, s8
	s_add_u32 s17, s17, s30
	s_addc_u32 s29, 0, s29
	s_add_u32 s17, s17, s27
	s_mul_hi_u32 s9, s26, s8
	s_addc_u32 s17, s29, s25
	s_addc_u32 s9, s9, 0
	s_mul_i32 s8, s26, s8
	s_add_u32 s8, s17, s8
	s_addc_u32 s17, 0, s9
	s_add_u32 s25, s28, s8
	s_cselect_b64 s[8:9], -1, 0
	s_cmp_lg_u64 s[8:9], 0
	s_addc_u32 s17, s26, s17
	s_ashr_i32 s8, s1, 31
	s_add_u32 s26, s16, s8
	s_mov_b32 s9, s8
	s_addc_u32 s27, s1, s8
	s_xor_b64 s[26:27], s[26:27], s[8:9]
	s_mul_i32 s28, s26, s17
	s_mul_hi_u32 s29, s26, s25
	s_mul_hi_u32 s1, s26, s17
	s_add_u32 s28, s29, s28
	s_addc_u32 s1, 0, s1
	s_mul_hi_u32 s30, s27, s25
	s_mul_i32 s25, s27, s25
	s_add_u32 s25, s28, s25
	s_mul_hi_u32 s29, s27, s17
	s_addc_u32 s1, s1, s30
	s_addc_u32 s25, s29, 0
	s_mul_i32 s17, s27, s17
	s_add_u32 s1, s1, s17
	s_addc_u32 s17, 0, s25
	s_mul_i32 s25, s2, s17
	s_mul_hi_u32 s28, s2, s1
	s_add_i32 s25, s28, s25
	s_mul_i32 s28, s3, s1
	s_add_i32 s25, s25, s28
	s_sub_i32 s30, s27, s25
	s_mul_i32 s28, s2, s1
	s_sub_u32 s26, s26, s28
	s_cselect_b64 s[28:29], -1, 0
	s_cmp_lg_u64 s[28:29], 0
	s_subb_u32 s33, s30, s3
	s_sub_u32 s34, s26, s2
	s_cselect_b64 s[30:31], -1, 0
	s_cmp_lg_u64 s[30:31], 0
	s_subb_u32 s30, s33, 0
	s_cmp_ge_u32 s30, s3
	s_cselect_b32 s31, -1, 0
	s_cmp_ge_u32 s34, s2
	s_cselect_b32 s33, -1, 0
	s_cmp_eq_u32 s30, s3
	s_cselect_b32 s30, s33, s31
	s_add_u32 s31, s1, 1
	s_addc_u32 s33, s17, 0
	s_add_u32 s34, s1, 2
	s_addc_u32 s35, s17, 0
	s_cmp_lg_u32 s30, 0
	s_cselect_b32 s30, s34, s31
	s_cselect_b32 s31, s35, s33
	s_cmp_lg_u64 s[28:29], 0
	s_subb_u32 s25, s27, s25
	s_cmp_ge_u32 s25, s3
	s_cselect_b32 s27, -1, 0
	s_cmp_ge_u32 s26, s2
	s_cselect_b32 s2, -1, 0
	s_cmp_eq_u32 s25, s3
	s_cselect_b32 s2, s2, s27
	s_cmp_lg_u32 s2, 0
	s_cselect_b32 s3, s31, s17
	s_cselect_b32 s2, s30, s1
	s_xor_b64 s[8:9], s[8:9], 0
	s_xor_b64 s[2:3], s[2:3], s[8:9]
	s_sub_u32 s8, s2, s8
	s_cbranch_execnz .LBB26_11
.LBB26_10:
	s_sub_i32 s1, 0, s22
	v_readfirstlane_b32 s2, v7
	s_mul_i32 s1, s1, s2
	s_mul_hi_u32 s1, s2, s1
	s_add_i32 s2, s2, s1
	s_mul_hi_u32 s1, s16, s2
	s_mul_i32 s3, s1, s22
	s_sub_i32 s3, s16, s3
	s_add_i32 s2, s1, 1
	s_sub_i32 s8, s3, s22
	s_cmp_ge_u32 s3, s22
	s_cselect_b32 s1, s2, s1
	s_cselect_b32 s3, s8, s3
	s_add_i32 s2, s1, 1
	s_cmp_ge_u32 s3, s22
	s_cselect_b32 s8, s2, s1
.LBB26_11:
	s_cmp_lg_u32 s6, s8
	s_cbranch_scc0 .LBB26_15
; %bb.12:
	s_add_i32 s1, s21, s22
	s_lshl_b32 s1, s1, 4
	s_add_i32 s2, s1, s15
	s_mov_b32 s3, s0
	s_lshl_b64 s[2:3], s[2:3], 3
	s_add_u32 s16, s18, s2
	s_mul_hi_u32 s1, s8, s12
	s_addc_u32 s17, s19, s3
	s_add_i32 s1, s1, s8
	s_lshr_b32 s1, s1, s13
	s_mul_i32 s2, s1, s14
	s_cmp_eq_u32 s2, s8
	s_cselect_b64 s[2:3], -1, 0
	s_cmp_lt_u32 s1, s7
	s_cselect_b64 s[26:27], -1, 0
	s_or_b64 s[26:27], s[26:27], s[2:3]
	s_mov_b64 s[2:3], -1
	s_and_b64 vcc, exec, s[26:27]
	s_mov_b32 s1, s21
	s_mov_b32 s25, s6
	s_cbranch_vccnz .LBB26_14
; %bb.13:
	s_add_i32 s1, s21, -1
	s_mov_b64 s[2:3], 0
	s_mov_b32 s25, s8
.LBB26_14:
	s_mul_i32 s8, s21, 0x700
	v_add_u32_e32 v4, s8, v6
	v_ashrrev_i32_e32 v5, 31, v4
	v_lshl_add_u64 v[4:5], v[4:5], 2, s[4:5]
	global_load_dword v5, v[4:5], off
	s_load_dwordx2 s[8:9], s[16:17], 0x0
	v_max_f32_e32 v4, v9, v9
	s_waitcnt lgkmcnt(0)
	v_max_f32_e64 v10, s8, s8
	v_max_f32_e32 v10, v4, v10
	v_sub_f32_e32 v11, v9, v10
	v_sub_f32_e32 v13, s8, v10
	v_mul_f32_e32 v4, 0x3fb8aa3b, v11
	v_mul_f32_e32 v12, 0x3fb8aa3b, v13
	v_fma_f32 v14, v11, s10, -v4
	v_rndne_f32_e32 v15, v4
	v_fma_f32 v16, v13, s10, -v12
	v_rndne_f32_e32 v17, v12
	v_fmac_f32_e32 v14, 0x32a5705f, v11
	v_sub_f32_e32 v4, v4, v15
	v_fmac_f32_e32 v16, 0x32a5705f, v13
	v_sub_f32_e32 v12, v12, v17
	v_add_f32_e32 v4, v4, v14
	v_cvt_i32_f32_e32 v15, v15
	v_add_f32_e32 v12, v12, v16
	v_exp_f32_e32 v14, v4
	v_cvt_i32_f32_e32 v17, v17
	v_exp_f32_e32 v12, v12
	v_cmp_ngt_f32_e32 vcc, s20, v11
	v_ldexp_f32 v14, v14, v15
	v_mov_b32_e32 v4, s9
	v_ldexp_f32 v12, v12, v17
	v_cndmask_b32_e32 v14, 0, v14, vcc
	v_cmp_ngt_f32_e32 vcc, s20, v13
	s_nop 1
	v_cndmask_b32_e32 v12, 0, v12, vcc
	v_cmp_nlt_f32_e32 vcc, s23, v11
	s_nop 1
	v_cndmask_b32_e32 v14, v8, v14, vcc
	v_cmp_nlt_f32_e32 vcc, s23, v13
	s_nop 1
	v_cndmask_b32_e32 v15, v8, v12, vcc
	v_cmp_le_f32_e32 vcc, s24, v11
	s_nop 1
	v_cndmask_b32_e32 v12, 0, v14, vcc
	v_cmp_le_f32_e32 vcc, s24, v13
	s_nop 1
	v_cndmask_b32_e32 v14, 0, v15, vcc
	s_waitcnt vmcnt(0)
	v_pk_mul_f32 v[4:5], v[4:5], v[14:15] op_sel_hi:[1,0]
	s_nop 0
	v_pk_fma_f32 v[4:5], v[0:1], v[12:13], v[4:5] op_sel_hi:[1,0,1]
	s_cbranch_execz .LBB26_16
	s_branch .LBB26_17
.LBB26_15:
                                        ; implicit-def: $vgpr4_vgpr5
                                        ; implicit-def: $sgpr2_sgpr3
                                        ; implicit-def: $vgpr10
                                        ; implicit-def: $sgpr1
                                        ; implicit-def: $sgpr25
.LBB26_16:
	s_add_i32 s1, s21, -1
	s_mov_b64 s[2:3], 0
	s_mov_b32 s25, s6
	v_mov_b32_e32 v10, v9
	s_waitcnt vmcnt(0)
	v_mov_b64_e32 v[4:5], v[0:1]
.LBB26_17:
	s_andn2_b64 vcc, exec, s[2:3]
	s_cbranch_vccz .LBB26_22
; %bb.18:
	s_mov_b32 s6, s25
	s_mov_b32 s21, s1
	v_mov_b32_e32 v9, v10
	s_waitcnt vmcnt(0)
	v_mov_b64_e32 v[0:1], v[4:5]
	s_mul_hi_i32 s1, s21, s11
	s_cmp_lg_u64 s[0:1], 0
	s_mul_i32 s16, s21, s11
	s_cbranch_scc1 .LBB26_9
.LBB26_19:
                                        ; implicit-def: $sgpr8_sgpr9
	s_branch .LBB26_10
.LBB26_20:
                                        ; implicit-def: $sgpr6_sgpr7
	s_load_dwordx4 s[12:15], s[0:1], 0x44
	s_branch .LBB26_2
.LBB26_21:
                                        ; implicit-def: $sgpr18_sgpr19
	s_branch .LBB26_5
.LBB26_22:
	v_div_scale_f32 v0, s[0:1], v4, v4, v5
	s_waitcnt vmcnt(0)
	v_rcp_f32_e32 v1, v0
	v_div_scale_f32 v6, vcc, v5, v4, v5
	v_fma_f32 v7, -v0, v1, 1.0
	v_fmac_f32_e32 v1, v7, v1
	v_mul_f32_e32 v7, v6, v1
	v_fma_f32 v8, -v0, v7, v6
	v_fmac_f32_e32 v7, v8, v1
	v_fma_f32 v0, -v0, v7, v6
	v_div_fmas_f32 v0, v0, v1, v7
	v_div_fixup_f32 v0, v0, v4, v5
	global_store_dword v[2:3], v0, off
.LBB26_23:
	s_endpgm
	.section	.rodata,"a",@progbits
	.p2align	6, 0x0
	.amdhsa_kernel _ZL33flash_attn_stream_k_fixup_generalILi112ELi4ELi4EEvPfPK15HIP_vector_typeIfLj2EEiiiiS1_IjLj3EES5_S5_S5_
		.amdhsa_group_segment_fixed_size 0
		.amdhsa_private_segment_fixed_size 0
		.amdhsa_kernarg_size 336
		.amdhsa_user_sgpr_count 2
		.amdhsa_user_sgpr_dispatch_ptr 0
		.amdhsa_user_sgpr_queue_ptr 0
		.amdhsa_user_sgpr_kernarg_segment_ptr 1
		.amdhsa_user_sgpr_dispatch_id 0
		.amdhsa_user_sgpr_kernarg_preload_length 0
		.amdhsa_user_sgpr_kernarg_preload_offset 0
		.amdhsa_user_sgpr_private_segment_size 0
		.amdhsa_uses_dynamic_stack 0
		.amdhsa_enable_private_segment 0
		.amdhsa_system_sgpr_workgroup_id_x 1
		.amdhsa_system_sgpr_workgroup_id_y 1
		.amdhsa_system_sgpr_workgroup_id_z 1
		.amdhsa_system_sgpr_workgroup_info 0
		.amdhsa_system_vgpr_workitem_id 0
		.amdhsa_next_free_vgpr 18
		.amdhsa_next_free_sgpr 36
		.amdhsa_accum_offset 20
		.amdhsa_reserve_vcc 1
		.amdhsa_float_round_mode_32 0
		.amdhsa_float_round_mode_16_64 0
		.amdhsa_float_denorm_mode_32 3
		.amdhsa_float_denorm_mode_16_64 3
		.amdhsa_dx10_clamp 1
		.amdhsa_ieee_mode 1
		.amdhsa_fp16_overflow 0
		.amdhsa_tg_split 0
		.amdhsa_exception_fp_ieee_invalid_op 0
		.amdhsa_exception_fp_denorm_src 0
		.amdhsa_exception_fp_ieee_div_zero 0
		.amdhsa_exception_fp_ieee_overflow 0
		.amdhsa_exception_fp_ieee_underflow 0
		.amdhsa_exception_fp_ieee_inexact 0
		.amdhsa_exception_int_div_zero 0
	.end_amdhsa_kernel
	.section	.text._ZL33flash_attn_stream_k_fixup_generalILi112ELi4ELi4EEvPfPK15HIP_vector_typeIfLj2EEiiiiS1_IjLj3EES5_S5_S5_,"axG",@progbits,_ZL33flash_attn_stream_k_fixup_generalILi112ELi4ELi4EEvPfPK15HIP_vector_typeIfLj2EEiiiiS1_IjLj3EES5_S5_S5_,comdat
.Lfunc_end26:
	.size	_ZL33flash_attn_stream_k_fixup_generalILi112ELi4ELi4EEvPfPK15HIP_vector_typeIfLj2EEiiiiS1_IjLj3EES5_S5_S5_, .Lfunc_end26-_ZL33flash_attn_stream_k_fixup_generalILi112ELi4ELi4EEvPfPK15HIP_vector_typeIfLj2EEiiiiS1_IjLj3EES5_S5_S5_
                                        ; -- End function
	.set _ZL33flash_attn_stream_k_fixup_generalILi112ELi4ELi4EEvPfPK15HIP_vector_typeIfLj2EEiiiiS1_IjLj3EES5_S5_S5_.num_vgpr, 18
	.set _ZL33flash_attn_stream_k_fixup_generalILi112ELi4ELi4EEvPfPK15HIP_vector_typeIfLj2EEiiiiS1_IjLj3EES5_S5_S5_.num_agpr, 0
	.set _ZL33flash_attn_stream_k_fixup_generalILi112ELi4ELi4EEvPfPK15HIP_vector_typeIfLj2EEiiiiS1_IjLj3EES5_S5_S5_.numbered_sgpr, 36
	.set _ZL33flash_attn_stream_k_fixup_generalILi112ELi4ELi4EEvPfPK15HIP_vector_typeIfLj2EEiiiiS1_IjLj3EES5_S5_S5_.num_named_barrier, 0
	.set _ZL33flash_attn_stream_k_fixup_generalILi112ELi4ELi4EEvPfPK15HIP_vector_typeIfLj2EEiiiiS1_IjLj3EES5_S5_S5_.private_seg_size, 0
	.set _ZL33flash_attn_stream_k_fixup_generalILi112ELi4ELi4EEvPfPK15HIP_vector_typeIfLj2EEiiiiS1_IjLj3EES5_S5_S5_.uses_vcc, 1
	.set _ZL33flash_attn_stream_k_fixup_generalILi112ELi4ELi4EEvPfPK15HIP_vector_typeIfLj2EEiiiiS1_IjLj3EES5_S5_S5_.uses_flat_scratch, 0
	.set _ZL33flash_attn_stream_k_fixup_generalILi112ELi4ELi4EEvPfPK15HIP_vector_typeIfLj2EEiiiiS1_IjLj3EES5_S5_S5_.has_dyn_sized_stack, 0
	.set _ZL33flash_attn_stream_k_fixup_generalILi112ELi4ELi4EEvPfPK15HIP_vector_typeIfLj2EEiiiiS1_IjLj3EES5_S5_S5_.has_recursion, 0
	.set _ZL33flash_attn_stream_k_fixup_generalILi112ELi4ELi4EEvPfPK15HIP_vector_typeIfLj2EEiiiiS1_IjLj3EES5_S5_S5_.has_indirect_call, 0
	.section	.AMDGPU.csdata,"",@progbits
; Kernel info:
; codeLenInByte = 2944
; TotalNumSgprs: 42
; NumVgprs: 18
; NumAgprs: 0
; TotalNumVgprs: 18
; ScratchSize: 0
; MemoryBound: 0
; FloatMode: 240
; IeeeMode: 1
; LDSByteSize: 0 bytes/workgroup (compile time only)
; SGPRBlocks: 5
; VGPRBlocks: 2
; NumSGPRsForWavesPerEU: 42
; NumVGPRsForWavesPerEU: 18
; AccumOffset: 20
; Occupancy: 8
; WaveLimiterHint : 0
; COMPUTE_PGM_RSRC2:SCRATCH_EN: 0
; COMPUTE_PGM_RSRC2:USER_SGPR: 2
; COMPUTE_PGM_RSRC2:TRAP_HANDLER: 0
; COMPUTE_PGM_RSRC2:TGID_X_EN: 1
; COMPUTE_PGM_RSRC2:TGID_Y_EN: 1
; COMPUTE_PGM_RSRC2:TGID_Z_EN: 1
; COMPUTE_PGM_RSRC2:TIDIG_COMP_CNT: 0
; COMPUTE_PGM_RSRC3_GFX90A:ACCUM_OFFSET: 4
; COMPUTE_PGM_RSRC3_GFX90A:TG_SPLIT: 0
	.section	.text._ZL15flash_attn_tileILi112ELi112ELi2ELi4ELb0EEvPKcS1_S1_S1_S1_PKiPfP15HIP_vector_typeIfLj2EEffffjfiS5_IjLj3EEiiiiiiiiiiiliiliiiiil,"axG",@progbits,_ZL15flash_attn_tileILi112ELi112ELi2ELi4ELb0EEvPKcS1_S1_S1_S1_PKiPfP15HIP_vector_typeIfLj2EEffffjfiS5_IjLj3EEiiiiiiiiiiiliiliiiiil,comdat
	.globl	_ZL15flash_attn_tileILi112ELi112ELi2ELi4ELb0EEvPKcS1_S1_S1_S1_PKiPfP15HIP_vector_typeIfLj2EEffffjfiS5_IjLj3EEiiiiiiiiiiiliiliiiiil ; -- Begin function _ZL15flash_attn_tileILi112ELi112ELi2ELi4ELb0EEvPKcS1_S1_S1_S1_PKiPfP15HIP_vector_typeIfLj2EEffffjfiS5_IjLj3EEiiiiiiiiiiiliiliiiiil
	.p2align	8
	.type	_ZL15flash_attn_tileILi112ELi112ELi2ELi4ELb0EEvPKcS1_S1_S1_S1_PKiPfP15HIP_vector_typeIfLj2EEffffjfiS5_IjLj3EEiiiiiiiiiiiliiliiiiil,@function
_ZL15flash_attn_tileILi112ELi112ELi2ELi4ELb0EEvPKcS1_S1_S1_S1_PKiPfP15HIP_vector_typeIfLj2EEffffjfiS5_IjLj3EEiiiiiiiiiiiliiliiiiil: ; @_ZL15flash_attn_tileILi112ELi112ELi2ELi4ELb0EEvPKcS1_S1_S1_S1_PKiPfP15HIP_vector_typeIfLj2EEffffjfiS5_IjLj3EEiiiiiiiiiiiliiliiiiil
; %bb.0:
	s_load_dwordx4 s[28:31], s[0:1], 0x5c
	s_load_dwordx2 s[34:35], s[0:1], 0x80
	s_load_dwordx16 s[12:27], s[0:1], 0x0
	s_mov_b64 s[36:37], 0
	s_waitcnt lgkmcnt(0)
	s_ashr_i32 s5, s31, 31
	s_lshr_b32 s5, s5, 30
	s_add_i32 s5, s31, s5
	s_ashr_i32 s5, s5, 2
	v_cvt_f32_u32_e32 v1, s5
	s_sub_i32 s6, 0, s5
	v_rcp_iflag_f32_e32 v1, v1
	s_nop 0
	v_mul_f32_e32 v1, 0x4f7ffffe, v1
	v_cvt_u32_f32_e32 v1, v1
	s_nop 0
	v_readfirstlane_b32 s7, v1
	s_mul_i32 s6, s6, s7
	s_mul_hi_u32 s6, s7, s6
	s_add_i32 s7, s7, s6
	s_mul_hi_u32 s6, s4, s7
	s_mul_i32 s7, s6, s5
	s_sub_i32 s7, s4, s7
	s_add_i32 s8, s6, 1
	s_sub_i32 s9, s7, s5
	s_cmp_ge_u32 s7, s5
	s_cselect_b32 s6, s8, s6
	s_cselect_b32 s7, s9, s7
	s_add_i32 s8, s6, 1
	s_cmp_ge_u32 s7, s5
	s_cselect_b32 s33, s8, s6
	s_abs_i32 s5, s35
	v_cvt_f32_u32_e32 v1, s5
	s_sub_i32 s8, 0, s5
	s_abs_i32 s7, s31
	s_lshl_b32 s6, s4, 2
	v_rcp_iflag_f32_e32 v1, v1
	s_xor_b32 s4, s31, s35
	s_ashr_i32 s4, s4, 31
	v_mul_f32_e32 v1, 0x4f7ffffe, v1
	v_cvt_u32_f32_e32 v1, v1
	s_nop 0
	v_readfirstlane_b32 s9, v1
	s_mul_i32 s8, s8, s9
	s_mul_hi_u32 s8, s9, s8
	s_add_i32 s9, s9, s8
	s_mul_hi_u32 s8, s7, s9
	s_mul_i32 s9, s8, s5
	s_sub_i32 s7, s7, s9
	s_add_i32 s10, s8, 1
	s_sub_i32 s9, s7, s5
	s_cmp_ge_u32 s7, s5
	s_cselect_b32 s8, s10, s8
	s_cselect_b32 s7, s9, s7
	s_add_i32 s9, s8, 1
	s_cmp_ge_u32 s7, s5
	s_cselect_b32 s5, s9, s8
	s_xor_b32 s5, s5, s4
	s_sub_i32 s9, s5, s4
	s_abs_i32 s8, s9
	v_cvt_f32_u32_e32 v1, s8
	s_load_dwordx2 s[4:5], s[0:1], 0xb8
	s_mul_i32 s7, s33, s31
	s_cmp_eq_u64 s[18:19], 0
	v_rcp_iflag_f32_e32 v1, v1
	s_nop 0
	v_mul_f32_e32 v1, 0x4f7ffffe, v1
	v_cvt_u32_f32_e32 v1, v1
	s_nop 0
	v_readfirstlane_b32 s10, v1
	s_cbranch_scc1 .LBB27_2
; %bb.1:
	s_waitcnt lgkmcnt(0)
	s_abs_i32 s4, s4
	v_cvt_f32_u32_e32 v1, s4
	s_sub_i32 s38, 0, s4
	s_abs_i32 s35, s33
	s_ashr_i32 s11, s33, 31
	v_rcp_iflag_f32_e32 v1, v1
	s_load_dwordx2 s[36:37], s[0:1], 0xc8
	v_mul_f32_e32 v1, 0x4f7ffffe, v1
	v_cvt_u32_f32_e32 v1, v1
	s_nop 0
	v_readfirstlane_b32 s39, v1
	s_mul_i32 s38, s38, s39
	s_mul_hi_u32 s38, s39, s38
	s_add_i32 s39, s39, s38
	s_mul_hi_u32 s38, s35, s39
	s_mul_i32 s38, s38, s4
	s_sub_i32 s35, s35, s38
	s_sub_i32 s38, s35, s4
	s_cmp_ge_u32 s35, s4
	s_cselect_b32 s35, s38, s35
	s_sub_i32 s38, s35, s4
	s_cmp_ge_u32 s35, s4
	s_cselect_b32 s4, s38, s35
	s_xor_b32 s4, s4, s11
	s_sub_i32 s4, s4, s11
	s_ashr_i32 s11, s4, 31
	s_waitcnt lgkmcnt(0)
	s_mul_hi_u32 s35, s36, s4
	s_mul_i32 s11, s36, s11
	s_mul_i32 s37, s37, s4
	s_add_i32 s11, s35, s11
	s_add_i32 s11, s11, s37
	s_mul_i32 s4, s36, s4
	s_add_u32 s36, s18, s4
	s_addc_u32 s37, s19, s11
.LBB27_2:
	v_bfe_u32 v1, v0, 10, 10
	v_and_b32_e32 v40, 0x3ff, v0
	s_waitcnt lgkmcnt(0)
	s_movk_i32 s4, 0xe0
	v_mov_b32_e32 v0, 0x1040
	s_sub_i32 s35, s6, s7
	s_lshl_b32 s40, s2, 1
	v_cmp_gt_u32_e64 s[18:19], 28, v40
	v_mad_u32_u24 v63, v1, s4, v0
	v_lshlrev_b32_e32 v66, 3, v40
	v_and_b32_e32 v41, 3, v1
	v_lshrrev_b32_e32 v57, 2, v1
	s_and_saveexec_b64 s[6:7], s[18:19]
	s_cbranch_execz .LBB27_4
; %bb.3:
	s_load_dwordx4 s[44:47], s[0:1], 0x70
	s_waitcnt lgkmcnt(0)
	s_mul_i32 s4, s33, s46
	s_ashr_i32 s39, s4, 31
	s_mul_i32 s11, s35, s45
	s_add_u32 s4, s12, s4
	s_addc_u32 s13, s13, s39
	s_ashr_i32 s39, s11, 31
	s_add_u32 s12, s4, s11
	s_mov_b32 s38, s45
	s_addc_u32 s13, s13, s39
	s_ashr_i32 s39, s45, 31
	s_lshr_b64 s[42:43], s[38:39], 2
	v_mad_u64_u32 v[2:3], s[42:43], s42, v41, 0
	v_mov_b32_e32 v0, v3
	s_lshr_b32 s4, s39, 2
	v_mad_u64_u32 v[4:5], s[38:39], s4, v41, v[0:1]
	v_add_u32_e32 v0, s40, v57
	v_mov_b32_e32 v3, v4
	v_mul_hi_u32 v4, s28, v0
	v_add_u32_e32 v4, v0, v4
	v_lshrrev_b32_e32 v4, s29, v4
	s_ashr_i32 s45, s44, 31
	v_mul_lo_u32 v4, v4, s30
	v_lshl_add_u64 v[2:3], v[2:3], 2, s[12:13]
	s_lshr_b64 s[12:13], s[44:45], 2
	v_sub_u32_e32 v6, v0, v4
	v_mad_u64_u32 v[4:5], s[12:13], s12, v6, 0
	v_mov_b32_e32 v0, v5
	s_lshr_b32 s4, s45, 2
	v_mad_u64_u32 v[6:7], s[12:13], s4, v6, v[0:1]
	v_mov_b32_e32 v5, v6
	v_lshl_add_u64 v[2:3], v[4:5], 2, v[2:3]
	v_lshlrev_b32_e32 v4, 4, v40
	v_mov_b32_e32 v5, 0
	v_lshl_add_u64 v[2:3], v[2:3], 0, v[4:5]
	global_load_dwordx4 v[2:5], v[2:3], off
	s_load_dword s4, s[0:1], 0x40
	v_add_u32_e32 v0, v63, v66
	s_waitcnt vmcnt(0) lgkmcnt(0)
	v_fma_mixlo_f16 v6, s4, v2, 0
	v_mov_b32_e32 v2, v5
	v_pk_mul_f32 v[2:3], s[4:5], v[2:3] op_sel_hi:[0,1]
	v_cvt_pk_f16_f32 v2, v2, v3
	v_fma_mixlo_f16 v4, s4, v4, 0
	v_and_b32_e32 v5, 0xffff, v6
	v_lshlrev_b32_e32 v3, 16, v2
	v_and_b32_e32 v2, 0xffff0000, v2
	v_and_b32_e32 v4, 0xffff, v4
	v_or_b32_e32 v2, v2, v5
	v_or3_b32 v3, v3, v4, 0
	v_or3_b32 v2, 0, 0, v2
	ds_write_b64 v0, v[2:3]
.LBB27_4:
	s_or_b64 exec, exec, s[6:7]
	s_cmp_eq_u64 s[22:23], 0
	s_waitcnt lgkmcnt(0)
	s_barrier
	s_cbranch_scc1 .LBB27_6
; %bb.5:
	s_load_dword s4, s[0:1], 0xd0
	s_mov_b32 s7, 0
	s_waitcnt lgkmcnt(0)
	s_mul_i32 s4, s4, s33
	s_add_i32 s6, s4, s2
	s_lshl_b64 s[6:7], s[6:7], 2
	s_add_u32 s6, s22, s6
	s_addc_u32 s7, s23, s7
	s_load_dword s34, s[6:7], 0x0
.LBB27_6:
	s_lshl_b32 s2, s3, 5
	s_waitcnt lgkmcnt(0)
	s_cmp_lt_i32 s2, s34
	v_mbcnt_lo_u32_b32 v0, -1, 0
	s_cbranch_scc1 .LBB27_12
; %bb.7:
	v_mbcnt_hi_u32_b32 v51, -1, v0
	v_and_b32_e32 v2, 0x60, v51
	v_add_u32_e32 v80, 32, v2
	v_xor_b32_e32 v81, 16, v51
	v_xor_b32_e32 v82, 8, v51
	;; [unrolled: 1-line block ×5, first 2 shown]
	s_cbranch_execz .LBB27_13
; %bb.8:
	v_mov_b32_e32 v67, 0
	v_mov_b32_e32 v86, 0
	;; [unrolled: 1-line block ×4, first 2 shown]
.LBB27_9:
	v_cmp_lt_i32_e32 vcc, v81, v80
	s_cmp_lg_u64 s[20:21], 0
	s_cselect_b64 s[4:5], -1, 0
	v_cndmask_b32_e32 v0, v51, v81, vcc
	v_lshlrev_b32_e32 v0, 2, v0
	ds_bpermute_b32 v0, v0, v86
	v_cmp_lt_i32_e32 vcc, v82, v80
	s_cmp_eq_u32 s3, 0
	s_cselect_b64 s[6:7], -1, 0
	v_cndmask_b32_e32 v1, v51, v82, vcc
	v_lshlrev_b32_e32 v1, 2, v1
	s_waitcnt lgkmcnt(0)
	v_add_f32_e32 v0, v86, v0
	ds_bpermute_b32 v1, v1, v0
	v_cmp_lt_i32_e32 vcc, v83, v80
	s_and_b64 s[4:5], s[6:7], s[4:5]
	s_waitcnt lgkmcnt(0)
	v_add_f32_e32 v0, v0, v1
	v_cndmask_b32_e32 v2, v51, v83, vcc
	v_lshlrev_b32_e32 v2, 2, v2
	ds_bpermute_b32 v1, v2, v0
	v_cmp_lt_i32_e32 vcc, v84, v80
	s_waitcnt lgkmcnt(0)
	v_add_f32_e32 v0, v0, v1
	v_cndmask_b32_e32 v2, v51, v84, vcc
	v_lshlrev_b32_e32 v2, 2, v2
	ds_bpermute_b32 v1, v2, v0
	v_cmp_lt_i32_e32 vcc, v85, v80
	s_waitcnt lgkmcnt(0)
	v_add_f32_e32 v0, v0, v1
	v_cndmask_b32_e32 v2, v51, v85, vcc
	v_lshlrev_b32_e32 v2, 2, v2
	ds_bpermute_b32 v1, v2, v0
	s_and_b64 vcc, exec, s[4:5]
	s_waitcnt lgkmcnt(0)
	v_add_f32_e32 v63, v0, v1
	s_cbranch_vccz .LBB27_40
; %bb.10:
	v_add_u32_e32 v0, s35, v41
	v_ashrrev_i32_e32 v1, 31, v0
	v_lshl_add_u64 v[0:1], v[0:1], 2, s[20:21]
	global_load_dword v1, v[0:1], off
	v_max_f32_e32 v0, v62, v62
	s_mov_b32 s2, 0x3fb8aa3b
	s_mov_b32 s4, 0xc2ce8ed0
	s_waitcnt vmcnt(0)
	v_max_f32_e32 v2, v1, v1
	v_max_f32_e32 v0, v0, v2
	v_sub_f32_e32 v2, v62, v0
	v_sub_f32_e32 v1, v1, v0
	v_mul_f32_e32 v3, 0x3fb8aa3b, v2
	v_mul_f32_e32 v4, 0x3fb8aa3b, v1
	v_fma_f32 v5, v2, s2, -v3
	v_rndne_f32_e32 v6, v3
	v_fma_f32 v7, v1, s2, -v4
	v_rndne_f32_e32 v8, v4
	v_fmac_f32_e32 v5, 0x32a5705f, v2
	v_sub_f32_e32 v3, v3, v6
	v_fmac_f32_e32 v7, 0x32a5705f, v1
	v_sub_f32_e32 v4, v4, v8
	v_add_f32_e32 v3, v3, v5
	v_cvt_i32_f32_e32 v6, v6
	v_add_f32_e32 v4, v4, v7
	v_exp_f32_e32 v3, v3
	v_cvt_i32_f32_e32 v8, v8
	v_exp_f32_e32 v4, v4
	v_cmp_ngt_f32_e32 vcc, s4, v2
	v_ldexp_f32 v3, v3, v6
	s_mov_b32 s2, 0x42b17218
	v_ldexp_f32 v4, v4, v8
	v_cndmask_b32_e32 v3, 0, v3, vcc
	v_cmp_ngt_f32_e32 vcc, s4, v1
	v_mov_b32_e32 v5, 0x7f800000
	s_nop 0
	v_cndmask_b32_e32 v4, 0, v4, vcc
	v_cmp_nlt_f32_e32 vcc, s2, v2
	s_nop 1
	v_cndmask_b32_e32 v2, v5, v3, vcc
	v_cvt_f16_f32_e32 v3, v2
	v_cmp_nlt_f32_e32 vcc, s2, v1
	s_nop 1
	v_cndmask_b32_e32 v1, v5, v4, vcc
	v_fmac_f32_e32 v1, v63, v2
	v_mul_u32_u24_e32 v2, 0x10001, v3
	v_pk_mul_f16 v68, v68, v2
	v_pk_mul_f16 v67, v67, v2
	v_mov_b64_e32 v[62:63], v[0:1]
	v_add_u32_e32 v0, s40, v57
	v_cmp_gt_i32_e32 vcc, s30, v0
	s_and_saveexec_b64 s[4:5], vcc
	s_cbranch_execnz .LBB27_41
.LBB27_11:
	s_endpgm
.LBB27_12:
                                        ; implicit-def: $vgpr51
                                        ; implicit-def: $vgpr80
                                        ; implicit-def: $vgpr81
                                        ; implicit-def: $vgpr82
                                        ; implicit-def: $vgpr83
                                        ; implicit-def: $vgpr84
                                        ; implicit-def: $vgpr85
.LBB27_13:
	s_load_dwordx2 s[6:7], s[0:1], 0x8c
	s_load_dwordx4 s[44:47], s[0:1], 0x98
	s_sub_i32 s4, 0, s8
	s_ashr_i32 s22, s5, 1
	s_ashr_i32 s5, s33, 31
	s_mul_i32 s4, s4, s10
	s_waitcnt lgkmcnt(0)
	s_ashr_i32 s42, s6, 2
	s_mul_hi_u32 s6, s44, s33
	s_mul_i32 s23, s44, s5
	s_mul_hi_u32 s4, s10, s4
	s_add_i32 s6, s6, s23
	s_mul_i32 s23, s45, s33
	s_abs_i32 s12, s35
	s_add_i32 s10, s10, s4
	s_ashr_i32 s13, s35, 31
	s_ashr_i32 s9, s9, 31
	;; [unrolled: 1-line block ×3, first 2 shown]
	s_add_i32 s6, s6, s23
	s_mul_i32 s23, s44, s33
	s_mul_hi_u32 s4, s12, s10
	s_add_u32 s14, s14, s23
	s_addc_u32 s6, s15, s6
	s_xor_b32 s9, s13, s9
	s_mul_i32 s13, s4, s8
	s_sub_i32 s12, s12, s13
	s_add_i32 s13, s4, 1
	s_sub_i32 s15, s12, s8
	s_cmp_ge_u32 s12, s8
	s_cselect_b32 s4, s13, s4
	s_cselect_b32 s12, s15, s12
	s_add_i32 s13, s4, 1
	s_cmp_ge_u32 s12, s8
	s_cselect_b32 s4, s13, s4
	s_load_dwordx2 s[10:11], s[0:1], 0xa8
	s_xor_b32 s4, s4, s9
	s_sub_i32 s4, s4, s9
	s_mul_i32 s7, s4, s7
	s_ashr_i32 s8, s7, 31
	v_add_u32_e32 v9, s40, v57
	s_add_u32 s43, s14, s7
	v_mul_hi_u32 v10, s28, v9
	s_addc_u32 s44, s6, s8
	s_waitcnt lgkmcnt(0)
	s_mul_hi_u32 s6, s10, s33
	s_mul_i32 s5, s10, s5
	v_add_u32_e32 v10, v9, v10
	s_add_i32 s5, s6, s5
	s_mul_i32 s6, s11, s33
	v_lshrrev_b32_e32 v10, s29, v10
	s_add_i32 s5, s5, s6
	s_mul_i32 s6, s10, s33
	v_lshl_add_u32 v2, v1, 5, v40
	v_lshrrev_b32_e32 v3, 1, v40
	v_lshlrev_b32_e32 v6, 2, v40
	v_mul_lo_u32 v10, v10, s30
	s_add_u32 s6, s16, s6
	s_mul_i32 s4, s4, s47
	v_cmp_gt_u32_e32 vcc, 32, v2
	v_lshl_add_u32 v3, v1, 4, v3
	v_lshrrev_b32_e32 v4, 2, v40
	v_mul_lo_u32 v42, s42, v2
	v_and_b32_e32 v2, 4, v6
	v_sub_u32_e32 v9, v9, v10
	s_addc_u32 s5, s17, s5
	s_ashr_i32 s7, s4, 31
	v_lshl_add_u32 v5, v1, 3, v4
	v_lshlrev_b32_e32 v4, 7, v3
	v_lshlrev_b32_e32 v7, 2, v2
	v_mad_u64_u32 v[50:51], s[8:9], v9, s22, v[40:41]
	v_mov_b32_e32 v9, 0x1740
	s_add_u32 s45, s6, s4
	v_or3_b32 v71, v4, v7, 64
	v_and_b32_e32 v4, 12, v6
	v_lshl_add_u32 v73, v1, 6, v9
	v_lshrrev_b32_e32 v9, 3, v40
	s_addc_u32 s46, s5, s7
	v_cmp_gt_u32_e64 s[4:5], 32, v3
	v_mul_lo_u32 v44, s42, v3
	v_lshlrev_b32_e32 v8, 2, v4
	v_cmp_gt_u32_e64 s[8:9], 16, v3
	v_lshl_add_u32 v1, v1, 2, v9
	v_mul_u32_u24_e32 v9, 0xe0, v3
	v_mul_lo_u32 v52, s41, v3
	v_mul_u32_u24_e32 v3, 0xe0, v5
	s_movk_i32 s15, 0x80
	v_and_b32_e32 v56, 28, v6
	v_lshlrev_b32_e32 v69, 7, v40
	v_mov_b32_e32 v47, 0
	v_mul_lo_u32 v48, s42, v5
	s_movk_i32 s14, 0xe0
	v_or_b32_e32 v7, v9, v7
	v_add3_u32 v76, v3, v8, s15
	v_mul_lo_u32 v54, s41, v5
	v_lshlrev_b32_e32 v3, 2, v56
	v_mul_lo_u32 v58, s41, v1
	s_add_u32 s22, s0, 0xd0
	v_cmp_gt_u32_e64 s[6:7], 32, v5
	v_or_b32_e32 v70, 0x60, v69
	v_ashrrev_i32_e32 v43, 31, v42
	v_ashrrev_i32_e32 v45, 31, v44
	v_lshl_or_b32 v72, v5, 7, v8
	v_ashrrev_i32_e32 v49, 31, v48
	v_lshl_add_u32 v74, v40, 1, v73
	v_cmp_gt_u32_e64 s[10:11], 16, v5
	v_cmp_gt_u32_e64 s[12:13], 16, v1
	v_add_u32_e32 v75, 0xc0, v7
	v_ashrrev_i32_e32 v53, 31, v52
	v_ashrrev_i32_e32 v55, 31, v54
	v_mad_u32_u24 v77, v1, s14, v3
	v_ashrrev_i32_e32 v59, 31, v58
	s_addc_u32 s23, s1, 0
	v_mov_b32_e32 v6, 0xfeffffff
	s_mov_b32 s47, 0x3fb8aa3b
	s_mov_b32 s48, 0xc2ce8ed0
	;; [unrolled: 1-line block ×4, first 2 shown]
	v_lshlrev_b32_e32 v46, 2, v2
	v_lshlrev_b32_e32 v60, 2, v4
	v_mbcnt_hi_u32_b32 v51, -1, v0
	v_mov_b32_e32 v78, 0x7f800000
	v_mov_b32_e32 v68, v47
	;; [unrolled: 1-line block ×4, first 2 shown]
.LBB27_14:                              ; =>This Inner Loop Header: Depth=1
	s_mul_hi_i32 s15, s2, s42
	s_mul_i32 s14, s2, s42
	s_lshl_b64 s[14:15], s[14:15], 2
	s_add_u32 s14, s43, s14
	s_addc_u32 s15, s44, s15
	v_lshl_add_u64 v[4:5], v[42:43], 2, s[14:15]
	s_and_saveexec_b64 s[16:17], vcc
	s_cbranch_execnz .LBB27_32
; %bb.15:                               ;   in Loop: Header=BB27_14 Depth=1
	s_or_b64 exec, exec, s[16:17]
	v_lshl_add_u64 v[0:1], v[44:45], 2, s[14:15]
	s_and_saveexec_b64 s[16:17], s[4:5]
	s_cbranch_execnz .LBB27_33
.LBB27_16:                              ;   in Loop: Header=BB27_14 Depth=1
	s_or_b64 exec, exec, s[16:17]
	v_lshl_add_u64 v[2:3], v[48:49], 2, s[14:15]
	s_and_saveexec_b64 s[14:15], s[6:7]
	s_cbranch_execz .LBB27_18
.LBB27_17:                              ;   in Loop: Header=BB27_14 Depth=1
	v_mov_b32_e32 v61, v47
	v_lshl_add_u64 v[8:9], v[2:3], 0, v[60:61]
	global_load_dwordx4 v[8:11], v[8:9], off
	s_waitcnt vmcnt(0)
	ds_write_b128 v72, v[8:11]
.LBB27_18:                              ;   in Loop: Header=BB27_14 Depth=1
	s_or_b64 exec, exec, s[14:15]
	s_waitcnt lgkmcnt(0)
	s_barrier
	ds_read_b128 v[8:11], v69
	ds_read_b128 v[12:15], v63
	v_mov_b32_e32 v7, 0
	s_waitcnt lgkmcnt(0)
	;;#ASMSTART
	v_dot2_f32_f16 v7, v8, v12, v7
	;;#ASMEND
	s_nop 0
	;;#ASMSTART
	v_dot2_f32_f16 v7, v9, v13, v7
	;;#ASMEND
	s_nop 0
	;;#ASMSTART
	v_dot2_f32_f16 v7, v10, v14, v7
	;;#ASMEND
	s_nop 0
	;;#ASMSTART
	v_dot2_f32_f16 v7, v11, v15, v7
	;;#ASMEND
	ds_read_b128 v[8:11], v69 offset:16
	ds_read_b128 v[12:15], v63 offset:16
	s_waitcnt lgkmcnt(0)
	;;#ASMSTART
	v_dot2_f32_f16 v7, v8, v12, v7
	;;#ASMEND
	s_nop 0
	;;#ASMSTART
	v_dot2_f32_f16 v7, v9, v13, v7
	;;#ASMEND
	s_nop 0
	;;#ASMSTART
	v_dot2_f32_f16 v7, v10, v14, v7
	;;#ASMEND
	s_nop 0
	;;#ASMSTART
	v_dot2_f32_f16 v7, v11, v15, v7
	;;#ASMEND
	ds_read_b128 v[8:11], v69 offset:32
	ds_read_b128 v[12:15], v63 offset:32
	;; [unrolled: 18-line block ×6, first 2 shown]
	s_waitcnt lgkmcnt(0)
	;;#ASMSTART
	v_dot2_f32_f16 v7, v8, v12, v7
	;;#ASMEND
	s_nop 0
	;;#ASMSTART
	v_dot2_f32_f16 v7, v9, v13, v7
	;;#ASMEND
	s_nop 0
	;;#ASMSTART
	v_dot2_f32_f16 v7, v10, v14, v7
	;;#ASMEND
	s_nop 0
	;;#ASMSTART
	v_dot2_f32_f16 v7, v11, v15, v7
	;;#ASMEND
	s_barrier
	s_and_saveexec_b64 s[14:15], vcc
	s_cbranch_execnz .LBB27_34
; %bb.19:                               ;   in Loop: Header=BB27_14 Depth=1
	s_or_b64 exec, exec, s[14:15]
	s_and_saveexec_b64 s[14:15], s[4:5]
	s_cbranch_execnz .LBB27_35
.LBB27_20:                              ;   in Loop: Header=BB27_14 Depth=1
	s_or_b64 exec, exec, s[14:15]
	s_and_saveexec_b64 s[14:15], s[6:7]
	s_cbranch_execz .LBB27_22
.LBB27_21:                              ;   in Loop: Header=BB27_14 Depth=1
	v_mov_b32_e32 v61, v47
	v_lshl_add_u64 v[0:1], v[2:3], 0, v[60:61]
	global_load_dwordx4 v[0:3], v[0:1], off offset:112
	s_waitcnt vmcnt(0)
	ds_write_b128 v72, v[0:3]
.LBB27_22:                              ;   in Loop: Header=BB27_14 Depth=1
	s_or_b64 exec, exec, s[14:15]
	s_waitcnt lgkmcnt(0)
	s_barrier
	ds_read_b128 v[0:3], v69
	ds_read_b128 v[8:11], v63 offset:112
	v_add_u32_e32 v4, s2, v50
	s_waitcnt lgkmcnt(0)
	;;#ASMSTART
	v_dot2_f32_f16 v7, v0, v8, v7
	;;#ASMEND
	s_nop 0
	;;#ASMSTART
	v_dot2_f32_f16 v7, v1, v9, v7
	;;#ASMEND
	v_ashrrev_i32_e32 v5, 31, v4
	;;#ASMSTART
	v_dot2_f32_f16 v7, v2, v10, v7
	;;#ASMEND
	v_lshl_add_u64 v[4:5], v[4:5], 1, s[36:37]
	;;#ASMSTART
	v_dot2_f32_f16 v7, v3, v11, v7
	;;#ASMEND
	ds_read_b128 v[0:3], v69 offset:16
	ds_read_b128 v[8:11], v63 offset:128
	s_waitcnt lgkmcnt(0)
	;;#ASMSTART
	v_dot2_f32_f16 v7, v0, v8, v7
	;;#ASMEND
	s_nop 0
	;;#ASMSTART
	v_dot2_f32_f16 v7, v1, v9, v7
	;;#ASMEND
	v_xor_b32_e32 v81, 16, v51
	;;#ASMSTART
	v_dot2_f32_f16 v7, v2, v10, v7
	;;#ASMEND
	v_xor_b32_e32 v82, 8, v51
	;;#ASMSTART
	v_dot2_f32_f16 v7, v3, v11, v7
	;;#ASMEND
	ds_read_b128 v[0:3], v69 offset:32
	ds_read_b128 v[8:11], v63 offset:144
	s_waitcnt lgkmcnt(0)
	;;#ASMSTART
	v_dot2_f32_f16 v7, v0, v8, v7
	;;#ASMEND
	s_nop 0
	;;#ASMSTART
	v_dot2_f32_f16 v7, v1, v9, v7
	;;#ASMEND
	v_xor_b32_e32 v83, 4, v51
	;;#ASMSTART
	v_dot2_f32_f16 v7, v2, v10, v7
	;;#ASMEND
	v_xor_b32_e32 v84, 2, v51
	;;#ASMSTART
	v_dot2_f32_f16 v7, v3, v11, v7
	;;#ASMEND
	ds_read_b128 v[0:3], v69 offset:48
	ds_read_b128 v[8:11], v63 offset:160
	s_waitcnt lgkmcnt(0)
	;;#ASMSTART
	v_dot2_f32_f16 v7, v0, v8, v7
	;;#ASMEND
	s_nop 0
	;;#ASMSTART
	v_dot2_f32_f16 v7, v1, v9, v7
	;;#ASMEND
	v_xor_b32_e32 v85, 1, v51
	;;#ASMSTART
	v_dot2_f32_f16 v7, v2, v10, v7
	;;#ASMEND
	s_nop 0
	;;#ASMSTART
	v_dot2_f32_f16 v7, v3, v11, v7
	;;#ASMEND
	ds_read_b128 v[0:3], v69 offset:64
	ds_read_b128 v[8:11], v63 offset:176
	s_waitcnt lgkmcnt(0)
	;;#ASMSTART
	v_dot2_f32_f16 v7, v0, v8, v7
	;;#ASMEND
	s_nop 0
	;;#ASMSTART
	v_dot2_f32_f16 v7, v1, v9, v7
	;;#ASMEND
	s_nop 0
	;; [unrolled: 4-line block ×3, first 2 shown]
	;;#ASMSTART
	v_dot2_f32_f16 v7, v3, v11, v7
	;;#ASMEND
	ds_read_b128 v[0:3], v69 offset:80
	ds_read_b128 v[8:11], v63 offset:192
	s_waitcnt lgkmcnt(0)
	;;#ASMSTART
	v_dot2_f32_f16 v7, v0, v8, v7
	;;#ASMEND
	s_nop 0
	;;#ASMSTART
	v_dot2_f32_f16 v7, v1, v9, v7
	;;#ASMEND
	s_nop 0
	;; [unrolled: 4-line block ×3, first 2 shown]
	;;#ASMSTART
	v_dot2_f32_f16 v7, v3, v11, v7
	;;#ASMEND
	ds_read_b128 v[0:3], v69 offset:96
	ds_read_b128 v[8:11], v63 offset:208
	s_waitcnt lgkmcnt(0)
	;;#ASMSTART
	v_dot2_f32_f16 v7, v0, v8, v7
	;;#ASMEND
	s_nop 0
	;;#ASMSTART
	v_dot2_f32_f16 v7, v1, v9, v7
	;;#ASMEND
	v_and_b32_e32 v1, 0x60, v51
	;;#ASMSTART
	v_dot2_f32_f16 v7, v2, v10, v7
	;;#ASMEND
	v_add_u32_e32 v80, 32, v1
	;;#ASMSTART
	v_dot2_f32_f16 v7, v3, v11, v7
	;;#ASMEND
	global_load_ushort v0, v[4:5], off
	v_cmp_lt_i32_e64 s[14:15], v81, v80
	v_max_f32_e32 v2, v6, v6
	s_nop 0
	v_cndmask_b32_e64 v1, v51, v81, s[14:15]
	v_lshlrev_b32_e32 v1, 2, v1
	v_cmp_lt_i32_e64 s[14:15], v82, v80
	s_barrier
	s_waitcnt vmcnt(0)
	v_cvt_f32_f16_e32 v0, v0
	v_add_f32_e32 v0, v7, v0
	v_add_f32_e32 v3, 0x40051340, v0
	v_max_f32_e32 v2, v2, v3
	ds_bpermute_b32 v1, v1, v2
	v_cndmask_b32_e64 v3, v51, v82, s[14:15]
	v_lshlrev_b32_e32 v3, 2, v3
	v_cmp_lt_i32_e64 s[14:15], v83, v80
	s_waitcnt lgkmcnt(0)
	v_max_f32_e32 v1, v1, v1
	v_max_f32_e32 v1, v2, v1
	ds_bpermute_b32 v2, v3, v1
	v_cndmask_b32_e64 v3, v51, v83, s[14:15]
	v_lshlrev_b32_e32 v3, 2, v3
	v_cmp_lt_i32_e64 s[14:15], v84, v80
	s_waitcnt lgkmcnt(0)
	v_max_f32_e32 v2, v2, v2
	;; [unrolled: 7-line block ×3, first 2 shown]
	v_max_f32_e32 v1, v1, v2
	ds_bpermute_b32 v2, v3, v1
	v_cndmask_b32_e64 v3, v51, v85, s[14:15]
	v_lshlrev_b32_e32 v3, 2, v3
	s_mul_hi_i32 s15, s2, s41
	s_mul_i32 s14, s2, s41
	s_waitcnt lgkmcnt(0)
	v_max_f32_e32 v2, v2, v2
	v_max_f32_e32 v1, v1, v2
	ds_bpermute_b32 v2, v3, v1
	s_lshl_b64 s[16:17], s[14:15], 2
	s_add_u32 s16, s45, s16
	s_addc_u32 s17, s46, s17
	s_waitcnt lgkmcnt(0)
	v_max_f32_e32 v2, v2, v2
	v_max_f32_e32 v62, v1, v2
	v_sub_f32_e32 v0, v0, v62
	v_mul_f32_e32 v1, 0x3fb8aa3b, v0
	v_fma_f32 v2, v0, s47, -v1
	v_rndne_f32_e32 v3, v1
	v_fmac_f32_e32 v2, 0x32a5705f, v0
	v_sub_f32_e32 v1, v1, v3
	v_add_f32_e32 v1, v1, v2
	v_cvt_i32_f32_e32 v3, v3
	v_exp_f32_e32 v1, v1
	v_cmp_ngt_f32_e64 s[14:15], s48, v0
	v_ldexp_f32 v1, v1, v3
	s_nop 0
	v_cndmask_b32_e64 v1, 0, v1, s[14:15]
	v_cmp_nlt_f32_e64 s[14:15], s49, v0
	s_nop 1
	v_cndmask_b32_e64 v86, v78, v1, s[14:15]
	v_cvt_f16_f32_e32 v0, v86
	ds_write_b16 v74, v0
	s_and_saveexec_b64 s[14:15], s[8:9]
	s_cbranch_execnz .LBB27_36
; %bb.23:                               ;   in Loop: Header=BB27_14 Depth=1
	s_or_b64 exec, exec, s[14:15]
	s_and_saveexec_b64 s[14:15], s[10:11]
	s_cbranch_execnz .LBB27_37
.LBB27_24:                              ;   in Loop: Header=BB27_14 Depth=1
	s_or_b64 exec, exec, s[14:15]
	v_lshlrev_b32_e32 v64, 2, v56
	s_and_saveexec_b64 s[14:15], s[12:13]
	s_cbranch_execz .LBB27_26
.LBB27_25:                              ;   in Loop: Header=BB27_14 Depth=1
	v_lshl_add_u64 v[0:1], v[58:59], 2, s[16:17]
	v_mov_b32_e32 v65, v47
	v_lshl_add_u64 v[0:1], v[0:1], 0, v[64:65]
	global_load_dwordx4 v[0:3], v[0:1], off
	s_waitcnt vmcnt(0)
	ds_write_b128 v77, v[0:3]
.LBB27_26:                              ;   in Loop: Header=BB27_14 Depth=1
	s_or_b64 exec, exec, s[14:15]
	s_waitcnt lgkmcnt(0)
	s_barrier
	ds_read2_b64 v[20:23], v66 offset1:28
	ds_read_b128 v[36:39], v73
	ds_read_b128 v[32:35], v73 offset:16
	ds_read2_b64 v[28:31], v66 offset0:56 offset1:84
	ds_read2_b64 v[24:27], v66 offset0:112 offset1:140
	ds_read2_b64 v[16:19], v66 offset0:168 offset1:196
	ds_read2_b64 v[8:11], v66 offset0:224 offset1:252
	v_add_u32_e32 v87, 0x800, v66
	v_sub_f32_e32 v88, v6, v62
	ds_read2_b64 v[12:15], v87 offset0:24 offset1:52
	ds_read2_b64 v[4:7], v87 offset0:80 offset1:108
	;; [unrolled: 1-line block ×3, first 2 shown]
	s_or_b32 s28, s2, 16
	s_mul_hi_i32 s29, s28, s41
	s_mul_i32 s28, s28, s41
	s_lshl_b64 s[28:29], s[28:29], 2
	s_add_u32 s28, s45, s28
	v_cmp_ngt_f32_e64 s[14:15], s48, v88
	v_cmp_nlt_f32_e64 s[16:17], s49, v88
	s_addc_u32 s29, s46, s29
	s_waitcnt lgkmcnt(0)
	s_barrier
	s_and_saveexec_b64 s[38:39], s[8:9]
	s_cbranch_execnz .LBB27_38
; %bb.27:                               ;   in Loop: Header=BB27_14 Depth=1
	s_or_b64 exec, exec, s[38:39]
	s_and_saveexec_b64 s[38:39], s[10:11]
	s_cbranch_execnz .LBB27_39
.LBB27_28:                              ;   in Loop: Header=BB27_14 Depth=1
	s_or_b64 exec, exec, s[38:39]
	s_and_saveexec_b64 s[38:39], s[12:13]
	s_cbranch_execz .LBB27_30
.LBB27_29:                              ;   in Loop: Header=BB27_14 Depth=1
	v_lshl_add_u64 v[90:91], v[58:59], 2, s[28:29]
	v_mov_b32_e32 v65, v47
	v_lshl_add_u64 v[64:65], v[90:91], 0, v[64:65]
	global_load_dwordx4 v[90:93], v[64:65], off
	s_waitcnt vmcnt(0)
	ds_write_b128 v77, v[90:93]
.LBB27_30:                              ;   in Loop: Header=BB27_14 Depth=1
	s_or_b64 exec, exec, s[38:39]
	v_mul_f32_e32 v61, 0x3fb8aa3b, v88
	v_fma_f32 v64, v88, s47, -v61
	v_rndne_f32_e32 v65, v61
	v_fmac_f32_e32 v64, 0x32a5705f, v88
	v_sub_f32_e32 v61, v61, v65
	v_add_f32_e32 v61, v61, v64
	v_cvt_i32_f32_e32 v64, v65
	v_exp_f32_e32 v61, v61
	v_mul_u32_u24_sdwa v65, v36, s50 dst_sel:DWORD dst_unused:UNUSED_PAD src0_sel:WORD_0 src1_sel:DWORD
	v_pk_mul_f16 v20, v20, v65
	v_pk_mul_f16 v21, v21, v65
	v_ldexp_f32 v61, v61, v64
	v_cndmask_b32_e64 v61, 0, v61, s[14:15]
	v_cndmask_b32_e64 v61, v78, v61, s[16:17]
	v_cvt_f16_f32_e32 v64, v61
	v_mul_u32_u24_sdwa v36, v36, s50 dst_sel:DWORD dst_unused:UNUSED_PAD src0_sel:WORD_1 src1_sel:DWORD
	v_mul_u32_u24_sdwa v88, v37, s50 dst_sel:DWORD dst_unused:UNUSED_PAD src0_sel:WORD_0 src1_sel:DWORD
	v_mul_u32_u24_sdwa v37, v37, s50 dst_sel:DWORD dst_unused:UNUSED_PAD src0_sel:WORD_1 src1_sel:DWORD
	v_mul_u32_u24_e32 v64, 0x10001, v64
	v_pk_fma_f16 v20, v68, v64, v20
	v_pk_fma_f16 v21, v67, v64, v21
	v_pk_fma_f16 v20, v22, v36, v20
	v_pk_fma_f16 v21, v23, v36, v21
	v_pk_fma_f16 v20, v28, v88, v20
	v_pk_fma_f16 v21, v29, v88, v21
	v_mul_u32_u24_sdwa v89, v38, s50 dst_sel:DWORD dst_unused:UNUSED_PAD src0_sel:WORD_0 src1_sel:DWORD
	v_pk_fma_f16 v20, v30, v37, v20
	v_pk_fma_f16 v21, v31, v37, v21
	v_mul_u32_u24_sdwa v38, v38, s50 dst_sel:DWORD dst_unused:UNUSED_PAD src0_sel:WORD_1 src1_sel:DWORD
	v_pk_fma_f16 v20, v24, v89, v20
	v_pk_fma_f16 v21, v25, v89, v21
	v_mul_u32_u24_sdwa v90, v39, s50 dst_sel:DWORD dst_unused:UNUSED_PAD src0_sel:WORD_0 src1_sel:DWORD
	v_pk_fma_f16 v20, v26, v38, v20
	v_pk_fma_f16 v21, v27, v38, v21
	v_mul_u32_u24_sdwa v39, v39, s50 dst_sel:DWORD dst_unused:UNUSED_PAD src0_sel:WORD_1 src1_sel:DWORD
	v_pk_fma_f16 v16, v16, v90, v20
	v_pk_fma_f16 v17, v17, v90, v21
	;; [unrolled: 6-line block ×5, first 2 shown]
	v_mul_u32_u24_sdwa v94, v35, s50 dst_sel:DWORD dst_unused:UNUSED_PAD src0_sel:WORD_0 src1_sel:DWORD
	v_pk_fma_f16 v4, v6, v34, v4
	v_pk_fma_f16 v5, v7, v34, v5
	;; [unrolled: 1-line block ×4, first 2 shown]
	s_waitcnt lgkmcnt(0)
	s_barrier
	ds_read_b128 v[4:7], v73 offset:32
	ds_read2_b64 v[8:11], v66 offset1:28
	v_mul_u32_u24_sdwa v35, v35, s50 dst_sel:DWORD dst_unused:UNUSED_PAD src0_sel:WORD_1 src1_sel:DWORD
	v_pk_fma_f16 v12, v2, v35, v0
	v_pk_fma_f16 v13, v3, v35, v1
	s_waitcnt lgkmcnt(1)
	v_mul_u32_u24_sdwa v14, v4, s50 dst_sel:DWORD dst_unused:UNUSED_PAD src0_sel:WORD_0 src1_sel:DWORD
	s_waitcnt lgkmcnt(0)
	v_pk_fma_f16 v8, v8, v14, v12
	v_pk_fma_f16 v9, v9, v14, v13
	ds_read2_b64 v[12:15], v66 offset0:56 offset1:84
	v_mul_u32_u24_sdwa v4, v4, s50 dst_sel:DWORD dst_unused:UNUSED_PAD src0_sel:WORD_1 src1_sel:DWORD
	v_pk_fma_f16 v8, v10, v4, v8
	v_pk_fma_f16 v4, v11, v4, v9
	v_mul_u32_u24_sdwa v9, v5, s50 dst_sel:DWORD dst_unused:UNUSED_PAD src0_sel:WORD_0 src1_sel:DWORD
	s_waitcnt lgkmcnt(0)
	v_pk_fma_f16 v12, v12, v9, v8
	v_pk_fma_f16 v4, v13, v9, v4
	ds_read2_b64 v[8:11], v66 offset0:112 offset1:140
	v_mul_u32_u24_sdwa v5, v5, s50 dst_sel:DWORD dst_unused:UNUSED_PAD src0_sel:WORD_1 src1_sel:DWORD
	v_pk_fma_f16 v12, v14, v5, v12
	v_pk_fma_f16 v4, v15, v5, v4
	v_mul_u32_u24_sdwa v5, v6, s50 dst_sel:DWORD dst_unused:UNUSED_PAD src0_sel:WORD_0 src1_sel:DWORD
	s_waitcnt lgkmcnt(0)
	v_pk_fma_f16 v8, v8, v5, v12
	ds_read2_b64 v[12:15], v66 offset0:168 offset1:196
	ds_read_b128 v[0:3], v73 offset:48
	v_pk_fma_f16 v4, v9, v5, v4
	v_mul_u32_u24_sdwa v5, v6, s50 dst_sel:DWORD dst_unused:UNUSED_PAD src0_sel:WORD_1 src1_sel:DWORD
	v_pk_fma_f16 v6, v10, v5, v8
	v_pk_fma_f16 v4, v11, v5, v4
	ds_read2_b64 v[8:11], v66 offset0:224 offset1:252
	v_mul_u32_u24_sdwa v5, v7, s50 dst_sel:DWORD dst_unused:UNUSED_PAD src0_sel:WORD_0 src1_sel:DWORD
	s_waitcnt lgkmcnt(2)
	v_pk_fma_f16 v6, v12, v5, v6
	v_pk_fma_f16 v4, v13, v5, v4
	v_mul_u32_u24_sdwa v5, v7, s50 dst_sel:DWORD dst_unused:UNUSED_PAD src0_sel:WORD_1 src1_sel:DWORD
	v_pk_fma_f16 v6, v14, v5, v6
	v_pk_fma_f16 v4, v15, v5, v4
	s_waitcnt lgkmcnt(1)
	v_mul_u32_u24_sdwa v5, v0, s50 dst_sel:DWORD dst_unused:UNUSED_PAD src0_sel:WORD_0 src1_sel:DWORD
	s_waitcnt lgkmcnt(0)
	v_pk_fma_f16 v8, v8, v5, v6
	v_pk_fma_f16 v9, v9, v5, v4
	ds_read2_b64 v[4:7], v87 offset0:24 offset1:52
	v_mul_u32_u24_sdwa v0, v0, s50 dst_sel:DWORD dst_unused:UNUSED_PAD src0_sel:WORD_1 src1_sel:DWORD
	v_pk_fma_f16 v8, v10, v0, v8
	v_pk_fma_f16 v0, v11, v0, v9
	v_mul_u32_u24_sdwa v9, v1, s50 dst_sel:DWORD dst_unused:UNUSED_PAD src0_sel:WORD_0 src1_sel:DWORD
	s_waitcnt lgkmcnt(0)
	v_pk_fma_f16 v4, v4, v9, v8
	v_pk_fma_f16 v0, v5, v9, v0
	ds_read2_b64 v[8:11], v87 offset0:80 offset1:108
	v_mul_u32_u24_sdwa v1, v1, s50 dst_sel:DWORD dst_unused:UNUSED_PAD src0_sel:WORD_1 src1_sel:DWORD
	v_pk_fma_f16 v4, v6, v1, v4
	v_pk_fma_f16 v0, v7, v1, v0
	v_mul_u32_u24_sdwa v1, v2, s50 dst_sel:DWORD dst_unused:UNUSED_PAD src0_sel:WORD_0 src1_sel:DWORD
	s_waitcnt lgkmcnt(0)
	v_pk_fma_f16 v4, v8, v1, v4
	v_pk_fma_f16 v0, v9, v1, v0
	v_mul_u32_u24_sdwa v1, v2, s50 dst_sel:DWORD dst_unused:UNUSED_PAD src0_sel:WORD_1 src1_sel:DWORD
	v_pk_fma_f16 v2, v10, v1, v4
	ds_read2_b64 v[4:7], v87 offset0:136 offset1:164
	s_waitcnt lgkmcnt(0)
	s_barrier
	s_load_dword s14, s[22:23], 0x4
	v_pk_fma_f16 v0, v11, v1, v0
	v_mul_u32_u24_sdwa v1, v3, s50 dst_sel:DWORD dst_unused:UNUSED_PAD src0_sel:WORD_0 src1_sel:DWORD
	v_pk_fma_f16 v2, v4, v1, v2
	v_pk_fma_f16 v0, v5, v1, v0
	s_waitcnt lgkmcnt(0)
	s_lshl_b32 s14, s14, 5
	v_mul_u32_u24_sdwa v1, v3, s50 dst_sel:DWORD dst_unused:UNUSED_PAD src0_sel:WORD_1 src1_sel:DWORD
	s_add_i32 s2, s14, s2
	v_fmac_f32_e32 v86, v79, v61
	v_pk_fma_f16 v68, v6, v1, v2
	s_cmp_ge_i32 s2, s34
	v_pk_fma_f16 v67, v7, v1, v0
	s_cbranch_scc1 .LBB27_9
; %bb.31:                               ;   in Loop: Header=BB27_14 Depth=1
	v_mov_b32_e32 v6, v62
	v_mov_b32_e32 v79, v86
	s_branch .LBB27_14
.LBB27_32:                              ;   in Loop: Header=BB27_14 Depth=1
	global_load_dwordx4 v[0:3], v[4:5], off offset:96
	s_waitcnt vmcnt(0)
	ds_write_b128 v70, v[0:3]
	s_or_b64 exec, exec, s[16:17]
	v_lshl_add_u64 v[0:1], v[44:45], 2, s[14:15]
	s_and_saveexec_b64 s[16:17], s[4:5]
	s_cbranch_execz .LBB27_16
.LBB27_33:                              ;   in Loop: Header=BB27_14 Depth=1
	v_lshl_add_u64 v[2:3], v[0:1], 0, v[46:47]
	global_load_dwordx4 v[8:11], v[2:3], off offset:64
	s_waitcnt vmcnt(0)
	ds_write_b128 v71, v[8:11]
	s_or_b64 exec, exec, s[16:17]
	v_lshl_add_u64 v[2:3], v[48:49], 2, s[14:15]
	s_and_saveexec_b64 s[14:15], s[6:7]
	s_cbranch_execnz .LBB27_17
	s_branch .LBB27_18
.LBB27_34:                              ;   in Loop: Header=BB27_14 Depth=1
	global_load_dwordx4 v[8:11], v[4:5], off offset:208
	s_waitcnt vmcnt(0)
	ds_write_b128 v70, v[8:11]
	s_or_b64 exec, exec, s[14:15]
	s_and_saveexec_b64 s[14:15], s[4:5]
	s_cbranch_execz .LBB27_20
.LBB27_35:                              ;   in Loop: Header=BB27_14 Depth=1
	v_lshl_add_u64 v[0:1], v[0:1], 0, v[46:47]
	global_load_dwordx4 v[8:11], v[0:1], off offset:176
	s_waitcnt vmcnt(0)
	ds_write_b128 v71, v[8:11]
	s_or_b64 exec, exec, s[14:15]
	s_and_saveexec_b64 s[14:15], s[6:7]
	s_cbranch_execnz .LBB27_21
	s_branch .LBB27_22
.LBB27_36:                              ;   in Loop: Header=BB27_14 Depth=1
	v_lshl_add_u64 v[0:1], v[52:53], 2, s[16:17]
	v_lshl_add_u64 v[0:1], v[0:1], 0, v[46:47]
	global_load_dwordx4 v[0:3], v[0:1], off offset:192
	s_waitcnt vmcnt(0)
	ds_write_b128 v75, v[0:3]
	s_or_b64 exec, exec, s[14:15]
	s_and_saveexec_b64 s[14:15], s[10:11]
	s_cbranch_execz .LBB27_24
.LBB27_37:                              ;   in Loop: Header=BB27_14 Depth=1
	v_lshl_add_u64 v[0:1], v[54:55], 2, s[16:17]
	v_mov_b32_e32 v61, v47
	v_lshl_add_u64 v[0:1], v[0:1], 0, v[60:61]
	global_load_dwordx4 v[0:3], v[0:1], off offset:128
	s_waitcnt vmcnt(0)
	ds_write_b128 v76, v[0:3]
	s_or_b64 exec, exec, s[14:15]
	v_lshlrev_b32_e32 v64, 2, v56
	s_and_saveexec_b64 s[14:15], s[12:13]
	s_cbranch_execnz .LBB27_25
	s_branch .LBB27_26
.LBB27_38:                              ;   in Loop: Header=BB27_14 Depth=1
	v_lshl_add_u64 v[90:91], v[52:53], 2, s[28:29]
	v_lshl_add_u64 v[90:91], v[90:91], 0, v[46:47]
	global_load_dwordx4 v[90:93], v[90:91], off offset:192
	s_waitcnt vmcnt(0)
	ds_write_b128 v75, v[90:93]
	s_or_b64 exec, exec, s[38:39]
	s_and_saveexec_b64 s[38:39], s[10:11]
	s_cbranch_execz .LBB27_28
.LBB27_39:                              ;   in Loop: Header=BB27_14 Depth=1
	v_lshl_add_u64 v[90:91], v[54:55], 2, s[28:29]
	v_mov_b32_e32 v61, v47
	v_lshl_add_u64 v[90:91], v[90:91], 0, v[60:61]
	global_load_dwordx4 v[90:93], v[90:91], off offset:128
	s_waitcnt vmcnt(0)
	ds_write_b128 v76, v[90:93]
	s_or_b64 exec, exec, s[38:39]
	s_and_saveexec_b64 s[38:39], s[12:13]
	s_cbranch_execnz .LBB27_29
	s_branch .LBB27_30
.LBB27_40:
	v_mov_b32_e32 v1, v63
	v_add_u32_e32 v0, s40, v57
	v_cmp_gt_i32_e32 vcc, s30, v0
	s_and_saveexec_b64 s[4:5], vcc
	s_cbranch_execz .LBB27_11
.LBB27_41:
	s_load_dword s2, s[0:1], 0xd4
	s_mul_i32 s33, s33, s30
	v_add_u32_e32 v0, s33, v0
	v_mul_lo_u32 v0, v0, s31
	v_add3_u32 v0, s35, v41, v0
	s_waitcnt lgkmcnt(0)
	s_cmp_lg_u32 s2, 1
	v_mul_lo_u32 v0, s2, v0
	s_cselect_b64 s[0:1], -1, 0
	v_add_u32_e32 v0, s3, v0
	s_and_saveexec_b64 s[2:3], s[18:19]
	s_cbranch_execz .LBB27_43
; %bb.42:
	v_div_scale_f32 v4, s[4:5], v1, v1, 1.0
	v_rcp_f32_e32 v5, v4
	v_cvt_f32_f16_sdwa v9, v68 dst_sel:DWORD dst_unused:UNUSED_PAD src0_sel:WORD_1
	v_cvt_f32_f16_sdwa v11, v67 dst_sel:DWORD dst_unused:UNUSED_PAD src0_sel:WORD_1
	v_cvt_f32_f16_e32 v10, v67
	v_fma_f32 v6, -v4, v5, 1.0
	v_fmac_f32_e32 v5, v6, v5
	v_div_scale_f32 v6, vcc, 1.0, v1, 1.0
	v_mul_f32_e32 v7, v6, v5
	v_fma_f32 v8, -v4, v7, v6
	v_fmac_f32_e32 v7, v8, v5
	v_fma_f32 v4, -v4, v7, v6
	v_div_fmas_f32 v4, v4, v5, v7
	v_cvt_f32_f16_e32 v8, v68
	v_div_fixup_f32 v1, v4, v1, 1.0
	s_movk_i32 s4, 0x70
	v_cndmask_b32_e64 v4, v1, 1.0, s[0:1]
	v_mul_lo_u32 v1, v0, s4
	v_mov_b32_e32 v2, s24
	v_mov_b32_e32 v3, s25
	v_lshl_add_u32 v6, v40, 2, v1
	v_mov_b32_e32 v7, 0
	v_lshl_add_u64 v[6:7], v[6:7], 2, v[2:3]
	v_pk_mul_f32 v[2:3], v[4:5], v[8:9] op_sel_hi:[0,1]
	v_pk_mul_f32 v[4:5], v[4:5], v[10:11] op_sel_hi:[0,1]
	global_store_dwordx4 v[6:7], v[2:5], off
.LBB27_43:
	s_or_b64 exec, exec, s[2:3]
	v_cmp_eq_u32_e32 vcc, 0, v40
	s_and_b64 s[0:1], vcc, s[0:1]
	s_and_b64 exec, exec, s[0:1]
	s_cbranch_execz .LBB27_11
; %bb.44:
	v_mov_b32_e32 v2, s26
	v_mov_b32_e32 v3, s27
	v_ashrrev_i32_e32 v1, 31, v0
	v_lshl_add_u64 v[0:1], v[0:1], 3, v[2:3]
	global_store_dwordx2 v[0:1], v[62:63], off
	s_endpgm
	.section	.rodata,"a",@progbits
	.p2align	6, 0x0
	.amdhsa_kernel _ZL15flash_attn_tileILi112ELi112ELi2ELi4ELb0EEvPKcS1_S1_S1_S1_PKiPfP15HIP_vector_typeIfLj2EEffffjfiS5_IjLj3EEiiiiiiiiiiiliiliiiiil
		.amdhsa_group_segment_fixed_size 6464
		.amdhsa_private_segment_fixed_size 0
		.amdhsa_kernarg_size 464
		.amdhsa_user_sgpr_count 2
		.amdhsa_user_sgpr_dispatch_ptr 0
		.amdhsa_user_sgpr_queue_ptr 0
		.amdhsa_user_sgpr_kernarg_segment_ptr 1
		.amdhsa_user_sgpr_dispatch_id 0
		.amdhsa_user_sgpr_kernarg_preload_length 0
		.amdhsa_user_sgpr_kernarg_preload_offset 0
		.amdhsa_user_sgpr_private_segment_size 0
		.amdhsa_uses_dynamic_stack 0
		.amdhsa_enable_private_segment 0
		.amdhsa_system_sgpr_workgroup_id_x 1
		.amdhsa_system_sgpr_workgroup_id_y 1
		.amdhsa_system_sgpr_workgroup_id_z 1
		.amdhsa_system_sgpr_workgroup_info 0
		.amdhsa_system_vgpr_workitem_id 1
		.amdhsa_next_free_vgpr 95
		.amdhsa_next_free_sgpr 51
		.amdhsa_accum_offset 96
		.amdhsa_reserve_vcc 1
		.amdhsa_float_round_mode_32 0
		.amdhsa_float_round_mode_16_64 0
		.amdhsa_float_denorm_mode_32 3
		.amdhsa_float_denorm_mode_16_64 3
		.amdhsa_dx10_clamp 1
		.amdhsa_ieee_mode 1
		.amdhsa_fp16_overflow 0
		.amdhsa_tg_split 0
		.amdhsa_exception_fp_ieee_invalid_op 0
		.amdhsa_exception_fp_denorm_src 0
		.amdhsa_exception_fp_ieee_div_zero 0
		.amdhsa_exception_fp_ieee_overflow 0
		.amdhsa_exception_fp_ieee_underflow 0
		.amdhsa_exception_fp_ieee_inexact 0
		.amdhsa_exception_int_div_zero 0
	.end_amdhsa_kernel
	.section	.text._ZL15flash_attn_tileILi112ELi112ELi2ELi4ELb0EEvPKcS1_S1_S1_S1_PKiPfP15HIP_vector_typeIfLj2EEffffjfiS5_IjLj3EEiiiiiiiiiiiliiliiiiil,"axG",@progbits,_ZL15flash_attn_tileILi112ELi112ELi2ELi4ELb0EEvPKcS1_S1_S1_S1_PKiPfP15HIP_vector_typeIfLj2EEffffjfiS5_IjLj3EEiiiiiiiiiiiliiliiiiil,comdat
.Lfunc_end27:
	.size	_ZL15flash_attn_tileILi112ELi112ELi2ELi4ELb0EEvPKcS1_S1_S1_S1_PKiPfP15HIP_vector_typeIfLj2EEffffjfiS5_IjLj3EEiiiiiiiiiiiliiliiiiil, .Lfunc_end27-_ZL15flash_attn_tileILi112ELi112ELi2ELi4ELb0EEvPKcS1_S1_S1_S1_PKiPfP15HIP_vector_typeIfLj2EEffffjfiS5_IjLj3EEiiiiiiiiiiiliiliiiiil
                                        ; -- End function
	.set _ZL15flash_attn_tileILi112ELi112ELi2ELi4ELb0EEvPKcS1_S1_S1_S1_PKiPfP15HIP_vector_typeIfLj2EEffffjfiS5_IjLj3EEiiiiiiiiiiiliiliiiiil.num_vgpr, 95
	.set _ZL15flash_attn_tileILi112ELi112ELi2ELi4ELb0EEvPKcS1_S1_S1_S1_PKiPfP15HIP_vector_typeIfLj2EEffffjfiS5_IjLj3EEiiiiiiiiiiiliiliiiiil.num_agpr, 0
	.set _ZL15flash_attn_tileILi112ELi112ELi2ELi4ELb0EEvPKcS1_S1_S1_S1_PKiPfP15HIP_vector_typeIfLj2EEffffjfiS5_IjLj3EEiiiiiiiiiiiliiliiiiil.numbered_sgpr, 51
	.set _ZL15flash_attn_tileILi112ELi112ELi2ELi4ELb0EEvPKcS1_S1_S1_S1_PKiPfP15HIP_vector_typeIfLj2EEffffjfiS5_IjLj3EEiiiiiiiiiiiliiliiiiil.num_named_barrier, 0
	.set _ZL15flash_attn_tileILi112ELi112ELi2ELi4ELb0EEvPKcS1_S1_S1_S1_PKiPfP15HIP_vector_typeIfLj2EEffffjfiS5_IjLj3EEiiiiiiiiiiiliiliiiiil.private_seg_size, 0
	.set _ZL15flash_attn_tileILi112ELi112ELi2ELi4ELb0EEvPKcS1_S1_S1_S1_PKiPfP15HIP_vector_typeIfLj2EEffffjfiS5_IjLj3EEiiiiiiiiiiiliiliiiiil.uses_vcc, 1
	.set _ZL15flash_attn_tileILi112ELi112ELi2ELi4ELb0EEvPKcS1_S1_S1_S1_PKiPfP15HIP_vector_typeIfLj2EEffffjfiS5_IjLj3EEiiiiiiiiiiiliiliiiiil.uses_flat_scratch, 0
	.set _ZL15flash_attn_tileILi112ELi112ELi2ELi4ELb0EEvPKcS1_S1_S1_S1_PKiPfP15HIP_vector_typeIfLj2EEffffjfiS5_IjLj3EEiiiiiiiiiiiliiliiiiil.has_dyn_sized_stack, 0
	.set _ZL15flash_attn_tileILi112ELi112ELi2ELi4ELb0EEvPKcS1_S1_S1_S1_PKiPfP15HIP_vector_typeIfLj2EEffffjfiS5_IjLj3EEiiiiiiiiiiiliiliiiiil.has_recursion, 0
	.set _ZL15flash_attn_tileILi112ELi112ELi2ELi4ELb0EEvPKcS1_S1_S1_S1_PKiPfP15HIP_vector_typeIfLj2EEffffjfiS5_IjLj3EEiiiiiiiiiiiliiliiiiil.has_indirect_call, 0
	.section	.AMDGPU.csdata,"",@progbits
; Kernel info:
; codeLenInByte = 6060
; TotalNumSgprs: 57
; NumVgprs: 95
; NumAgprs: 0
; TotalNumVgprs: 95
; ScratchSize: 0
; MemoryBound: 0
; FloatMode: 240
; IeeeMode: 1
; LDSByteSize: 6464 bytes/workgroup (compile time only)
; SGPRBlocks: 7
; VGPRBlocks: 11
; NumSGPRsForWavesPerEU: 57
; NumVGPRsForWavesPerEU: 95
; AccumOffset: 96
; Occupancy: 5
; WaveLimiterHint : 1
; COMPUTE_PGM_RSRC2:SCRATCH_EN: 0
; COMPUTE_PGM_RSRC2:USER_SGPR: 2
; COMPUTE_PGM_RSRC2:TRAP_HANDLER: 0
; COMPUTE_PGM_RSRC2:TGID_X_EN: 1
; COMPUTE_PGM_RSRC2:TGID_Y_EN: 1
; COMPUTE_PGM_RSRC2:TGID_Z_EN: 1
; COMPUTE_PGM_RSRC2:TIDIG_COMP_CNT: 1
; COMPUTE_PGM_RSRC3_GFX90A:ACCUM_OFFSET: 23
; COMPUTE_PGM_RSRC3_GFX90A:TG_SPLIT: 0
	.section	.text._ZL33flash_attn_stream_k_fixup_uniformILi112ELi2ELi4EEvPfPK15HIP_vector_typeIfLj2EEiiiiiiS1_IjLj3EES5_S5_,"axG",@progbits,_ZL33flash_attn_stream_k_fixup_uniformILi112ELi2ELi4EEvPfPK15HIP_vector_typeIfLj2EEiiiiiiS1_IjLj3EES5_S5_,comdat
	.globl	_ZL33flash_attn_stream_k_fixup_uniformILi112ELi2ELi4EEvPfPK15HIP_vector_typeIfLj2EEiiiiiiS1_IjLj3EES5_S5_ ; -- Begin function _ZL33flash_attn_stream_k_fixup_uniformILi112ELi2ELi4EEvPfPK15HIP_vector_typeIfLj2EEiiiiiiS1_IjLj3EES5_S5_
	.p2align	8
	.type	_ZL33flash_attn_stream_k_fixup_uniformILi112ELi2ELi4EEvPfPK15HIP_vector_typeIfLj2EEiiiiiiS1_IjLj3EES5_S5_,@function
_ZL33flash_attn_stream_k_fixup_uniformILi112ELi2ELi4EEvPfPK15HIP_vector_typeIfLj2EEiiiiiiS1_IjLj3EES5_S5_: ; @_ZL33flash_attn_stream_k_fixup_uniformILi112ELi2ELi4EEvPfPK15HIP_vector_typeIfLj2EEiiiiiiS1_IjLj3EES5_S5_
; %bb.0:
	s_load_dwordx8 s[8:15], s[0:1], 0x1c
	s_load_dwordx2 s[6:7], s[0:1], 0x10
	s_load_dwordx4 s[16:19], s[0:1], 0x3c
	s_waitcnt lgkmcnt(0)
	s_mul_hi_u32 s5, s11, s2
	s_add_i32 s5, s2, s5
	s_lshr_b32 s5, s5, s12
	s_mul_i32 s11, s5, s13
	s_sub_i32 s12, s2, s11
	s_mul_hi_u32 s11, s12, s14
	s_add_i32 s11, s12, s11
	s_lshr_b32 s11, s11, s15
	s_mul_i32 s13, s11, s16
	s_sub_i32 s12, s12, s13
	;; [unrolled: 5-line block ×3, first 2 shown]
	s_lshl_b32 s12, s16, 1
	s_lshl_b32 s17, s13, 2
	s_add_i32 s12, s12, s3
	s_cmp_lt_i32 s12, s6
	s_cselect_b64 s[12:13], -1, 0
	s_add_i32 s17, s17, s4
	s_cmp_lt_i32 s17, s9
	s_cselect_b64 s[14:15], -1, 0
	s_and_b64 s[12:13], s[12:13], s[14:15]
	s_andn2_b64 vcc, exec, s[12:13]
	s_cbranch_vccnz .LBB28_6
; %bb.1:
	s_load_dwordx4 s[12:15], s[0:1], 0x0
	s_mul_i32 s0, s5, s6
	s_mul_i32 s11, s11, s9
	s_add_i32 s0, s0, s3
	s_mul_i32 s0, s0, s7
	s_add_i32 s5, s17, s11
	;; [unrolled: 2-line block ×3, first 2 shown]
	s_mulk_i32 s1, 0xe0
	s_mulk_i32 s0, 0x70
	s_add_i32 s0, s0, s1
	v_add_u32_e32 v4, s0, v0
	s_waitcnt lgkmcnt(0)
	v_mov_b32_e32 v2, s12
	v_mov_b32_e32 v3, s13
	v_ashrrev_i32_e32 v5, 31, v4
	v_lshl_add_u64 v[2:3], v[4:5], 2, v[2:3]
	global_load_dword v5, v[2:3], off
	s_mul_i32 s5, s10, s2
	s_lshl_b32 s11, s3, 2
	s_add_i32 s9, s5, s10
	s_add_i32 s0, s11, s4
	s_lshl_b32 s1, s9, 3
	s_add_i32 s0, s0, s1
	s_add_i32 s0, s0, -8
	s_ashr_i32 s1, s0, 31
	s_lshl_b64 s[0:1], s[0:1], 3
	s_add_u32 s0, s14, s0
	s_addc_u32 s1, s15, s1
	s_load_dword s12, s[0:1], 0x4
	s_add_i32 s6, s9, -2
	s_cmp_lt_i32 s6, s5
	s_cbranch_scc1 .LBB28_4
; %bb.2:
	s_lshl_b32 s6, s8, 5
	s_ashr_i32 s7, s6, 31
	s_lshl_b64 s[6:7], s[6:7], 2
	s_add_u32 s6, s14, s6
	s_addc_u32 s7, s15, s7
	s_add_i32 s2, s2, 1
	s_load_dword s0, s[0:1], 0x0
	s_mul_i32 s1, s10, s2
	s_lshl_b32 s2, s1, 3
	s_add_i32 s2, s4, s2
	s_mulk_i32 s3, 0x1c0
	s_mulk_i32 s4, 0x70
	s_lshl_b32 s8, s8, 3
	s_mulk_i32 s1, 0x380
	s_add_i32 s3, s4, s3
	s_add_i32 s2, s2, s8
	;; [unrolled: 1-line block ×4, first 2 shown]
	v_add_u32_e32 v0, s3, v0
	s_add_i32 s9, s9, -1
	s_add_i32 s2, s2, -16
	v_add_u32_e32 v0, 0xfffff900, v0
	s_waitcnt lgkmcnt(0)
	v_mov_b32_e32 v7, s0
	v_mov_b32_e32 v4, s12
	s_mov_b32 s4, 0x3fb8aa3b
	s_mov_b32 s8, 0xc2ce8ed0
	;; [unrolled: 1-line block ×3, first 2 shown]
	v_mov_b32_e32 v6, 0x7f800000
	s_mov_b32 s11, 0xc1a00000
.LBB28_3:                               ; =>This Inner Loop Header: Depth=1
	v_ashrrev_i32_e32 v1, 31, v0
	v_lshl_add_u64 v[8:9], v[0:1], 2, s[6:7]
	global_load_dword v9, v[8:9], off
	s_ashr_i32 s3, s2, 31
	s_lshl_b64 s[0:1], s[2:3], 3
	s_add_u32 s0, s14, s0
	s_addc_u32 s1, s15, s1
	s_load_dwordx2 s[0:1], s[0:1], 0x0
	v_max_f32_e32 v1, v7, v7
	s_add_i32 s9, s9, -1
	s_add_i32 s2, s2, -8
	v_add_u32_e32 v0, 0xfffffc80, v0
	s_waitcnt lgkmcnt(0)
	v_max_f32_e64 v10, s0, s0
	v_max_f32_e32 v1, v1, v10
	v_sub_f32_e32 v11, s0, v1
	v_sub_f32_e32 v10, v7, v1
	v_mul_f32_e32 v12, 0x3fb8aa3b, v11
	v_mov_b32_e32 v7, v1
	v_mul_f32_e32 v1, 0x3fb8aa3b, v10
	v_fma_f32 v15, v11, s4, -v12
	v_rndne_f32_e32 v16, v12
	v_fma_f32 v13, v10, s4, -v1
	v_rndne_f32_e32 v14, v1
	v_fmac_f32_e32 v15, 0x32a5705f, v11
	v_sub_f32_e32 v12, v12, v16
	v_fmac_f32_e32 v13, 0x32a5705f, v10
	v_sub_f32_e32 v1, v1, v14
	v_add_f32_e32 v12, v12, v15
	v_cvt_i32_f32_e32 v16, v16
	v_add_f32_e32 v1, v1, v13
	v_exp_f32_e32 v12, v12
	v_cvt_i32_f32_e32 v14, v14
	v_exp_f32_e32 v1, v1
	v_cmp_ngt_f32_e32 vcc, s8, v11
	v_ldexp_f32 v12, v12, v16
	v_mov_b32_e32 v8, s1
	v_ldexp_f32 v1, v1, v14
	v_cmp_ngt_f32_e64 s[0:1], s8, v10
	v_cndmask_b32_e32 v12, 0, v12, vcc
	v_cmp_nlt_f32_e32 vcc, s10, v11
	v_cndmask_b32_e64 v1, 0, v1, s[0:1]
	v_cmp_nlt_f32_e64 s[0:1], s10, v10
	v_cndmask_b32_e32 v12, v6, v12, vcc
	v_cmp_le_f32_e32 vcc, s11, v11
	v_cndmask_b32_e64 v1, v6, v1, s[0:1]
	v_cmp_le_f32_e64 s[0:1], s11, v10
	v_cndmask_b32_e32 v12, 0, v12, vcc
	s_cmp_le_i32 s9, s5
	v_cndmask_b32_e64 v10, 0, v1, s[0:1]
	s_waitcnt vmcnt(0)
	v_pk_mul_f32 v[8:9], v[8:9], v[12:13] op_sel_hi:[1,0]
	s_nop 0
	v_pk_fma_f32 v[4:5], v[4:5], v[10:11], v[8:9] op_sel_hi:[1,0,1]
	s_cbranch_scc0 .LBB28_3
	s_branch .LBB28_5
.LBB28_4:
	s_waitcnt lgkmcnt(0)
	v_mov_b32_e32 v4, s12
.LBB28_5:
	s_waitcnt vmcnt(0)
	v_div_scale_f32 v0, s[0:1], v4, v4, v5
	v_rcp_f32_e32 v1, v0
	v_div_scale_f32 v6, vcc, v5, v4, v5
	v_fma_f32 v7, -v0, v1, 1.0
	v_fmac_f32_e32 v1, v7, v1
	v_mul_f32_e32 v7, v6, v1
	v_fma_f32 v8, -v0, v7, v6
	v_fmac_f32_e32 v7, v8, v1
	v_fma_f32 v0, -v0, v7, v6
	v_div_fmas_f32 v0, v0, v1, v7
	v_div_fixup_f32 v0, v0, v4, v5
	global_store_dword v[2:3], v0, off
.LBB28_6:
	s_endpgm
	.section	.rodata,"a",@progbits
	.p2align	6, 0x0
	.amdhsa_kernel _ZL33flash_attn_stream_k_fixup_uniformILi112ELi2ELi4EEvPfPK15HIP_vector_typeIfLj2EEiiiiiiS1_IjLj3EES5_S5_
		.amdhsa_group_segment_fixed_size 0
		.amdhsa_private_segment_fixed_size 0
		.amdhsa_kernarg_size 76
		.amdhsa_user_sgpr_count 2
		.amdhsa_user_sgpr_dispatch_ptr 0
		.amdhsa_user_sgpr_queue_ptr 0
		.amdhsa_user_sgpr_kernarg_segment_ptr 1
		.amdhsa_user_sgpr_dispatch_id 0
		.amdhsa_user_sgpr_kernarg_preload_length 0
		.amdhsa_user_sgpr_kernarg_preload_offset 0
		.amdhsa_user_sgpr_private_segment_size 0
		.amdhsa_uses_dynamic_stack 0
		.amdhsa_enable_private_segment 0
		.amdhsa_system_sgpr_workgroup_id_x 1
		.amdhsa_system_sgpr_workgroup_id_y 1
		.amdhsa_system_sgpr_workgroup_id_z 1
		.amdhsa_system_sgpr_workgroup_info 0
		.amdhsa_system_vgpr_workitem_id 0
		.amdhsa_next_free_vgpr 17
		.amdhsa_next_free_sgpr 20
		.amdhsa_accum_offset 20
		.amdhsa_reserve_vcc 1
		.amdhsa_float_round_mode_32 0
		.amdhsa_float_round_mode_16_64 0
		.amdhsa_float_denorm_mode_32 3
		.amdhsa_float_denorm_mode_16_64 3
		.amdhsa_dx10_clamp 1
		.amdhsa_ieee_mode 1
		.amdhsa_fp16_overflow 0
		.amdhsa_tg_split 0
		.amdhsa_exception_fp_ieee_invalid_op 0
		.amdhsa_exception_fp_denorm_src 0
		.amdhsa_exception_fp_ieee_div_zero 0
		.amdhsa_exception_fp_ieee_overflow 0
		.amdhsa_exception_fp_ieee_underflow 0
		.amdhsa_exception_fp_ieee_inexact 0
		.amdhsa_exception_int_div_zero 0
	.end_amdhsa_kernel
	.section	.text._ZL33flash_attn_stream_k_fixup_uniformILi112ELi2ELi4EEvPfPK15HIP_vector_typeIfLj2EEiiiiiiS1_IjLj3EES5_S5_,"axG",@progbits,_ZL33flash_attn_stream_k_fixup_uniformILi112ELi2ELi4EEvPfPK15HIP_vector_typeIfLj2EEiiiiiiS1_IjLj3EES5_S5_,comdat
.Lfunc_end28:
	.size	_ZL33flash_attn_stream_k_fixup_uniformILi112ELi2ELi4EEvPfPK15HIP_vector_typeIfLj2EEiiiiiiS1_IjLj3EES5_S5_, .Lfunc_end28-_ZL33flash_attn_stream_k_fixup_uniformILi112ELi2ELi4EEvPfPK15HIP_vector_typeIfLj2EEiiiiiiS1_IjLj3EES5_S5_
                                        ; -- End function
	.set _ZL33flash_attn_stream_k_fixup_uniformILi112ELi2ELi4EEvPfPK15HIP_vector_typeIfLj2EEiiiiiiS1_IjLj3EES5_S5_.num_vgpr, 17
	.set _ZL33flash_attn_stream_k_fixup_uniformILi112ELi2ELi4EEvPfPK15HIP_vector_typeIfLj2EEiiiiiiS1_IjLj3EES5_S5_.num_agpr, 0
	.set _ZL33flash_attn_stream_k_fixup_uniformILi112ELi2ELi4EEvPfPK15HIP_vector_typeIfLj2EEiiiiiiS1_IjLj3EES5_S5_.numbered_sgpr, 20
	.set _ZL33flash_attn_stream_k_fixup_uniformILi112ELi2ELi4EEvPfPK15HIP_vector_typeIfLj2EEiiiiiiS1_IjLj3EES5_S5_.num_named_barrier, 0
	.set _ZL33flash_attn_stream_k_fixup_uniformILi112ELi2ELi4EEvPfPK15HIP_vector_typeIfLj2EEiiiiiiS1_IjLj3EES5_S5_.private_seg_size, 0
	.set _ZL33flash_attn_stream_k_fixup_uniformILi112ELi2ELi4EEvPfPK15HIP_vector_typeIfLj2EEiiiiiiS1_IjLj3EES5_S5_.uses_vcc, 1
	.set _ZL33flash_attn_stream_k_fixup_uniformILi112ELi2ELi4EEvPfPK15HIP_vector_typeIfLj2EEiiiiiiS1_IjLj3EES5_S5_.uses_flat_scratch, 0
	.set _ZL33flash_attn_stream_k_fixup_uniformILi112ELi2ELi4EEvPfPK15HIP_vector_typeIfLj2EEiiiiiiS1_IjLj3EES5_S5_.has_dyn_sized_stack, 0
	.set _ZL33flash_attn_stream_k_fixup_uniformILi112ELi2ELi4EEvPfPK15HIP_vector_typeIfLj2EEiiiiiiS1_IjLj3EES5_S5_.has_recursion, 0
	.set _ZL33flash_attn_stream_k_fixup_uniformILi112ELi2ELi4EEvPfPK15HIP_vector_typeIfLj2EEiiiiiiS1_IjLj3EES5_S5_.has_indirect_call, 0
	.section	.AMDGPU.csdata,"",@progbits
; Kernel info:
; codeLenInByte = 832
; TotalNumSgprs: 26
; NumVgprs: 17
; NumAgprs: 0
; TotalNumVgprs: 17
; ScratchSize: 0
; MemoryBound: 0
; FloatMode: 240
; IeeeMode: 1
; LDSByteSize: 0 bytes/workgroup (compile time only)
; SGPRBlocks: 3
; VGPRBlocks: 2
; NumSGPRsForWavesPerEU: 26
; NumVGPRsForWavesPerEU: 17
; AccumOffset: 20
; Occupancy: 8
; WaveLimiterHint : 0
; COMPUTE_PGM_RSRC2:SCRATCH_EN: 0
; COMPUTE_PGM_RSRC2:USER_SGPR: 2
; COMPUTE_PGM_RSRC2:TRAP_HANDLER: 0
; COMPUTE_PGM_RSRC2:TGID_X_EN: 1
; COMPUTE_PGM_RSRC2:TGID_Y_EN: 1
; COMPUTE_PGM_RSRC2:TGID_Z_EN: 1
; COMPUTE_PGM_RSRC2:TIDIG_COMP_CNT: 0
; COMPUTE_PGM_RSRC3_GFX90A:ACCUM_OFFSET: 4
; COMPUTE_PGM_RSRC3_GFX90A:TG_SPLIT: 0
	.section	.text._ZL33flash_attn_stream_k_fixup_generalILi112ELi2ELi4EEvPfPK15HIP_vector_typeIfLj2EEiiiiS1_IjLj3EES5_S5_S5_,"axG",@progbits,_ZL33flash_attn_stream_k_fixup_generalILi112ELi2ELi4EEvPfPK15HIP_vector_typeIfLj2EEiiiiS1_IjLj3EES5_S5_S5_,comdat
	.globl	_ZL33flash_attn_stream_k_fixup_generalILi112ELi2ELi4EEvPfPK15HIP_vector_typeIfLj2EEiiiiS1_IjLj3EES5_S5_S5_ ; -- Begin function _ZL33flash_attn_stream_k_fixup_generalILi112ELi2ELi4EEvPfPK15HIP_vector_typeIfLj2EEiiiiS1_IjLj3EES5_S5_S5_
	.p2align	8
	.type	_ZL33flash_attn_stream_k_fixup_generalILi112ELi2ELi4EEvPfPK15HIP_vector_typeIfLj2EEiiiiS1_IjLj3EES5_S5_S5_,@function
_ZL33flash_attn_stream_k_fixup_generalILi112ELi2ELi4EEvPfPK15HIP_vector_typeIfLj2EEiiiiS1_IjLj3EES5_S5_S5_: ; @_ZL33flash_attn_stream_k_fixup_generalILi112ELi2ELi4EEvPfPK15HIP_vector_typeIfLj2EEiiiiS1_IjLj3EES5_S5_S5_
; %bb.0:
	s_load_dwordx4 s[8:11], s[0:1], 0x10
	s_load_dword s22, s[0:1], 0x50
	s_mov_b32 s12, 0
	s_waitcnt lgkmcnt(0)
	s_mul_hi_i32 s13, s11, s2
	s_cmp_lg_u64 s[12:13], 0
	s_mul_i32 s5, s11, s2
	s_cbranch_scc0 .LBB29_20
; %bb.1:
	s_add_u32 s6, s22, 0
	s_addc_u32 s7, 0, 0
	s_xor_b64 s[6:7], s[6:7], 0
	v_cvt_f32_u32_e32 v1, s6
	v_cvt_f32_u32_e32 v2, s7
	s_sub_u32 s12, 0, s6
	s_subb_u32 s18, 0, s7
	v_fmamk_f32 v1, v2, 0x4f800000, v1
	v_rcp_f32_e32 v1, v1
	s_nop 0
	v_mul_f32_e32 v1, 0x5f7ffffc, v1
	v_mul_f32_e32 v2, 0x2f800000, v1
	v_trunc_f32_e32 v2, v2
	v_fmamk_f32 v1, v2, 0xcf800000, v1
	v_cvt_u32_f32_e32 v2, v2
	v_cvt_u32_f32_e32 v1, v1
	v_readfirstlane_b32 s19, v2
	v_readfirstlane_b32 s14, v1
	s_mul_i32 s15, s12, s19
	s_mul_hi_u32 s21, s12, s14
	s_mul_i32 s20, s18, s14
	s_add_i32 s15, s21, s15
	s_add_i32 s15, s15, s20
	s_mul_i32 s23, s12, s14
	s_mul_i32 s21, s14, s15
	s_mul_hi_u32 s24, s14, s23
	s_mul_hi_u32 s20, s14, s15
	s_add_u32 s21, s24, s21
	s_addc_u32 s20, 0, s20
	s_mul_hi_u32 s25, s19, s23
	s_mul_i32 s23, s19, s23
	s_add_u32 s21, s21, s23
	s_mul_hi_u32 s24, s19, s15
	s_addc_u32 s20, s20, s25
	s_addc_u32 s21, s24, 0
	s_mul_i32 s15, s19, s15
	s_add_u32 s15, s20, s15
	s_addc_u32 s20, 0, s21
	s_add_u32 s21, s14, s15
	s_cselect_b64 s[14:15], -1, 0
	s_cmp_lg_u64 s[14:15], 0
	s_addc_u32 s19, s19, s20
	s_mul_i32 s14, s12, s19
	s_mul_hi_u32 s15, s12, s21
	s_add_i32 s14, s15, s14
	s_mul_i32 s18, s18, s21
	s_add_i32 s14, s14, s18
	s_mul_i32 s12, s12, s21
	s_mul_hi_u32 s18, s19, s12
	s_mul_i32 s20, s19, s12
	s_mul_i32 s24, s21, s14
	s_mul_hi_u32 s12, s21, s12
	s_mul_hi_u32 s23, s21, s14
	s_add_u32 s12, s12, s24
	s_addc_u32 s23, 0, s23
	s_add_u32 s12, s12, s20
	s_mul_hi_u32 s15, s19, s14
	s_addc_u32 s12, s23, s18
	s_addc_u32 s15, s15, 0
	s_mul_i32 s14, s19, s14
	s_add_u32 s12, s12, s14
	s_addc_u32 s18, 0, s15
	s_add_u32 s20, s21, s12
	s_cselect_b64 s[14:15], -1, 0
	s_cmp_lg_u64 s[14:15], 0
	s_addc_u32 s18, s19, s18
	s_ashr_i32 s14, s13, 31
	s_add_u32 s12, s5, s14
	s_mov_b32 s15, s14
	s_addc_u32 s13, s13, s14
	s_xor_b64 s[12:13], s[12:13], s[14:15]
	s_mul_i32 s21, s12, s18
	s_mul_hi_u32 s23, s12, s20
	s_mul_hi_u32 s19, s12, s18
	s_add_u32 s21, s23, s21
	s_addc_u32 s19, 0, s19
	s_mul_hi_u32 s24, s13, s20
	s_mul_i32 s20, s13, s20
	s_add_u32 s20, s21, s20
	s_mul_hi_u32 s23, s13, s18
	s_addc_u32 s19, s19, s24
	s_addc_u32 s20, s23, 0
	s_mul_i32 s18, s13, s18
	s_add_u32 s23, s19, s18
	s_addc_u32 s24, 0, s20
	s_mul_i32 s18, s6, s24
	s_mul_hi_u32 s19, s6, s23
	s_add_i32 s18, s19, s18
	s_mul_i32 s19, s7, s23
	s_add_i32 s25, s18, s19
	s_sub_i32 s20, s13, s25
	s_mul_i32 s18, s6, s23
	s_sub_u32 s12, s12, s18
	s_cselect_b64 s[18:19], -1, 0
	s_cmp_lg_u64 s[18:19], 0
	s_subb_u32 s26, s20, s7
	s_sub_u32 s27, s12, s6
	s_cselect_b64 s[20:21], -1, 0
	s_cmp_lg_u64 s[20:21], 0
	s_subb_u32 s20, s26, 0
	s_cmp_ge_u32 s20, s7
	s_cselect_b32 s21, -1, 0
	s_cmp_ge_u32 s27, s6
	s_cselect_b32 s26, -1, 0
	s_cmp_eq_u32 s20, s7
	s_cselect_b32 s20, s26, s21
	s_add_u32 s21, s23, 1
	s_addc_u32 s26, s24, 0
	s_add_u32 s27, s23, 2
	s_addc_u32 s28, s24, 0
	s_cmp_lg_u32 s20, 0
	s_cselect_b32 s20, s27, s21
	s_cselect_b32 s21, s28, s26
	s_cmp_lg_u64 s[18:19], 0
	s_subb_u32 s13, s13, s25
	s_cmp_ge_u32 s13, s7
	s_cselect_b32 s18, -1, 0
	s_cmp_ge_u32 s12, s6
	s_cselect_b32 s6, -1, 0
	s_cmp_eq_u32 s13, s7
	s_cselect_b32 s6, s6, s18
	s_cmp_lg_u32 s6, 0
	s_cselect_b32 s7, s21, s24
	s_cselect_b32 s6, s20, s23
	s_xor_b64 s[12:13], s[14:15], 0
	s_xor_b64 s[6:7], s[6:7], s[12:13]
	s_sub_u32 s6, s6, s12
	s_load_dwordx4 s[12:15], s[0:1], 0x44
	s_cbranch_execnz .LBB29_3
.LBB29_2:
	v_cvt_f32_u32_e32 v1, s22
	s_sub_i32 s6, 0, s22
	v_rcp_iflag_f32_e32 v1, v1
	s_nop 0
	v_mul_f32_e32 v1, 0x4f7ffffe, v1
	v_cvt_u32_f32_e32 v1, v1
	s_nop 0
	v_readfirstlane_b32 s7, v1
	s_mul_i32 s6, s6, s7
	s_mul_hi_u32 s6, s7, s6
	s_add_i32 s7, s7, s6
	s_mul_hi_u32 s6, s5, s7
	s_waitcnt lgkmcnt(0)
	s_mul_i32 s15, s6, s22
	s_sub_i32 s5, s5, s15
	s_add_i32 s7, s6, 1
	s_sub_i32 s15, s5, s22
	s_cmp_ge_u32 s5, s22
	s_cselect_b32 s6, s7, s6
	s_cselect_b32 s5, s15, s5
	s_add_i32 s7, s6, 1
	s_cmp_ge_u32 s5, s22
	s_cselect_b32 s6, s7, s6
.LBB29_3:
	s_add_i32 s5, s2, 1
	s_mul_hi_i32 s21, s11, s5
	s_mov_b32 s20, 0
	s_cmp_lg_u64 s[20:21], 0
	s_mul_i32 s5, s11, s5
	s_cbranch_scc0 .LBB29_21
; %bb.4:
	s_add_u32 s16, s22, 0
	s_addc_u32 s17, 0, 0
	s_xor_b64 s[18:19], s[16:17], 0
	v_cvt_f32_u32_e32 v1, s18
	v_cvt_f32_u32_e32 v2, s19
	s_sub_u32 s7, 0, s18
	s_waitcnt lgkmcnt(0)
	s_subb_u32 s15, 0, s19
	v_fmamk_f32 v1, v2, 0x4f800000, v1
	v_rcp_f32_e32 v1, v1
	s_nop 0
	v_mul_f32_e32 v1, 0x5f7ffffc, v1
	v_mul_f32_e32 v2, 0x2f800000, v1
	v_trunc_f32_e32 v2, v2
	v_fmamk_f32 v1, v2, 0xcf800000, v1
	v_cvt_u32_f32_e32 v2, v2
	v_cvt_u32_f32_e32 v1, v1
	v_readfirstlane_b32 s20, v2
	v_readfirstlane_b32 s23, v1
	s_mul_i32 s24, s7, s20
	s_mul_hi_u32 s26, s7, s23
	s_mul_i32 s25, s15, s23
	s_add_i32 s24, s26, s24
	s_add_i32 s24, s24, s25
	s_mul_i32 s27, s7, s23
	s_mul_i32 s26, s23, s24
	s_mul_hi_u32 s28, s23, s27
	s_mul_hi_u32 s25, s23, s24
	s_add_u32 s26, s28, s26
	s_addc_u32 s25, 0, s25
	s_mul_hi_u32 s29, s20, s27
	s_mul_i32 s27, s20, s27
	s_add_u32 s26, s26, s27
	s_mul_hi_u32 s28, s20, s24
	s_addc_u32 s25, s25, s29
	s_addc_u32 s26, s28, 0
	s_mul_i32 s24, s20, s24
	s_add_u32 s24, s25, s24
	s_addc_u32 s26, 0, s26
	s_add_u32 s23, s23, s24
	s_cselect_b64 s[24:25], -1, 0
	s_cmp_lg_u64 s[24:25], 0
	s_addc_u32 s20, s20, s26
	s_mul_i32 s24, s7, s20
	s_mul_hi_u32 s25, s7, s23
	s_add_i32 s24, s25, s24
	s_mul_i32 s15, s15, s23
	s_add_i32 s24, s24, s15
	s_mul_i32 s7, s7, s23
	s_mul_hi_u32 s25, s20, s7
	s_mul_i32 s26, s20, s7
	s_mul_i32 s28, s23, s24
	s_mul_hi_u32 s7, s23, s7
	s_mul_hi_u32 s27, s23, s24
	s_add_u32 s7, s7, s28
	s_addc_u32 s27, 0, s27
	s_add_u32 s7, s7, s26
	s_mul_hi_u32 s15, s20, s24
	s_addc_u32 s7, s27, s25
	s_addc_u32 s15, s15, 0
	s_mul_i32 s24, s20, s24
	s_add_u32 s7, s7, s24
	s_addc_u32 s15, 0, s15
	s_add_u32 s7, s23, s7
	s_cselect_b64 s[24:25], -1, 0
	s_cmp_lg_u64 s[24:25], 0
	s_addc_u32 s15, s20, s15
	s_ashr_i32 s24, s21, 31
	s_add_u32 s20, s5, s24
	s_mov_b32 s25, s24
	s_addc_u32 s21, s21, s24
	s_xor_b64 s[20:21], s[20:21], s[24:25]
	s_mul_i32 s26, s20, s15
	s_mul_hi_u32 s27, s20, s7
	s_mul_hi_u32 s23, s20, s15
	s_add_u32 s26, s27, s26
	s_addc_u32 s23, 0, s23
	s_mul_hi_u32 s28, s21, s7
	s_mul_i32 s7, s21, s7
	s_add_u32 s7, s26, s7
	s_mul_hi_u32 s27, s21, s15
	s_addc_u32 s7, s23, s28
	s_addc_u32 s23, s27, 0
	s_mul_i32 s15, s21, s15
	s_add_u32 s7, s7, s15
	s_addc_u32 s15, 0, s23
	s_mul_i32 s23, s18, s15
	s_mul_hi_u32 s26, s18, s7
	s_add_i32 s23, s26, s23
	s_mul_i32 s26, s19, s7
	s_add_i32 s23, s23, s26
	s_sub_i32 s28, s21, s23
	s_mul_i32 s26, s18, s7
	s_sub_u32 s20, s20, s26
	s_cselect_b64 s[26:27], -1, 0
	s_cmp_lg_u64 s[26:27], 0
	s_subb_u32 s30, s28, s19
	s_sub_u32 s31, s20, s18
	s_cselect_b64 s[28:29], -1, 0
	s_cmp_lg_u64 s[28:29], 0
	s_subb_u32 s28, s30, 0
	s_cmp_ge_u32 s28, s19
	s_cselect_b32 s29, -1, 0
	s_cmp_ge_u32 s31, s18
	s_cselect_b32 s30, -1, 0
	s_cmp_eq_u32 s28, s19
	s_cselect_b32 s28, s30, s29
	s_add_u32 s29, s7, 1
	s_addc_u32 s30, s15, 0
	s_add_u32 s31, s7, 2
	s_addc_u32 s33, s15, 0
	s_cmp_lg_u32 s28, 0
	s_cselect_b32 s28, s31, s29
	s_cselect_b32 s29, s33, s30
	s_cmp_lg_u64 s[26:27], 0
	s_subb_u32 s21, s21, s23
	s_cmp_ge_u32 s21, s19
	s_cselect_b32 s23, -1, 0
	s_cmp_ge_u32 s20, s18
	s_cselect_b32 s18, -1, 0
	s_cmp_eq_u32 s21, s19
	s_cselect_b32 s18, s18, s23
	s_cmp_lg_u32 s18, 0
	s_cselect_b32 s19, s29, s15
	s_cselect_b32 s18, s28, s7
	s_xor_b64 s[20:21], s[24:25], 0
	s_xor_b64 s[18:19], s[18:19], s[20:21]
	s_sub_u32 s18, s18, s20
	s_cbranch_execnz .LBB29_6
.LBB29_5:
	v_cvt_f32_u32_e32 v1, s22
	s_sub_i32 s7, 0, s22
	v_rcp_iflag_f32_e32 v1, v1
	s_nop 0
	v_mul_f32_e32 v1, 0x4f7ffffe, v1
	v_cvt_u32_f32_e32 v1, v1
	s_waitcnt lgkmcnt(0)
	v_readfirstlane_b32 s15, v1
	s_mul_i32 s7, s7, s15
	s_mul_hi_u32 s7, s15, s7
	s_add_i32 s15, s15, s7
	s_mul_hi_u32 s7, s5, s15
	s_mul_i32 s16, s7, s22
	s_sub_i32 s5, s5, s16
	s_add_i32 s15, s7, 1
	s_sub_i32 s16, s5, s22
	s_cmp_ge_u32 s5, s22
	s_cselect_b32 s7, s15, s7
	s_cselect_b32 s5, s16, s5
	s_add_i32 s15, s7, 1
	s_cmp_ge_u32 s5, s22
	s_cselect_b32 s18, s15, s7
.LBB29_6:
	s_cmp_eq_u32 s6, s18
	s_waitcnt lgkmcnt(0)
	s_mul_hi_u32 s5, s6, s12
	s_cselect_b64 s[16:17], -1, 0
	s_add_i32 s5, s5, s6
	s_lshr_b32 s7, s5, s13
	s_mul_i32 s5, s7, s14
	s_cmp_eq_u32 s5, s6
	s_mul_hi_u32 s5, s18, s12
	s_cselect_b64 s[20:21], -1, 0
	s_add_i32 s5, s5, s18
	s_lshr_b32 s5, s5, s13
	s_cmp_eq_u32 s7, s5
	s_mul_i32 s5, s5, s14
	s_cselect_b64 s[24:25], -1, 0
	s_cmp_lg_u32 s5, s18
	s_cselect_b64 s[18:19], -1, 0
	s_and_b64 s[18:19], s[24:25], s[18:19]
	s_or_b64 s[16:17], s[16:17], s[20:21]
	s_or_b64 s[16:17], s[16:17], s[18:19]
	s_and_b64 vcc, exec, s[16:17]
	s_cbranch_vccnz .LBB29_23
; %bb.7:
	s_load_dwordx8 s[24:31], s[0:1], 0x20
	s_load_dword s5, s[0:1], 0x40
	s_waitcnt lgkmcnt(0)
	s_mul_hi_u32 s15, s6, s24
	s_add_i32 s15, s15, s6
	s_lshr_b32 s20, s15, s25
	s_mul_i32 s15, s20, s26
	s_sub_i32 s15, s6, s15
	s_mul_hi_u32 s16, s15, s27
	s_add_i32 s16, s15, s16
	s_lshr_b32 s21, s16, s28
	s_mul_i32 s16, s21, s29
	s_sub_i32 s15, s15, s16
	;; [unrolled: 5-line block ×3, first 2 shown]
	s_mul_hi_u32 s15, s5, s12
	s_add_i32 s5, s5, s15
	s_lshr_b32 s23, s5, s13
	s_lshl_b32 s5, s23, 1
	s_lshl_b32 s24, s16, 2
	s_add_i32 s5, s5, s3
	s_cmp_lt_i32 s5, s8
	s_cselect_b64 s[16:17], -1, 0
	s_add_i32 s24, s24, s4
	s_cmp_lt_i32 s24, s10
	s_cselect_b64 s[18:19], -1, 0
	s_and_b64 s[16:17], s[16:17], s[18:19]
	s_andn2_b64 vcc, exec, s[16:17]
	s_cbranch_vccnz .LBB29_23
; %bb.8:
	s_load_dwordx4 s[16:19], s[0:1], 0x0
	s_mov_b32 s0, 0
	s_lshl_b32 s15, s3, 2
	s_lshl_b32 s26, s22, 5
	s_mov_b32 s27, s0
	s_add_i32 s15, s15, s4
	s_lshl_b64 s[4:5], s[26:27], 2
	s_waitcnt lgkmcnt(0)
	s_add_u32 s4, s18, s4
	s_mul_i32 s1, s20, s8
	s_addc_u32 s5, s19, s5
	s_mul_i32 s21, s21, s10
	s_add_i32 s1, s1, s3
	s_mul_i32 s1, s1, s9
	s_add_i32 s3, s24, s21
	;; [unrolled: 2-line block ×3, first 2 shown]
	s_mulk_i32 s8, 0xe0
	s_mulk_i32 s1, 0x70
	s_add_i32 s8, s8, s1
	v_add_u32_e32 v4, s8, v0
	v_mov_b32_e32 v2, s16
	v_mov_b32_e32 v3, s17
	v_ashrrev_i32_e32 v5, 31, v4
	v_lshl_add_u64 v[2:3], v[4:5], 2, v[2:3]
	global_load_dword v1, v[2:3], off
	v_cvt_f32_u32_e32 v4, s22
	s_lshl_b32 s1, s2, 3
	s_add_i32 s8, s15, s1
	s_ashr_i32 s9, s8, 31
	s_lshl_b64 s[8:9], s[8:9], 3
	v_rcp_iflag_f32_e32 v4, v4
	s_add_u32 s8, s18, s8
	s_addc_u32 s9, s19, s9
	s_load_dwordx2 s[8:9], s[8:9], 0x0
	v_mul_f32_e32 v4, 0x4f7ffffe, v4
	v_cvt_u32_f32_e32 v7, v4
	s_mul_i32 s1, s15, 0x70
	s_add_i32 s21, s2, -1
	v_add_u32_e32 v6, s1, v0
	s_waitcnt lgkmcnt(0)
	v_mov_b32_e32 v0, s9
	v_mov_b32_e32 v9, s8
	s_mov_b32 s10, 0x3fb8aa3b
	s_mov_b32 s20, 0xc2ce8ed0
	;; [unrolled: 1-line block ×4, first 2 shown]
	v_mov_b32_e32 v8, 0x7f800000
	s_mul_hi_i32 s1, s21, s11
	s_cmp_lg_u64 s[0:1], 0
	s_mul_i32 s16, s21, s11
	s_cbranch_scc0 .LBB29_19
.LBB29_9:
	s_add_u32 s2, s22, 0
	s_addc_u32 s3, 0, 0
	s_xor_b64 s[2:3], s[2:3], 0
	v_cvt_f32_u32_e32 v4, s2
	v_cvt_f32_u32_e32 v5, s3
	s_sub_u32 s17, 0, s2
	s_subb_u32 s25, 0, s3
	v_fmac_f32_e32 v4, 0x4f800000, v5
	v_rcp_f32_e32 v4, v4
	s_nop 0
	v_mul_f32_e32 v4, 0x5f7ffffc, v4
	v_mul_f32_e32 v5, 0x2f800000, v4
	v_trunc_f32_e32 v5, v5
	v_fmac_f32_e32 v4, 0xcf800000, v5
	v_cvt_u32_f32_e32 v5, v5
	v_cvt_u32_f32_e32 v4, v4
	v_readfirstlane_b32 s26, v5
	v_readfirstlane_b32 s8, v4
	s_mul_i32 s9, s17, s26
	s_mul_hi_u32 s28, s17, s8
	s_mul_i32 s27, s25, s8
	s_add_i32 s9, s28, s9
	s_mul_i32 s29, s17, s8
	s_add_i32 s9, s9, s27
	s_mul_i32 s28, s8, s9
	s_mul_hi_u32 s30, s8, s29
	s_mul_hi_u32 s27, s8, s9
	s_add_u32 s28, s30, s28
	s_addc_u32 s27, 0, s27
	s_mul_hi_u32 s31, s26, s29
	s_mul_i32 s29, s26, s29
	s_add_u32 s28, s28, s29
	s_mul_hi_u32 s30, s26, s9
	s_addc_u32 s27, s27, s31
	s_addc_u32 s28, s30, 0
	s_mul_i32 s9, s26, s9
	s_add_u32 s9, s27, s9
	s_addc_u32 s27, 0, s28
	s_add_u32 s28, s8, s9
	s_cselect_b64 s[8:9], -1, 0
	s_cmp_lg_u64 s[8:9], 0
	s_addc_u32 s26, s26, s27
	s_mul_i32 s8, s17, s26
	s_mul_hi_u32 s9, s17, s28
	s_add_i32 s8, s9, s8
	s_mul_i32 s25, s25, s28
	s_add_i32 s8, s8, s25
	s_mul_i32 s17, s17, s28
	s_mul_hi_u32 s25, s26, s17
	s_mul_i32 s27, s26, s17
	s_mul_i32 s30, s28, s8
	s_mul_hi_u32 s17, s28, s17
	s_mul_hi_u32 s29, s28, s8
	s_add_u32 s17, s17, s30
	s_addc_u32 s29, 0, s29
	s_add_u32 s17, s17, s27
	s_mul_hi_u32 s9, s26, s8
	s_addc_u32 s17, s29, s25
	s_addc_u32 s9, s9, 0
	s_mul_i32 s8, s26, s8
	s_add_u32 s8, s17, s8
	s_addc_u32 s17, 0, s9
	s_add_u32 s25, s28, s8
	s_cselect_b64 s[8:9], -1, 0
	s_cmp_lg_u64 s[8:9], 0
	s_addc_u32 s17, s26, s17
	s_ashr_i32 s8, s1, 31
	s_add_u32 s26, s16, s8
	s_mov_b32 s9, s8
	s_addc_u32 s27, s1, s8
	s_xor_b64 s[26:27], s[26:27], s[8:9]
	s_mul_i32 s28, s26, s17
	s_mul_hi_u32 s29, s26, s25
	s_mul_hi_u32 s1, s26, s17
	s_add_u32 s28, s29, s28
	s_addc_u32 s1, 0, s1
	s_mul_hi_u32 s30, s27, s25
	s_mul_i32 s25, s27, s25
	s_add_u32 s25, s28, s25
	s_mul_hi_u32 s29, s27, s17
	s_addc_u32 s1, s1, s30
	s_addc_u32 s25, s29, 0
	s_mul_i32 s17, s27, s17
	s_add_u32 s1, s1, s17
	s_addc_u32 s17, 0, s25
	s_mul_i32 s25, s2, s17
	s_mul_hi_u32 s28, s2, s1
	s_add_i32 s25, s28, s25
	s_mul_i32 s28, s3, s1
	s_add_i32 s25, s25, s28
	s_sub_i32 s30, s27, s25
	s_mul_i32 s28, s2, s1
	s_sub_u32 s26, s26, s28
	s_cselect_b64 s[28:29], -1, 0
	s_cmp_lg_u64 s[28:29], 0
	s_subb_u32 s33, s30, s3
	s_sub_u32 s34, s26, s2
	s_cselect_b64 s[30:31], -1, 0
	s_cmp_lg_u64 s[30:31], 0
	s_subb_u32 s30, s33, 0
	s_cmp_ge_u32 s30, s3
	s_cselect_b32 s31, -1, 0
	s_cmp_ge_u32 s34, s2
	s_cselect_b32 s33, -1, 0
	s_cmp_eq_u32 s30, s3
	s_cselect_b32 s30, s33, s31
	s_add_u32 s31, s1, 1
	s_addc_u32 s33, s17, 0
	s_add_u32 s34, s1, 2
	s_addc_u32 s35, s17, 0
	s_cmp_lg_u32 s30, 0
	s_cselect_b32 s30, s34, s31
	s_cselect_b32 s31, s35, s33
	s_cmp_lg_u64 s[28:29], 0
	s_subb_u32 s25, s27, s25
	s_cmp_ge_u32 s25, s3
	s_cselect_b32 s27, -1, 0
	s_cmp_ge_u32 s26, s2
	s_cselect_b32 s2, -1, 0
	s_cmp_eq_u32 s25, s3
	s_cselect_b32 s2, s2, s27
	s_cmp_lg_u32 s2, 0
	s_cselect_b32 s3, s31, s17
	s_cselect_b32 s2, s30, s1
	s_xor_b64 s[8:9], s[8:9], 0
	s_xor_b64 s[2:3], s[2:3], s[8:9]
	s_sub_u32 s8, s2, s8
	s_cbranch_execnz .LBB29_11
.LBB29_10:
	s_sub_i32 s1, 0, s22
	v_readfirstlane_b32 s2, v7
	s_mul_i32 s1, s1, s2
	s_mul_hi_u32 s1, s2, s1
	s_add_i32 s2, s2, s1
	s_mul_hi_u32 s1, s16, s2
	s_mul_i32 s3, s1, s22
	s_sub_i32 s3, s16, s3
	s_add_i32 s2, s1, 1
	s_sub_i32 s8, s3, s22
	s_cmp_ge_u32 s3, s22
	s_cselect_b32 s1, s2, s1
	s_cselect_b32 s3, s8, s3
	s_add_i32 s2, s1, 1
	s_cmp_ge_u32 s3, s22
	s_cselect_b32 s8, s2, s1
.LBB29_11:
	s_cmp_lg_u32 s6, s8
	s_cbranch_scc0 .LBB29_15
; %bb.12:
	s_add_i32 s1, s21, s22
	s_lshl_b32 s1, s1, 3
	s_add_i32 s2, s1, s15
	s_mov_b32 s3, s0
	s_lshl_b64 s[2:3], s[2:3], 3
	s_add_u32 s16, s18, s2
	s_mul_hi_u32 s1, s8, s12
	s_addc_u32 s17, s19, s3
	s_add_i32 s1, s1, s8
	s_lshr_b32 s1, s1, s13
	s_mul_i32 s2, s1, s14
	s_cmp_eq_u32 s2, s8
	s_cselect_b64 s[2:3], -1, 0
	s_cmp_lt_u32 s1, s7
	s_cselect_b64 s[26:27], -1, 0
	s_or_b64 s[26:27], s[26:27], s[2:3]
	s_mov_b64 s[2:3], -1
	s_and_b64 vcc, exec, s[26:27]
	s_mov_b32 s1, s21
	s_mov_b32 s25, s6
	s_cbranch_vccnz .LBB29_14
; %bb.13:
	s_add_i32 s1, s21, -1
	s_mov_b64 s[2:3], 0
	s_mov_b32 s25, s8
.LBB29_14:
	s_mul_i32 s8, s21, 0x380
	v_add_u32_e32 v4, s8, v6
	v_ashrrev_i32_e32 v5, 31, v4
	v_lshl_add_u64 v[4:5], v[4:5], 2, s[4:5]
	global_load_dword v5, v[4:5], off
	s_load_dwordx2 s[8:9], s[16:17], 0x0
	v_max_f32_e32 v4, v9, v9
	s_waitcnt lgkmcnt(0)
	v_max_f32_e64 v10, s8, s8
	v_max_f32_e32 v10, v4, v10
	v_sub_f32_e32 v11, v9, v10
	v_sub_f32_e32 v13, s8, v10
	v_mul_f32_e32 v4, 0x3fb8aa3b, v11
	v_mul_f32_e32 v12, 0x3fb8aa3b, v13
	v_fma_f32 v14, v11, s10, -v4
	v_rndne_f32_e32 v15, v4
	v_fma_f32 v16, v13, s10, -v12
	v_rndne_f32_e32 v17, v12
	v_fmac_f32_e32 v14, 0x32a5705f, v11
	v_sub_f32_e32 v4, v4, v15
	v_fmac_f32_e32 v16, 0x32a5705f, v13
	v_sub_f32_e32 v12, v12, v17
	v_add_f32_e32 v4, v4, v14
	v_cvt_i32_f32_e32 v15, v15
	v_add_f32_e32 v12, v12, v16
	v_exp_f32_e32 v14, v4
	v_cvt_i32_f32_e32 v17, v17
	v_exp_f32_e32 v12, v12
	v_cmp_ngt_f32_e32 vcc, s20, v11
	v_ldexp_f32 v14, v14, v15
	v_mov_b32_e32 v4, s9
	v_ldexp_f32 v12, v12, v17
	v_cndmask_b32_e32 v14, 0, v14, vcc
	v_cmp_ngt_f32_e32 vcc, s20, v13
	s_nop 1
	v_cndmask_b32_e32 v12, 0, v12, vcc
	v_cmp_nlt_f32_e32 vcc, s23, v11
	s_nop 1
	v_cndmask_b32_e32 v14, v8, v14, vcc
	v_cmp_nlt_f32_e32 vcc, s23, v13
	s_nop 1
	v_cndmask_b32_e32 v15, v8, v12, vcc
	v_cmp_le_f32_e32 vcc, s24, v11
	s_nop 1
	v_cndmask_b32_e32 v12, 0, v14, vcc
	v_cmp_le_f32_e32 vcc, s24, v13
	s_nop 1
	v_cndmask_b32_e32 v14, 0, v15, vcc
	s_waitcnt vmcnt(0)
	v_pk_mul_f32 v[4:5], v[4:5], v[14:15] op_sel_hi:[1,0]
	s_nop 0
	v_pk_fma_f32 v[4:5], v[0:1], v[12:13], v[4:5] op_sel_hi:[1,0,1]
	s_cbranch_execz .LBB29_16
	s_branch .LBB29_17
.LBB29_15:
                                        ; implicit-def: $vgpr4_vgpr5
                                        ; implicit-def: $sgpr2_sgpr3
                                        ; implicit-def: $vgpr10
                                        ; implicit-def: $sgpr1
                                        ; implicit-def: $sgpr25
.LBB29_16:
	s_add_i32 s1, s21, -1
	s_mov_b64 s[2:3], 0
	s_mov_b32 s25, s6
	v_mov_b32_e32 v10, v9
	s_waitcnt vmcnt(0)
	v_mov_b64_e32 v[4:5], v[0:1]
.LBB29_17:
	s_andn2_b64 vcc, exec, s[2:3]
	s_cbranch_vccz .LBB29_22
; %bb.18:
	s_mov_b32 s6, s25
	s_mov_b32 s21, s1
	v_mov_b32_e32 v9, v10
	s_waitcnt vmcnt(0)
	v_mov_b64_e32 v[0:1], v[4:5]
	s_mul_hi_i32 s1, s21, s11
	s_cmp_lg_u64 s[0:1], 0
	s_mul_i32 s16, s21, s11
	s_cbranch_scc1 .LBB29_9
.LBB29_19:
                                        ; implicit-def: $sgpr8_sgpr9
	s_branch .LBB29_10
.LBB29_20:
                                        ; implicit-def: $sgpr6_sgpr7
	s_load_dwordx4 s[12:15], s[0:1], 0x44
	s_branch .LBB29_2
.LBB29_21:
                                        ; implicit-def: $sgpr18_sgpr19
	s_branch .LBB29_5
.LBB29_22:
	v_div_scale_f32 v0, s[0:1], v4, v4, v5
	s_waitcnt vmcnt(0)
	v_rcp_f32_e32 v1, v0
	v_div_scale_f32 v6, vcc, v5, v4, v5
	v_fma_f32 v7, -v0, v1, 1.0
	v_fmac_f32_e32 v1, v7, v1
	v_mul_f32_e32 v7, v6, v1
	v_fma_f32 v8, -v0, v7, v6
	v_fmac_f32_e32 v7, v8, v1
	v_fma_f32 v0, -v0, v7, v6
	v_div_fmas_f32 v0, v0, v1, v7
	v_div_fixup_f32 v0, v0, v4, v5
	global_store_dword v[2:3], v0, off
.LBB29_23:
	s_endpgm
	.section	.rodata,"a",@progbits
	.p2align	6, 0x0
	.amdhsa_kernel _ZL33flash_attn_stream_k_fixup_generalILi112ELi2ELi4EEvPfPK15HIP_vector_typeIfLj2EEiiiiS1_IjLj3EES5_S5_S5_
		.amdhsa_group_segment_fixed_size 0
		.amdhsa_private_segment_fixed_size 0
		.amdhsa_kernarg_size 336
		.amdhsa_user_sgpr_count 2
		.amdhsa_user_sgpr_dispatch_ptr 0
		.amdhsa_user_sgpr_queue_ptr 0
		.amdhsa_user_sgpr_kernarg_segment_ptr 1
		.amdhsa_user_sgpr_dispatch_id 0
		.amdhsa_user_sgpr_kernarg_preload_length 0
		.amdhsa_user_sgpr_kernarg_preload_offset 0
		.amdhsa_user_sgpr_private_segment_size 0
		.amdhsa_uses_dynamic_stack 0
		.amdhsa_enable_private_segment 0
		.amdhsa_system_sgpr_workgroup_id_x 1
		.amdhsa_system_sgpr_workgroup_id_y 1
		.amdhsa_system_sgpr_workgroup_id_z 1
		.amdhsa_system_sgpr_workgroup_info 0
		.amdhsa_system_vgpr_workitem_id 0
		.amdhsa_next_free_vgpr 18
		.amdhsa_next_free_sgpr 36
		.amdhsa_accum_offset 20
		.amdhsa_reserve_vcc 1
		.amdhsa_float_round_mode_32 0
		.amdhsa_float_round_mode_16_64 0
		.amdhsa_float_denorm_mode_32 3
		.amdhsa_float_denorm_mode_16_64 3
		.amdhsa_dx10_clamp 1
		.amdhsa_ieee_mode 1
		.amdhsa_fp16_overflow 0
		.amdhsa_tg_split 0
		.amdhsa_exception_fp_ieee_invalid_op 0
		.amdhsa_exception_fp_denorm_src 0
		.amdhsa_exception_fp_ieee_div_zero 0
		.amdhsa_exception_fp_ieee_overflow 0
		.amdhsa_exception_fp_ieee_underflow 0
		.amdhsa_exception_fp_ieee_inexact 0
		.amdhsa_exception_int_div_zero 0
	.end_amdhsa_kernel
	.section	.text._ZL33flash_attn_stream_k_fixup_generalILi112ELi2ELi4EEvPfPK15HIP_vector_typeIfLj2EEiiiiS1_IjLj3EES5_S5_S5_,"axG",@progbits,_ZL33flash_attn_stream_k_fixup_generalILi112ELi2ELi4EEvPfPK15HIP_vector_typeIfLj2EEiiiiS1_IjLj3EES5_S5_S5_,comdat
.Lfunc_end29:
	.size	_ZL33flash_attn_stream_k_fixup_generalILi112ELi2ELi4EEvPfPK15HIP_vector_typeIfLj2EEiiiiS1_IjLj3EES5_S5_S5_, .Lfunc_end29-_ZL33flash_attn_stream_k_fixup_generalILi112ELi2ELi4EEvPfPK15HIP_vector_typeIfLj2EEiiiiS1_IjLj3EES5_S5_S5_
                                        ; -- End function
	.set _ZL33flash_attn_stream_k_fixup_generalILi112ELi2ELi4EEvPfPK15HIP_vector_typeIfLj2EEiiiiS1_IjLj3EES5_S5_S5_.num_vgpr, 18
	.set _ZL33flash_attn_stream_k_fixup_generalILi112ELi2ELi4EEvPfPK15HIP_vector_typeIfLj2EEiiiiS1_IjLj3EES5_S5_S5_.num_agpr, 0
	.set _ZL33flash_attn_stream_k_fixup_generalILi112ELi2ELi4EEvPfPK15HIP_vector_typeIfLj2EEiiiiS1_IjLj3EES5_S5_S5_.numbered_sgpr, 36
	.set _ZL33flash_attn_stream_k_fixup_generalILi112ELi2ELi4EEvPfPK15HIP_vector_typeIfLj2EEiiiiS1_IjLj3EES5_S5_S5_.num_named_barrier, 0
	.set _ZL33flash_attn_stream_k_fixup_generalILi112ELi2ELi4EEvPfPK15HIP_vector_typeIfLj2EEiiiiS1_IjLj3EES5_S5_S5_.private_seg_size, 0
	.set _ZL33flash_attn_stream_k_fixup_generalILi112ELi2ELi4EEvPfPK15HIP_vector_typeIfLj2EEiiiiS1_IjLj3EES5_S5_S5_.uses_vcc, 1
	.set _ZL33flash_attn_stream_k_fixup_generalILi112ELi2ELi4EEvPfPK15HIP_vector_typeIfLj2EEiiiiS1_IjLj3EES5_S5_S5_.uses_flat_scratch, 0
	.set _ZL33flash_attn_stream_k_fixup_generalILi112ELi2ELi4EEvPfPK15HIP_vector_typeIfLj2EEiiiiS1_IjLj3EES5_S5_S5_.has_dyn_sized_stack, 0
	.set _ZL33flash_attn_stream_k_fixup_generalILi112ELi2ELi4EEvPfPK15HIP_vector_typeIfLj2EEiiiiS1_IjLj3EES5_S5_S5_.has_recursion, 0
	.set _ZL33flash_attn_stream_k_fixup_generalILi112ELi2ELi4EEvPfPK15HIP_vector_typeIfLj2EEiiiiS1_IjLj3EES5_S5_S5_.has_indirect_call, 0
	.section	.AMDGPU.csdata,"",@progbits
; Kernel info:
; codeLenInByte = 2944
; TotalNumSgprs: 42
; NumVgprs: 18
; NumAgprs: 0
; TotalNumVgprs: 18
; ScratchSize: 0
; MemoryBound: 0
; FloatMode: 240
; IeeeMode: 1
; LDSByteSize: 0 bytes/workgroup (compile time only)
; SGPRBlocks: 5
; VGPRBlocks: 2
; NumSGPRsForWavesPerEU: 42
; NumVGPRsForWavesPerEU: 18
; AccumOffset: 20
; Occupancy: 8
; WaveLimiterHint : 0
; COMPUTE_PGM_RSRC2:SCRATCH_EN: 0
; COMPUTE_PGM_RSRC2:USER_SGPR: 2
; COMPUTE_PGM_RSRC2:TRAP_HANDLER: 0
; COMPUTE_PGM_RSRC2:TGID_X_EN: 1
; COMPUTE_PGM_RSRC2:TGID_Y_EN: 1
; COMPUTE_PGM_RSRC2:TGID_Z_EN: 1
; COMPUTE_PGM_RSRC2:TIDIG_COMP_CNT: 0
; COMPUTE_PGM_RSRC3_GFX90A:ACCUM_OFFSET: 4
; COMPUTE_PGM_RSRC3_GFX90A:TG_SPLIT: 0
	.section	.text._ZL15flash_attn_tileILi112ELi112ELi1ELi4ELb0EEvPKcS1_S1_S1_S1_PKiPfP15HIP_vector_typeIfLj2EEffffjfiS5_IjLj3EEiiiiiiiiiiiliiliiiiil,"axG",@progbits,_ZL15flash_attn_tileILi112ELi112ELi1ELi4ELb0EEvPKcS1_S1_S1_S1_PKiPfP15HIP_vector_typeIfLj2EEffffjfiS5_IjLj3EEiiiiiiiiiiiliiliiiiil,comdat
	.globl	_ZL15flash_attn_tileILi112ELi112ELi1ELi4ELb0EEvPKcS1_S1_S1_S1_PKiPfP15HIP_vector_typeIfLj2EEffffjfiS5_IjLj3EEiiiiiiiiiiiliiliiiiil ; -- Begin function _ZL15flash_attn_tileILi112ELi112ELi1ELi4ELb0EEvPKcS1_S1_S1_S1_PKiPfP15HIP_vector_typeIfLj2EEffffjfiS5_IjLj3EEiiiiiiiiiiiliiliiiiil
	.p2align	8
	.type	_ZL15flash_attn_tileILi112ELi112ELi1ELi4ELb0EEvPKcS1_S1_S1_S1_PKiPfP15HIP_vector_typeIfLj2EEffffjfiS5_IjLj3EEiiiiiiiiiiiliiliiiiil,@function
_ZL15flash_attn_tileILi112ELi112ELi1ELi4ELb0EEvPKcS1_S1_S1_S1_PKiPfP15HIP_vector_typeIfLj2EEffffjfiS5_IjLj3EEiiiiiiiiiiiliiliiiiil: ; @_ZL15flash_attn_tileILi112ELi112ELi1ELi4ELb0EEvPKcS1_S1_S1_S1_PKiPfP15HIP_vector_typeIfLj2EEffffjfiS5_IjLj3EEiiiiiiiiiiiliiliiiiil
; %bb.0:
	s_load_dwordx4 s[24:27], s[0:1], 0x5c
	s_load_dwordx2 s[28:29], s[0:1], 0x80
	s_mov_b64 s[30:31], 0
	s_waitcnt lgkmcnt(0)
	s_ashr_i32 s5, s27, 31
	s_lshr_b32 s5, s5, 30
	s_add_i32 s5, s27, s5
	s_ashr_i32 s5, s5, 2
	v_cvt_f32_u32_e32 v1, s5
	s_sub_i32 s6, 0, s5
	v_rcp_iflag_f32_e32 v1, v1
	s_nop 0
	v_mul_f32_e32 v1, 0x4f7ffffe, v1
	v_cvt_u32_f32_e32 v1, v1
	s_nop 0
	v_readfirstlane_b32 s7, v1
	s_mul_i32 s6, s6, s7
	s_mul_hi_u32 s6, s7, s6
	s_add_i32 s7, s7, s6
	s_mul_hi_u32 s6, s4, s7
	s_mul_i32 s7, s6, s5
	s_sub_i32 s7, s4, s7
	s_add_i32 s8, s6, 1
	s_sub_i32 s9, s7, s5
	s_cmp_ge_u32 s7, s5
	s_cselect_b32 s6, s8, s6
	s_cselect_b32 s7, s9, s7
	s_add_i32 s8, s6, 1
	s_cmp_ge_u32 s7, s5
	s_cselect_b32 s33, s8, s6
	s_abs_i32 s5, s29
	v_cvt_f32_u32_e32 v1, s5
	s_sub_i32 s8, 0, s5
	s_abs_i32 s7, s27
	s_lshl_b32 s6, s4, 2
	v_rcp_iflag_f32_e32 v1, v1
	s_xor_b32 s4, s27, s29
	s_ashr_i32 s4, s4, 31
	v_mul_f32_e32 v1, 0x4f7ffffe, v1
	v_cvt_u32_f32_e32 v1, v1
	s_nop 0
	v_readfirstlane_b32 s9, v1
	s_mul_i32 s8, s8, s9
	s_mul_hi_u32 s8, s9, s8
	s_add_i32 s9, s9, s8
	s_mul_hi_u32 s8, s7, s9
	s_mul_i32 s9, s8, s5
	s_sub_i32 s7, s7, s9
	s_add_i32 s10, s8, 1
	s_sub_i32 s9, s7, s5
	s_cmp_ge_u32 s7, s5
	s_cselect_b32 s8, s10, s8
	s_cselect_b32 s7, s9, s7
	s_add_i32 s9, s8, 1
	s_cmp_ge_u32 s7, s5
	s_cselect_b32 s5, s9, s8
	s_xor_b32 s5, s5, s4
	s_sub_i32 s35, s5, s4
	s_abs_i32 s34, s35
	v_cvt_f32_u32_e32 v1, s34
	s_load_dwordx16 s[8:23], s[0:1], 0x0
	s_load_dwordx2 s[4:5], s[0:1], 0xb8
	s_mul_i32 s7, s33, s27
	v_rcp_iflag_f32_e32 v1, v1
	s_waitcnt lgkmcnt(0)
	s_cmp_eq_u64 s[14:15], 0
	v_mul_f32_e32 v1, 0x4f7ffffe, v1
	v_cvt_u32_f32_e32 v1, v1
	s_nop 0
	v_readfirstlane_b32 s37, v1
	s_cbranch_scc1 .LBB30_2
; %bb.1:
	s_abs_i32 s4, s4
	v_cvt_f32_u32_e32 v1, s4
	s_sub_i32 s38, 0, s4
	s_abs_i32 s36, s33
	s_ashr_i32 s29, s33, 31
	v_rcp_iflag_f32_e32 v1, v1
	s_load_dwordx2 s[30:31], s[0:1], 0xc8
	v_mul_f32_e32 v1, 0x4f7ffffe, v1
	v_cvt_u32_f32_e32 v1, v1
	s_nop 0
	v_readfirstlane_b32 s39, v1
	s_mul_i32 s38, s38, s39
	s_mul_hi_u32 s38, s39, s38
	s_add_i32 s39, s39, s38
	s_mul_hi_u32 s38, s36, s39
	s_mul_i32 s38, s38, s4
	s_sub_i32 s36, s36, s38
	s_sub_i32 s38, s36, s4
	s_cmp_ge_u32 s36, s4
	s_cselect_b32 s36, s38, s36
	s_sub_i32 s38, s36, s4
	s_cmp_ge_u32 s36, s4
	s_cselect_b32 s4, s38, s36
	s_xor_b32 s4, s4, s29
	s_sub_i32 s4, s4, s29
	s_ashr_i32 s29, s4, 31
	s_waitcnt lgkmcnt(0)
	s_mul_hi_u32 s36, s30, s4
	s_mul_i32 s29, s30, s29
	s_mul_i32 s31, s31, s4
	s_add_i32 s29, s36, s29
	s_add_i32 s29, s29, s31
	s_mul_i32 s4, s30, s4
	s_add_u32 s30, s14, s4
	s_addc_u32 s31, s15, s29
.LBB30_2:
	v_bfe_u32 v1, v0, 10, 10
	v_and_b32_e32 v40, 0x3ff, v0
	s_movk_i32 s4, 0xe0
	v_mov_b32_e32 v0, 0x1040
	s_sub_i32 s29, s6, s7
	v_cmp_gt_u32_e64 s[14:15], 28, v40
	v_mad_u32_u24 v66, v1, s4, v0
	v_lshlrev_b32_e32 v67, 3, v40
	v_and_b32_e32 v65, 3, v1
	v_lshrrev_b32_e32 v41, 2, v1
	s_and_saveexec_b64 s[6:7], s[14:15]
	s_cbranch_execz .LBB30_4
; %bb.3:
	s_load_dwordx4 s[40:43], s[0:1], 0x70
	s_waitcnt lgkmcnt(0)
	s_mul_i32 s4, s33, s42
	s_ashr_i32 s39, s4, 31
	s_mul_i32 s36, s29, s41
	s_add_u32 s4, s8, s4
	s_addc_u32 s9, s9, s39
	s_ashr_i32 s39, s36, 31
	s_add_u32 s8, s4, s36
	s_mov_b32 s38, s41
	s_addc_u32 s9, s9, s39
	s_ashr_i32 s39, s41, 31
	s_lshr_b64 s[42:43], s[38:39], 2
	v_mad_u64_u32 v[2:3], s[42:43], s42, v65, 0
	v_mov_b32_e32 v0, v3
	s_lshr_b32 s4, s39, 2
	v_mad_u64_u32 v[4:5], s[38:39], s4, v65, v[0:1]
	v_add_u32_e32 v0, s2, v41
	v_mov_b32_e32 v3, v4
	v_mul_hi_u32 v4, s24, v0
	v_add_u32_e32 v4, v0, v4
	v_lshrrev_b32_e32 v4, s25, v4
	s_ashr_i32 s41, s40, 31
	v_mul_lo_u32 v4, v4, s26
	v_lshl_add_u64 v[2:3], v[2:3], 2, s[8:9]
	s_lshr_b64 s[8:9], s[40:41], 2
	v_sub_u32_e32 v6, v0, v4
	v_mad_u64_u32 v[4:5], s[8:9], s8, v6, 0
	v_mov_b32_e32 v0, v5
	s_lshr_b32 s4, s41, 2
	v_mad_u64_u32 v[6:7], s[8:9], s4, v6, v[0:1]
	v_mov_b32_e32 v5, v6
	v_lshl_add_u64 v[2:3], v[4:5], 2, v[2:3]
	v_lshlrev_b32_e32 v4, 4, v40
	v_mov_b32_e32 v5, 0
	v_lshl_add_u64 v[2:3], v[2:3], 0, v[4:5]
	global_load_dwordx4 v[2:5], v[2:3], off
	s_load_dword s4, s[0:1], 0x40
	v_add_u32_e32 v0, v66, v67
	s_waitcnt vmcnt(0) lgkmcnt(0)
	v_fma_mixlo_f16 v6, s4, v2, 0
	v_mov_b32_e32 v2, v5
	v_pk_mul_f32 v[2:3], s[4:5], v[2:3] op_sel_hi:[0,1]
	v_cvt_pk_f16_f32 v2, v2, v3
	v_fma_mixlo_f16 v4, s4, v4, 0
	v_and_b32_e32 v5, 0xffff, v6
	v_lshlrev_b32_e32 v3, 16, v2
	v_and_b32_e32 v2, 0xffff0000, v2
	v_and_b32_e32 v4, 0xffff, v4
	v_or_b32_e32 v2, v2, v5
	v_or3_b32 v3, v3, v4, 0
	v_or3_b32 v2, 0, 0, v2
	ds_write_b64 v0, v[2:3]
.LBB30_4:
	s_or_b64 exec, exec, s[6:7]
	s_cmp_eq_u64 s[18:19], 0
	s_waitcnt lgkmcnt(0)
	s_barrier
	s_cbranch_scc1 .LBB30_6
; %bb.5:
	s_load_dword s4, s[0:1], 0xd0
	s_mov_b32 s7, 0
	s_waitcnt lgkmcnt(0)
	s_mul_i32 s4, s4, s33
	s_add_i32 s6, s4, s2
	s_lshl_b64 s[6:7], s[6:7], 2
	s_add_u32 s6, s18, s6
	s_addc_u32 s7, s19, s7
	s_load_dword s28, s[6:7], 0x0
.LBB30_6:
	s_lshl_b32 s36, s3, 5
	s_waitcnt lgkmcnt(0)
	s_cmp_lt_i32 s36, s28
	v_mbcnt_lo_u32_b32 v0, -1, 0
	s_cbranch_scc1 .LBB30_11
; %bb.7:
	v_mbcnt_hi_u32_b32 v51, -1, v0
	v_and_b32_e32 v2, 0x60, v51
	v_add_u32_e32 v81, 32, v2
	v_xor_b32_e32 v82, 16, v51
	v_xor_b32_e32 v83, 8, v51
	;; [unrolled: 1-line block ×5, first 2 shown]
	s_cbranch_execz .LBB30_12
; %bb.8:
	v_mov_b32_e32 v68, 0
	v_mov_b32_e32 v87, 0
	;; [unrolled: 1-line block ×4, first 2 shown]
.LBB30_9:
	v_cmp_lt_i32_e32 vcc, v82, v81
	s_cmp_lg_u64 s[16:17], 0
	s_cselect_b64 s[4:5], -1, 0
	v_cndmask_b32_e32 v0, v51, v82, vcc
	v_lshlrev_b32_e32 v0, 2, v0
	ds_bpermute_b32 v0, v0, v87
	v_cmp_lt_i32_e32 vcc, v83, v81
	s_cmp_eq_u32 s3, 0
	s_cselect_b64 s[6:7], -1, 0
	v_cndmask_b32_e32 v1, v51, v83, vcc
	v_lshlrev_b32_e32 v1, 2, v1
	s_waitcnt lgkmcnt(0)
	v_add_f32_e32 v0, v87, v0
	ds_bpermute_b32 v1, v1, v0
	v_cmp_lt_i32_e32 vcc, v84, v81
	s_and_b64 s[4:5], s[6:7], s[4:5]
	s_waitcnt lgkmcnt(0)
	v_add_f32_e32 v0, v0, v1
	v_cndmask_b32_e32 v2, v51, v84, vcc
	v_lshlrev_b32_e32 v2, 2, v2
	ds_bpermute_b32 v1, v2, v0
	v_cmp_lt_i32_e32 vcc, v85, v81
	s_waitcnt lgkmcnt(0)
	v_add_f32_e32 v0, v0, v1
	v_cndmask_b32_e32 v2, v51, v85, vcc
	v_lshlrev_b32_e32 v2, 2, v2
	ds_bpermute_b32 v1, v2, v0
	v_cmp_lt_i32_e32 vcc, v86, v81
	v_add_u32_e32 v2, s29, v65
	s_waitcnt lgkmcnt(0)
	v_add_f32_e32 v0, v0, v1
	v_cndmask_b32_e32 v3, v51, v86, vcc
	v_lshlrev_b32_e32 v3, 2, v3
	ds_bpermute_b32 v1, v3, v0
	s_and_b64 vcc, exec, s[4:5]
	s_waitcnt lgkmcnt(0)
	v_add_f32_e32 v65, v0, v1
	s_cbranch_vccz .LBB30_31
; %bb.10:
	v_ashrrev_i32_e32 v3, 31, v2
	v_lshl_add_u64 v[0:1], v[2:3], 2, s[16:17]
	global_load_dword v1, v[0:1], off
	v_max_f32_e32 v0, v64, v64
	s_mov_b32 s4, 0x3fb8aa3b
	s_mov_b32 s5, 0xc2ce8ed0
	s_waitcnt vmcnt(0)
	v_max_f32_e32 v3, v1, v1
	v_max_f32_e32 v0, v0, v3
	v_sub_f32_e32 v3, v64, v0
	v_sub_f32_e32 v1, v1, v0
	v_mul_f32_e32 v4, 0x3fb8aa3b, v3
	v_mul_f32_e32 v5, 0x3fb8aa3b, v1
	v_fma_f32 v6, v3, s4, -v4
	v_rndne_f32_e32 v7, v4
	v_fma_f32 v8, v1, s4, -v5
	v_rndne_f32_e32 v9, v5
	v_fmac_f32_e32 v6, 0x32a5705f, v3
	v_sub_f32_e32 v4, v4, v7
	v_fmac_f32_e32 v8, 0x32a5705f, v1
	v_sub_f32_e32 v5, v5, v9
	v_add_f32_e32 v4, v4, v6
	v_cvt_i32_f32_e32 v7, v7
	v_add_f32_e32 v5, v5, v8
	v_exp_f32_e32 v4, v4
	v_cvt_i32_f32_e32 v9, v9
	v_exp_f32_e32 v5, v5
	v_cmp_ngt_f32_e32 vcc, s5, v3
	v_ldexp_f32 v4, v4, v7
	s_mov_b32 s4, 0x42b17218
	v_ldexp_f32 v5, v5, v9
	v_cndmask_b32_e32 v4, 0, v4, vcc
	v_cmp_ngt_f32_e32 vcc, s5, v1
	v_mov_b32_e32 v6, 0x7f800000
	s_nop 0
	v_cndmask_b32_e32 v5, 0, v5, vcc
	v_cmp_nlt_f32_e32 vcc, s4, v3
	s_nop 1
	v_cndmask_b32_e32 v3, v6, v4, vcc
	v_cvt_f16_f32_e32 v4, v3
	v_cmp_nlt_f32_e32 vcc, s4, v1
	s_nop 1
	v_cndmask_b32_e32 v1, v6, v5, vcc
	v_fmac_f32_e32 v1, v65, v3
	v_mul_u32_u24_e32 v3, 0x10001, v4
	v_pk_mul_f16 v69, v69, v3
	v_pk_mul_f16 v68, v68, v3
	v_mov_b64_e32 v[64:65], v[0:1]
	s_branch .LBB30_32
.LBB30_11:
                                        ; implicit-def: $vgpr51
                                        ; implicit-def: $vgpr81
                                        ; implicit-def: $vgpr82
                                        ; implicit-def: $vgpr83
                                        ; implicit-def: $vgpr84
                                        ; implicit-def: $vgpr85
                                        ; implicit-def: $vgpr86
.LBB30_12:
	s_load_dwordx2 s[6:7], s[0:1], 0x8c
	s_load_dwordx4 s[40:43], s[0:1], 0x98
	s_sub_i32 s4, 0, s34
	s_mul_i32 s4, s4, s37
	s_ashr_i32 s44, s5, 1
	s_ashr_i32 s5, s33, 31
	s_mul_hi_u32 s4, s37, s4
	s_waitcnt lgkmcnt(0)
	s_ashr_i32 s38, s6, 2
	s_mul_hi_u32 s6, s40, s33
	s_mul_i32 s39, s40, s5
	s_abs_i32 s18, s29
	s_add_i32 s37, s37, s4
	s_add_i32 s6, s6, s39
	s_mul_i32 s39, s41, s33
	s_mul_hi_u32 s4, s18, s37
	s_ashr_i32 s19, s29, 31
	s_ashr_i32 s35, s35, 31
	s_ashr_i32 s37, s42, 2
	s_add_i32 s6, s6, s39
	s_mul_i32 s39, s40, s33
	s_add_u32 s10, s10, s39
	s_addc_u32 s6, s11, s6
	s_xor_b32 s11, s19, s35
	s_mul_i32 s19, s4, s34
	s_sub_i32 s18, s18, s19
	s_add_i32 s19, s4, 1
	s_sub_i32 s35, s18, s34
	s_cmp_ge_u32 s18, s34
	s_cselect_b32 s4, s19, s4
	s_cselect_b32 s18, s35, s18
	s_add_i32 s19, s4, 1
	s_cmp_ge_u32 s18, s34
	s_cselect_b32 s4, s19, s4
	s_load_dwordx2 s[8:9], s[0:1], 0xa8
	s_xor_b32 s4, s4, s11
	s_sub_i32 s4, s4, s11
	s_mul_i32 s7, s4, s7
	v_lshrrev_b32_e32 v2, 1, v40
	v_lshlrev_b32_e32 v6, 2, v40
	s_ashr_i32 s11, s7, 31
	v_lshl_add_u32 v3, v1, 5, v40
	v_lshl_add_u32 v5, v1, 4, v2
	v_and_b32_e32 v4, 4, v6
	s_add_u32 s39, s10, s7
	v_cmp_gt_u32_e32 vcc, 32, v3
	v_mul_lo_u32 v46, s38, v3
	v_lshlrev_b32_e32 v3, 7, v5
	v_lshlrev_b32_e32 v9, 2, v4
	s_addc_u32 s40, s6, s11
	s_waitcnt lgkmcnt(0)
	s_mul_hi_u32 s6, s8, s33
	s_mul_i32 s5, s8, s5
	v_or3_b32 v73, v3, v9, 64
	v_add_u32_e32 v3, s2, v41
	s_add_i32 s5, s6, s5
	s_mul_i32 s6, s9, s33
	v_mul_hi_u32 v10, s24, v3
	s_add_i32 s5, s5, s6
	s_mul_i32 s6, s8, s33
	v_add_u32_e32 v10, v3, v10
	s_add_u32 s6, s12, s6
	s_mul_i32 s4, s4, s43
	v_lshrrev_b32_e32 v10, s25, v10
	s_addc_u32 s5, s13, s5
	s_ashr_i32 s7, s4, 31
	v_mul_lo_u32 v10, v10, s26
	s_add_u32 s41, s6, s4
	v_sub_u32_e32 v3, v3, v10
	s_addc_u32 s42, s5, s7
	v_mad_u64_u32 v[50:51], s[6:7], v3, s44, v[40:41]
	v_mov_b32_e32 v3, 0x13c0
	v_lshrrev_b32_e32 v2, 2, v40
	v_lshl_add_u32 v74, v1, 6, v3
	v_lshrrev_b32_e32 v3, 3, v40
	v_lshl_add_u32 v7, v1, 3, v2
	v_lshl_add_u32 v1, v1, 2, v3
	v_mul_u32_u24_e32 v3, 0xe0, v5
	v_and_b32_e32 v2, 12, v6
	v_or_b32_e32 v3, v3, v9
	v_lshlrev_b32_e32 v8, 2, v2
	v_add_u32_e32 v76, 0xc0, v3
	v_mul_u32_u24_e32 v3, 0xe0, v7
	s_movk_i32 s11, 0x80
	v_lshl_or_b32 v70, v7, 7, v8
	v_add3_u32 v77, v3, v8, s11
	v_and_b32_e32 v8, 28, v6
	v_mov_b32_e32 v43, 0
	v_mul_lo_u32 v44, s38, v7
	v_lshlrev_b32_e32 v71, 7, v40
	v_mul_lo_u32 v48, s38, v5
	v_mul_lo_u32 v52, s37, v1
	s_movk_i32 s10, 0xe0
	v_mul_lo_u32 v54, s37, v5
	v_mul_lo_u32 v56, s37, v7
	v_lshlrev_b32_e32 v3, 2, v8
	s_add_u32 s18, s0, 0xd0
	v_lshlrev_b32_e32 v58, 2, v2
	v_cmp_gt_u32_e64 s[4:5], 32, v5
	v_ashrrev_i32_e32 v45, 31, v44
	v_or_b32_e32 v72, 0x60, v71
	v_ashrrev_i32_e32 v47, 31, v46
	v_ashrrev_i32_e32 v49, 31, v48
	v_lshl_add_u32 v75, v40, 1, v74
	v_cmp_gt_u32_e64 s[6:7], 16, v5
	v_cmp_gt_u32_e64 s[8:9], 16, v7
	v_ashrrev_i32_e32 v53, 31, v52
	v_ashrrev_i32_e32 v55, 31, v54
	v_ashrrev_i32_e32 v57, 31, v56
	v_mad_u32_u24 v78, v1, s10, v3
	s_addc_u32 s19, s1, 0
	v_mov_b32_e32 v6, 0xfeffffff
	s_mov_b32 s43, 0x3fb8aa3b
	s_mov_b32 s44, 0xc2ce8ed0
	;; [unrolled: 1-line block ×4, first 2 shown]
	v_lshlrev_b32_e32 v42, 2, v8
	v_lshlrev_b32_e32 v60, 2, v4
	v_mov_b32_e32 v62, v58
	v_mov_b32_e32 v63, v43
	v_mbcnt_hi_u32_b32 v51, -1, v0
	v_mov_b32_e32 v79, 0x7f800000
	v_mov_b32_e32 v69, v43
	v_mov_b32_e32 v68, v43
	v_mov_b32_e32 v80, v43
.LBB30_13:                              ; =>This Inner Loop Header: Depth=1
	s_mul_hi_i32 s11, s36, s38
	s_mul_i32 s10, s36, s38
	s_lshl_b64 s[10:11], s[10:11], 2
	s_add_u32 s10, s39, s10
	s_addc_u32 s11, s40, s11
	v_lshl_add_u64 v[2:3], v[46:47], 2, s[10:11]
	s_and_saveexec_b64 s[12:13], vcc
	s_cbranch_execz .LBB30_15
; %bb.14:                               ;   in Loop: Header=BB30_13 Depth=1
	global_load_dwordx4 v[8:11], v[2:3], off offset:96
	s_waitcnt vmcnt(0)
	ds_write_b128 v72, v[8:11]
.LBB30_15:                              ;   in Loop: Header=BB30_13 Depth=1
	s_or_b64 exec, exec, s[12:13]
	v_lshl_add_u64 v[0:1], v[48:49], 2, s[10:11]
	s_and_saveexec_b64 s[12:13], s[4:5]
	s_cbranch_execz .LBB30_17
; %bb.16:                               ;   in Loop: Header=BB30_13 Depth=1
	v_mov_b32_e32 v61, v43
	v_lshl_add_u64 v[4:5], v[0:1], 0, v[60:61]
	global_load_dwordx4 v[8:11], v[4:5], off offset:64
	s_waitcnt vmcnt(0)
	ds_write_b128 v73, v[8:11]
.LBB30_17:                              ;   in Loop: Header=BB30_13 Depth=1
	s_or_b64 exec, exec, s[12:13]
	v_lshl_add_u64 v[4:5], v[44:45], 2, s[10:11]
	v_lshl_add_u64 v[4:5], v[4:5], 0, v[62:63]
	global_load_dwordx4 v[8:11], v[4:5], off
	v_mov_b32_e32 v7, 0
	s_waitcnt vmcnt(0)
	ds_write_b128 v70, v[8:11]
	s_waitcnt lgkmcnt(0)
	s_barrier
	ds_read_b128 v[8:11], v71
	ds_read_b128 v[12:15], v66
	s_waitcnt lgkmcnt(0)
	;;#ASMSTART
	v_dot2_f32_f16 v7, v8, v12, v7
	;;#ASMEND
	s_nop 0
	;;#ASMSTART
	v_dot2_f32_f16 v7, v9, v13, v7
	;;#ASMEND
	s_nop 0
	;;#ASMSTART
	v_dot2_f32_f16 v7, v10, v14, v7
	;;#ASMEND
	s_nop 0
	;;#ASMSTART
	v_dot2_f32_f16 v7, v11, v15, v7
	;;#ASMEND
	ds_read_b128 v[8:11], v71 offset:16
	ds_read_b128 v[12:15], v66 offset:16
	s_waitcnt lgkmcnt(0)
	;;#ASMSTART
	v_dot2_f32_f16 v7, v8, v12, v7
	;;#ASMEND
	s_nop 0
	;;#ASMSTART
	v_dot2_f32_f16 v7, v9, v13, v7
	;;#ASMEND
	s_nop 0
	;;#ASMSTART
	v_dot2_f32_f16 v7, v10, v14, v7
	;;#ASMEND
	s_nop 0
	;;#ASMSTART
	v_dot2_f32_f16 v7, v11, v15, v7
	;;#ASMEND
	ds_read_b128 v[8:11], v71 offset:32
	ds_read_b128 v[12:15], v66 offset:32
	s_waitcnt lgkmcnt(0)
	;;#ASMSTART
	v_dot2_f32_f16 v7, v8, v12, v7
	;;#ASMEND
	s_nop 0
	;;#ASMSTART
	v_dot2_f32_f16 v7, v9, v13, v7
	;;#ASMEND
	s_nop 0
	;;#ASMSTART
	v_dot2_f32_f16 v7, v10, v14, v7
	;;#ASMEND
	s_nop 0
	;;#ASMSTART
	v_dot2_f32_f16 v7, v11, v15, v7
	;;#ASMEND
	ds_read_b128 v[8:11], v71 offset:48
	ds_read_b128 v[12:15], v66 offset:48
	s_waitcnt lgkmcnt(0)
	;;#ASMSTART
	v_dot2_f32_f16 v7, v8, v12, v7
	;;#ASMEND
	s_nop 0
	;;#ASMSTART
	v_dot2_f32_f16 v7, v9, v13, v7
	;;#ASMEND
	s_nop 0
	;;#ASMSTART
	v_dot2_f32_f16 v7, v10, v14, v7
	;;#ASMEND
	s_nop 0
	;;#ASMSTART
	v_dot2_f32_f16 v7, v11, v15, v7
	;;#ASMEND
	ds_read_b128 v[8:11], v71 offset:64
	ds_read_b128 v[12:15], v66 offset:64
	s_waitcnt lgkmcnt(0)
	;;#ASMSTART
	v_dot2_f32_f16 v7, v8, v12, v7
	;;#ASMEND
	s_nop 0
	;;#ASMSTART
	v_dot2_f32_f16 v7, v9, v13, v7
	;;#ASMEND
	s_nop 0
	;;#ASMSTART
	v_dot2_f32_f16 v7, v10, v14, v7
	;;#ASMEND
	s_nop 0
	;;#ASMSTART
	v_dot2_f32_f16 v7, v11, v15, v7
	;;#ASMEND
	ds_read_b128 v[8:11], v71 offset:80
	ds_read_b128 v[12:15], v66 offset:80
	s_waitcnt lgkmcnt(0)
	;;#ASMSTART
	v_dot2_f32_f16 v7, v8, v12, v7
	;;#ASMEND
	s_nop 0
	;;#ASMSTART
	v_dot2_f32_f16 v7, v9, v13, v7
	;;#ASMEND
	s_nop 0
	;;#ASMSTART
	v_dot2_f32_f16 v7, v10, v14, v7
	;;#ASMEND
	s_nop 0
	;;#ASMSTART
	v_dot2_f32_f16 v7, v11, v15, v7
	;;#ASMEND
	ds_read_b128 v[8:11], v71 offset:96
	ds_read_b128 v[12:15], v66 offset:96
	s_waitcnt lgkmcnt(0)
	;;#ASMSTART
	v_dot2_f32_f16 v7, v8, v12, v7
	;;#ASMEND
	s_nop 0
	;;#ASMSTART
	v_dot2_f32_f16 v7, v9, v13, v7
	;;#ASMEND
	s_nop 0
	;; [unrolled: 4-line block ×3, first 2 shown]
	;;#ASMSTART
	v_dot2_f32_f16 v7, v11, v15, v7
	;;#ASMEND
	s_barrier
	s_and_saveexec_b64 s[10:11], vcc
	s_cbranch_execz .LBB30_19
; %bb.18:                               ;   in Loop: Header=BB30_13 Depth=1
	global_load_dwordx4 v[8:11], v[2:3], off offset:208
	s_waitcnt vmcnt(0)
	ds_write_b128 v72, v[8:11]
.LBB30_19:                              ;   in Loop: Header=BB30_13 Depth=1
	s_or_b64 exec, exec, s[10:11]
	s_and_saveexec_b64 s[10:11], s[4:5]
	s_cbranch_execz .LBB30_21
; %bb.20:                               ;   in Loop: Header=BB30_13 Depth=1
	v_mov_b32_e32 v61, v43
	v_lshl_add_u64 v[0:1], v[0:1], 0, v[60:61]
	global_load_dwordx4 v[0:3], v[0:1], off offset:176
	s_waitcnt vmcnt(0)
	ds_write_b128 v73, v[0:3]
.LBB30_21:                              ;   in Loop: Header=BB30_13 Depth=1
	s_or_b64 exec, exec, s[10:11]
	global_load_dwordx4 v[0:3], v[4:5], off offset:112
	v_add_u32_e32 v4, s36, v50
	v_ashrrev_i32_e32 v5, 31, v4
	v_lshl_add_u64 v[4:5], v[4:5], 1, s[30:31]
	v_xor_b32_e32 v82, 16, v51
	v_xor_b32_e32 v83, 8, v51
	;; [unrolled: 1-line block ×5, first 2 shown]
	s_waitcnt vmcnt(0)
	ds_write_b128 v70, v[0:3]
	s_waitcnt lgkmcnt(0)
	s_barrier
	ds_read_b128 v[0:3], v71
	ds_read_b128 v[8:11], v66 offset:112
	s_waitcnt lgkmcnt(0)
	;;#ASMSTART
	v_dot2_f32_f16 v7, v0, v8, v7
	;;#ASMEND
	s_nop 0
	;;#ASMSTART
	v_dot2_f32_f16 v7, v1, v9, v7
	;;#ASMEND
	s_nop 0
	;;#ASMSTART
	v_dot2_f32_f16 v7, v2, v10, v7
	;;#ASMEND
	s_nop 0
	;;#ASMSTART
	v_dot2_f32_f16 v7, v3, v11, v7
	;;#ASMEND
	ds_read_b128 v[0:3], v71 offset:16
	ds_read_b128 v[8:11], v66 offset:128
	s_waitcnt lgkmcnt(0)
	;;#ASMSTART
	v_dot2_f32_f16 v7, v0, v8, v7
	;;#ASMEND
	s_nop 0
	;;#ASMSTART
	v_dot2_f32_f16 v7, v1, v9, v7
	;;#ASMEND
	s_nop 0
	;;#ASMSTART
	v_dot2_f32_f16 v7, v2, v10, v7
	;;#ASMEND
	s_nop 0
	;;#ASMSTART
	v_dot2_f32_f16 v7, v3, v11, v7
	;;#ASMEND
	ds_read_b128 v[0:3], v71 offset:32
	ds_read_b128 v[8:11], v66 offset:144
	s_waitcnt lgkmcnt(0)
	;;#ASMSTART
	v_dot2_f32_f16 v7, v0, v8, v7
	;;#ASMEND
	s_nop 0
	;;#ASMSTART
	v_dot2_f32_f16 v7, v1, v9, v7
	;;#ASMEND
	s_nop 0
	;;#ASMSTART
	v_dot2_f32_f16 v7, v2, v10, v7
	;;#ASMEND
	s_nop 0
	;;#ASMSTART
	v_dot2_f32_f16 v7, v3, v11, v7
	;;#ASMEND
	ds_read_b128 v[0:3], v71 offset:48
	ds_read_b128 v[8:11], v66 offset:160
	s_waitcnt lgkmcnt(0)
	;;#ASMSTART
	v_dot2_f32_f16 v7, v0, v8, v7
	;;#ASMEND
	s_nop 0
	;;#ASMSTART
	v_dot2_f32_f16 v7, v1, v9, v7
	;;#ASMEND
	s_nop 0
	;;#ASMSTART
	v_dot2_f32_f16 v7, v2, v10, v7
	;;#ASMEND
	s_nop 0
	;;#ASMSTART
	v_dot2_f32_f16 v7, v3, v11, v7
	;;#ASMEND
	ds_read_b128 v[0:3], v71 offset:64
	ds_read_b128 v[8:11], v66 offset:176
	s_waitcnt lgkmcnt(0)
	;;#ASMSTART
	v_dot2_f32_f16 v7, v0, v8, v7
	;;#ASMEND
	s_nop 0
	;;#ASMSTART
	v_dot2_f32_f16 v7, v1, v9, v7
	;;#ASMEND
	s_nop 0
	;;#ASMSTART
	v_dot2_f32_f16 v7, v2, v10, v7
	;;#ASMEND
	s_nop 0
	;;#ASMSTART
	v_dot2_f32_f16 v7, v3, v11, v7
	;;#ASMEND
	ds_read_b128 v[0:3], v71 offset:80
	ds_read_b128 v[8:11], v66 offset:192
	s_waitcnt lgkmcnt(0)
	;;#ASMSTART
	v_dot2_f32_f16 v7, v0, v8, v7
	;;#ASMEND
	s_nop 0
	;;#ASMSTART
	v_dot2_f32_f16 v7, v1, v9, v7
	;;#ASMEND
	s_nop 0
	;;#ASMSTART
	v_dot2_f32_f16 v7, v2, v10, v7
	;;#ASMEND
	s_nop 0
	;;#ASMSTART
	v_dot2_f32_f16 v7, v3, v11, v7
	;;#ASMEND
	ds_read_b128 v[0:3], v71 offset:96
	ds_read_b128 v[8:11], v66 offset:208
	s_waitcnt lgkmcnt(0)
	;;#ASMSTART
	v_dot2_f32_f16 v7, v0, v8, v7
	;;#ASMEND
	s_nop 0
	;;#ASMSTART
	v_dot2_f32_f16 v7, v1, v9, v7
	;;#ASMEND
	v_and_b32_e32 v1, 0x60, v51
	;;#ASMSTART
	v_dot2_f32_f16 v7, v2, v10, v7
	;;#ASMEND
	v_add_u32_e32 v81, 32, v1
	;;#ASMSTART
	v_dot2_f32_f16 v7, v3, v11, v7
	;;#ASMEND
	global_load_ushort v0, v[4:5], off
	v_cmp_lt_i32_e64 s[10:11], v82, v81
	v_max_f32_e32 v2, v6, v6
	s_nop 0
	v_cndmask_b32_e64 v1, v51, v82, s[10:11]
	v_lshlrev_b32_e32 v1, 2, v1
	v_cmp_lt_i32_e64 s[10:11], v83, v81
	s_barrier
	s_waitcnt vmcnt(0)
	v_cvt_f32_f16_e32 v0, v0
	v_add_f32_e32 v0, v7, v0
	v_add_f32_e32 v3, 0x40051340, v0
	v_max_f32_e32 v2, v2, v3
	ds_bpermute_b32 v1, v1, v2
	v_cndmask_b32_e64 v3, v51, v83, s[10:11]
	v_lshlrev_b32_e32 v3, 2, v3
	v_cmp_lt_i32_e64 s[10:11], v84, v81
	s_waitcnt lgkmcnt(0)
	v_max_f32_e32 v1, v1, v1
	v_max_f32_e32 v1, v2, v1
	ds_bpermute_b32 v2, v3, v1
	v_cndmask_b32_e64 v3, v51, v84, s[10:11]
	v_lshlrev_b32_e32 v3, 2, v3
	v_cmp_lt_i32_e64 s[10:11], v85, v81
	s_waitcnt lgkmcnt(0)
	v_max_f32_e32 v2, v2, v2
	v_max_f32_e32 v1, v1, v2
	ds_bpermute_b32 v2, v3, v1
	v_cndmask_b32_e64 v3, v51, v85, s[10:11]
	v_lshlrev_b32_e32 v3, 2, v3
	v_cmp_lt_i32_e64 s[10:11], v86, v81
	s_waitcnt lgkmcnt(0)
	v_max_f32_e32 v2, v2, v2
	v_max_f32_e32 v1, v1, v2
	ds_bpermute_b32 v2, v3, v1
	v_cndmask_b32_e64 v3, v51, v86, s[10:11]
	v_lshlrev_b32_e32 v3, 2, v3
	s_mul_hi_i32 s11, s36, s37
	s_mul_i32 s10, s36, s37
	s_waitcnt lgkmcnt(0)
	v_max_f32_e32 v2, v2, v2
	v_max_f32_e32 v1, v1, v2
	ds_bpermute_b32 v2, v3, v1
	s_lshl_b64 s[12:13], s[10:11], 2
	s_add_u32 s12, s41, s12
	s_addc_u32 s13, s42, s13
	s_waitcnt lgkmcnt(0)
	v_max_f32_e32 v2, v2, v2
	v_max_f32_e32 v64, v1, v2
	v_sub_f32_e32 v0, v0, v64
	v_mul_f32_e32 v1, 0x3fb8aa3b, v0
	v_fma_f32 v2, v0, s43, -v1
	v_rndne_f32_e32 v3, v1
	v_fmac_f32_e32 v2, 0x32a5705f, v0
	v_sub_f32_e32 v1, v1, v3
	v_add_f32_e32 v1, v1, v2
	v_cvt_i32_f32_e32 v3, v3
	v_exp_f32_e32 v1, v1
	v_cmp_ngt_f32_e64 s[10:11], s44, v0
	v_ldexp_f32 v1, v1, v3
	s_nop 0
	v_cndmask_b32_e64 v1, 0, v1, s[10:11]
	v_cmp_nlt_f32_e64 s[10:11], s45, v0
	s_nop 1
	v_cndmask_b32_e64 v87, v79, v1, s[10:11]
	v_cvt_f16_f32_e32 v0, v87
	ds_write_b16 v75, v0
	s_and_saveexec_b64 s[10:11], s[6:7]
	s_cbranch_execz .LBB30_23
; %bb.22:                               ;   in Loop: Header=BB30_13 Depth=1
	v_lshl_add_u64 v[0:1], v[54:55], 2, s[12:13]
	v_mov_b32_e32 v61, v43
	v_lshl_add_u64 v[0:1], v[0:1], 0, v[60:61]
	global_load_dwordx4 v[0:3], v[0:1], off offset:192
	s_waitcnt vmcnt(0)
	ds_write_b128 v76, v[0:3]
.LBB30_23:                              ;   in Loop: Header=BB30_13 Depth=1
	s_or_b64 exec, exec, s[10:11]
	s_and_saveexec_b64 s[10:11], s[8:9]
	s_cbranch_execz .LBB30_25
; %bb.24:                               ;   in Loop: Header=BB30_13 Depth=1
	v_lshl_add_u64 v[0:1], v[56:57], 2, s[12:13]
	v_mov_b32_e32 v59, v43
	v_lshl_add_u64 v[0:1], v[0:1], 0, v[58:59]
	global_load_dwordx4 v[0:3], v[0:1], off offset:128
	s_waitcnt vmcnt(0)
	ds_write_b128 v77, v[0:3]
.LBB30_25:                              ;   in Loop: Header=BB30_13 Depth=1
	s_or_b64 exec, exec, s[10:11]
	v_lshl_add_u64 v[0:1], v[52:53], 2, s[12:13]
	v_lshl_add_u64 v[0:1], v[0:1], 0, v[42:43]
	global_load_dwordx4 v[0:3], v[0:1], off
	v_sub_f32_e32 v89, v6, v64
	v_add_u32_e32 v88, 0x800, v67
	s_or_b32 s24, s36, 16
	s_mul_hi_i32 s25, s24, s37
	s_mul_i32 s24, s24, s37
	s_lshl_b64 s[24:25], s[24:25], 2
	s_add_u32 s24, s41, s24
	v_cmp_ngt_f32_e64 s[10:11], s44, v89
	v_cmp_nlt_f32_e64 s[12:13], s45, v89
	s_addc_u32 s25, s42, s25
	s_waitcnt vmcnt(0)
	ds_write_b128 v78, v[0:3]
	s_waitcnt lgkmcnt(0)
	s_barrier
	ds_read2_b64 v[28:31], v67 offset1:28
	ds_read_b128 v[36:39], v74
	ds_read_b128 v[32:35], v74 offset:16
	ds_read2_b64 v[24:27], v67 offset0:56 offset1:84
	ds_read2_b64 v[20:23], v67 offset0:112 offset1:140
	ds_read2_b64 v[16:19], v67 offset0:168 offset1:196
	ds_read2_b64 v[12:15], v67 offset0:224 offset1:252
	ds_read2_b64 v[8:11], v88 offset0:24 offset1:52
	ds_read2_b64 v[4:7], v88 offset0:80 offset1:108
	ds_read2_b64 v[0:3], v88 offset0:136 offset1:164
	s_waitcnt lgkmcnt(0)
	s_barrier
	s_and_saveexec_b64 s[34:35], s[6:7]
	s_cbranch_execz .LBB30_27
; %bb.26:                               ;   in Loop: Header=BB30_13 Depth=1
	v_lshl_add_u64 v[90:91], v[54:55], 2, s[24:25]
	v_mov_b32_e32 v61, v43
	v_lshl_add_u64 v[90:91], v[90:91], 0, v[60:61]
	global_load_dwordx4 v[90:93], v[90:91], off offset:192
	s_waitcnt vmcnt(0)
	ds_write_b128 v76, v[90:93]
.LBB30_27:                              ;   in Loop: Header=BB30_13 Depth=1
	s_or_b64 exec, exec, s[34:35]
	s_and_saveexec_b64 s[34:35], s[8:9]
	s_cbranch_execz .LBB30_29
; %bb.28:                               ;   in Loop: Header=BB30_13 Depth=1
	v_lshl_add_u64 v[90:91], v[56:57], 2, s[24:25]
	v_mov_b32_e32 v59, v43
	v_lshl_add_u64 v[90:91], v[90:91], 0, v[58:59]
	global_load_dwordx4 v[90:93], v[90:91], off offset:128
	s_waitcnt vmcnt(0)
	ds_write_b128 v77, v[90:93]
.LBB30_29:                              ;   in Loop: Header=BB30_13 Depth=1
	s_or_b64 exec, exec, s[34:35]
	v_lshl_add_u64 v[90:91], v[52:53], 2, s[24:25]
	v_lshl_add_u64 v[90:91], v[90:91], 0, v[42:43]
	global_load_dwordx4 v[90:93], v[90:91], off
	v_mul_f32_e32 v59, 0x3fb8aa3b, v89
	v_fma_f32 v100, v89, s43, -v59
	v_rndne_f32_e32 v101, v59
	v_fmac_f32_e32 v100, 0x32a5705f, v89
	v_sub_f32_e32 v59, v59, v101
	v_add_f32_e32 v59, v59, v100
	v_cvt_i32_f32_e32 v89, v101
	v_exp_f32_e32 v59, v59
	v_mul_u32_u24_sdwa v61, v36, s46 dst_sel:DWORD dst_unused:UNUSED_PAD src0_sel:WORD_0 src1_sel:DWORD
	v_pk_mul_f16 v28, v28, v61
	v_pk_mul_f16 v29, v29, v61
	v_ldexp_f32 v59, v59, v89
	v_cndmask_b32_e64 v59, 0, v59, s[10:11]
	v_cndmask_b32_e64 v59, v79, v59, s[12:13]
	v_cvt_f16_f32_e32 v89, v59
	v_fmac_f32_e32 v87, v80, v59
	v_mul_u32_u24_sdwa v36, v36, s46 dst_sel:DWORD dst_unused:UNUSED_PAD src0_sel:WORD_1 src1_sel:DWORD
	v_mul_u32_u24_sdwa v94, v37, s46 dst_sel:DWORD dst_unused:UNUSED_PAD src0_sel:WORD_0 src1_sel:DWORD
	v_mul_u32_u24_e32 v59, 0x10001, v89
	v_pk_fma_f16 v28, v69, v59, v28
	v_pk_fma_f16 v29, v68, v59, v29
	;; [unrolled: 1-line block ×4, first 2 shown]
	v_mul_u32_u24_sdwa v37, v37, s46 dst_sel:DWORD dst_unused:UNUSED_PAD src0_sel:WORD_1 src1_sel:DWORD
	v_pk_fma_f16 v24, v24, v94, v28
	v_pk_fma_f16 v25, v25, v94, v29
	v_mul_u32_u24_sdwa v95, v38, s46 dst_sel:DWORD dst_unused:UNUSED_PAD src0_sel:WORD_0 src1_sel:DWORD
	v_pk_fma_f16 v24, v26, v37, v24
	v_pk_fma_f16 v25, v27, v37, v25
	v_mul_u32_u24_sdwa v38, v38, s46 dst_sel:DWORD dst_unused:UNUSED_PAD src0_sel:WORD_1 src1_sel:DWORD
	v_pk_fma_f16 v20, v20, v95, v24
	v_pk_fma_f16 v21, v21, v95, v25
	v_mul_u32_u24_sdwa v96, v39, s46 dst_sel:DWORD dst_unused:UNUSED_PAD src0_sel:WORD_0 src1_sel:DWORD
	v_pk_fma_f16 v20, v22, v38, v20
	v_pk_fma_f16 v21, v23, v38, v21
	;; [unrolled: 6-line block ×6, first 2 shown]
	v_mul_u32_u24_sdwa v35, v35, s46 dst_sel:DWORD dst_unused:UNUSED_PAD src0_sel:WORD_1 src1_sel:DWORD
	v_pk_fma_f16 v0, v0, v100, v4
	v_pk_fma_f16 v1, v1, v100, v5
	;; [unrolled: 1-line block ×4, first 2 shown]
	s_waitcnt vmcnt(0)
	ds_write_b128 v78, v[90:93]
	s_waitcnt lgkmcnt(0)
	s_barrier
	ds_read2_b64 v[0:3], v67 offset1:28
	ds_read_b128 v[4:7], v74 offset:32
	ds_read_b128 v[8:11], v74 offset:48
	ds_read2_b64 v[12:15], v67 offset0:56 offset1:84
	ds_read2_b64 v[16:19], v67 offset0:112 offset1:140
	;; [unrolled: 1-line block ×3, first 2 shown]
	s_waitcnt lgkmcnt(4)
	v_mul_u32_u24_sdwa v26, v4, s46 dst_sel:DWORD dst_unused:UNUSED_PAD src0_sel:WORD_0 src1_sel:DWORD
	v_mul_u32_u24_sdwa v4, v4, s46 dst_sel:DWORD dst_unused:UNUSED_PAD src0_sel:WORD_1 src1_sel:DWORD
	v_pk_fma_f16 v0, v0, v26, v24
	v_pk_fma_f16 v1, v1, v26, v25
	v_mul_u32_u24_sdwa v27, v5, s46 dst_sel:DWORD dst_unused:UNUSED_PAD src0_sel:WORD_0 src1_sel:DWORD
	v_pk_fma_f16 v0, v2, v4, v0
	v_pk_fma_f16 v1, v3, v4, v1
	v_mul_u32_u24_sdwa v5, v5, s46 dst_sel:DWORD dst_unused:UNUSED_PAD src0_sel:WORD_1 src1_sel:DWORD
	s_waitcnt lgkmcnt(2)
	v_pk_fma_f16 v0, v12, v27, v0
	v_pk_fma_f16 v1, v13, v27, v1
	v_mul_u32_u24_sdwa v28, v6, s46 dst_sel:DWORD dst_unused:UNUSED_PAD src0_sel:WORD_0 src1_sel:DWORD
	v_pk_fma_f16 v0, v14, v5, v0
	v_pk_fma_f16 v1, v15, v5, v1
	v_mul_u32_u24_sdwa v6, v6, s46 dst_sel:DWORD dst_unused:UNUSED_PAD src0_sel:WORD_1 src1_sel:DWORD
	s_waitcnt lgkmcnt(1)
	v_pk_fma_f16 v0, v16, v28, v0
	v_pk_fma_f16 v1, v17, v28, v1
	;; [unrolled: 1-line block ×4, first 2 shown]
	v_mul_u32_u24_sdwa v2, v7, s46 dst_sel:DWORD dst_unused:UNUSED_PAD src0_sel:WORD_0 src1_sel:DWORD
	s_waitcnt lgkmcnt(0)
	v_pk_fma_f16 v4, v20, v2, v0
	v_pk_fma_f16 v5, v21, v2, v1
	ds_read2_b64 v[0:3], v67 offset0:224 offset1:252
	v_mul_u32_u24_sdwa v6, v7, s46 dst_sel:DWORD dst_unused:UNUSED_PAD src0_sel:WORD_1 src1_sel:DWORD
	v_pk_fma_f16 v4, v22, v6, v4
	v_pk_fma_f16 v5, v23, v6, v5
	v_mul_u32_u24_sdwa v6, v8, s46 dst_sel:DWORD dst_unused:UNUSED_PAD src0_sel:WORD_0 src1_sel:DWORD
	s_waitcnt lgkmcnt(0)
	v_pk_fma_f16 v0, v0, v6, v4
	v_pk_fma_f16 v1, v1, v6, v5
	ds_read2_b64 v[4:7], v88 offset0:24 offset1:52
	v_mul_u32_u24_sdwa v8, v8, s46 dst_sel:DWORD dst_unused:UNUSED_PAD src0_sel:WORD_1 src1_sel:DWORD
	v_pk_fma_f16 v0, v2, v8, v0
	v_pk_fma_f16 v1, v3, v8, v1
	v_mul_u32_u24_sdwa v2, v9, s46 dst_sel:DWORD dst_unused:UNUSED_PAD src0_sel:WORD_0 src1_sel:DWORD
	s_waitcnt lgkmcnt(0)
	v_pk_fma_f16 v4, v4, v2, v0
	v_pk_fma_f16 v5, v5, v2, v1
	ds_read2_b64 v[0:3], v88 offset0:80 offset1:108
	v_mul_u32_u24_sdwa v8, v9, s46 dst_sel:DWORD dst_unused:UNUSED_PAD src0_sel:WORD_1 src1_sel:DWORD
	v_pk_fma_f16 v4, v6, v8, v4
	v_pk_fma_f16 v5, v7, v8, v5
	v_mul_u32_u24_sdwa v6, v10, s46 dst_sel:DWORD dst_unused:UNUSED_PAD src0_sel:WORD_0 src1_sel:DWORD
	s_waitcnt lgkmcnt(0)
	v_pk_fma_f16 v0, v0, v6, v4
	v_pk_fma_f16 v1, v1, v6, v5
	v_mul_u32_u24_sdwa v4, v10, s46 dst_sel:DWORD dst_unused:UNUSED_PAD src0_sel:WORD_1 src1_sel:DWORD
	v_pk_fma_f16 v5, v2, v4, v0
	v_pk_fma_f16 v4, v3, v4, v1
	ds_read2_b64 v[0:3], v88 offset0:136 offset1:164
	s_waitcnt lgkmcnt(0)
	s_barrier
	s_load_dword s10, s[18:19], 0x4
	v_mul_u32_u24_sdwa v6, v11, s46 dst_sel:DWORD dst_unused:UNUSED_PAD src0_sel:WORD_0 src1_sel:DWORD
	v_pk_fma_f16 v0, v0, v6, v5
	v_pk_fma_f16 v1, v1, v6, v4
	v_mul_u32_u24_sdwa v4, v11, s46 dst_sel:DWORD dst_unused:UNUSED_PAD src0_sel:WORD_1 src1_sel:DWORD
	s_waitcnt lgkmcnt(0)
	s_lshl_b32 s10, s10, 5
	s_add_i32 s36, s10, s36
	v_pk_fma_f16 v69, v2, v4, v0
	s_cmp_ge_i32 s36, s28
	v_pk_fma_f16 v68, v3, v4, v1
	s_cbranch_scc1 .LBB30_9
; %bb.30:                               ;   in Loop: Header=BB30_13 Depth=1
	v_mov_b32_e32 v6, v64
	v_mov_b32_e32 v80, v87
	s_branch .LBB30_13
.LBB30_31:
	v_mov_b32_e32 v1, v65
.LBB30_32:
	s_load_dword s6, s[0:1], 0xd4
	s_mul_i32 s4, s33, s26
	s_waitcnt lgkmcnt(0)
	s_cmp_lg_u32 s6, 1
	s_cselect_b64 s[0:1], -1, 0
	s_add_i32 s4, s4, s2
	v_add_u32_e32 v0, s4, v41
	v_mad_u64_u32 v[2:3], s[4:5], v0, s27, v[2:3]
	v_mul_lo_u32 v0, s6, v2
	v_add_u32_e32 v0, s3, v0
	s_and_saveexec_b64 s[2:3], s[14:15]
	s_cbranch_execz .LBB30_34
; %bb.33:
	s_movk_i32 s4, 0x70
	v_mul_lo_u32 v4, v0, s4
	v_div_scale_f32 v8, s[4:5], v1, v1, 1.0
	v_rcp_f32_e32 v9, v8
	v_mov_b32_e32 v2, s20
	v_mov_b32_e32 v3, s21
	v_lshl_add_u32 v4, v40, 2, v4
	v_mov_b32_e32 v5, 0
	v_lshl_add_u64 v[6:7], v[4:5], 2, v[2:3]
	v_fma_f32 v2, -v8, v9, 1.0
	v_fmac_f32_e32 v9, v2, v9
	v_div_scale_f32 v2, vcc, 1.0, v1, 1.0
	v_mul_f32_e32 v3, v2, v9
	v_fma_f32 v4, -v8, v3, v2
	v_fmac_f32_e32 v3, v4, v9
	v_fma_f32 v2, -v8, v3, v2
	v_div_fmas_f32 v8, v2, v9, v3
	v_cvt_f32_f16_sdwa v3, v69 dst_sel:DWORD dst_unused:UNUSED_PAD src0_sel:WORD_1
	v_cvt_f32_f16_e32 v2, v69
	v_cvt_f32_f16_sdwa v5, v68 dst_sel:DWORD dst_unused:UNUSED_PAD src0_sel:WORD_1
	v_cvt_f32_f16_e32 v4, v68
	v_div_fixup_f32 v1, v8, v1, 1.0
	v_cndmask_b32_e64 v8, v1, 1.0, s[0:1]
	v_pk_mul_f32 v[2:3], v[8:9], v[2:3] op_sel_hi:[0,1]
	v_pk_mul_f32 v[4:5], v[8:9], v[4:5] op_sel_hi:[0,1]
	global_store_dwordx4 v[6:7], v[2:5], off
.LBB30_34:
	s_or_b64 exec, exec, s[2:3]
	v_cmp_eq_u32_e32 vcc, 0, v40
	s_and_b64 s[0:1], vcc, s[0:1]
	s_and_saveexec_b64 s[2:3], s[0:1]
	s_cbranch_execz .LBB30_36
; %bb.35:
	v_mov_b32_e32 v2, s22
	v_mov_b32_e32 v3, s23
	v_ashrrev_i32_e32 v1, 31, v0
	v_lshl_add_u64 v[0:1], v[0:1], 3, v[2:3]
	global_store_dwordx2 v[0:1], v[64:65], off
.LBB30_36:
	s_endpgm
	.section	.rodata,"a",@progbits
	.p2align	6, 0x0
	.amdhsa_kernel _ZL15flash_attn_tileILi112ELi112ELi1ELi4ELb0EEvPKcS1_S1_S1_S1_PKiPfP15HIP_vector_typeIfLj2EEffffjfiS5_IjLj3EEiiiiiiiiiiiliiliiiiil
		.amdhsa_group_segment_fixed_size 5312
		.amdhsa_private_segment_fixed_size 0
		.amdhsa_kernarg_size 464
		.amdhsa_user_sgpr_count 2
		.amdhsa_user_sgpr_dispatch_ptr 0
		.amdhsa_user_sgpr_queue_ptr 0
		.amdhsa_user_sgpr_kernarg_segment_ptr 1
		.amdhsa_user_sgpr_dispatch_id 0
		.amdhsa_user_sgpr_kernarg_preload_length 0
		.amdhsa_user_sgpr_kernarg_preload_offset 0
		.amdhsa_user_sgpr_private_segment_size 0
		.amdhsa_uses_dynamic_stack 0
		.amdhsa_enable_private_segment 0
		.amdhsa_system_sgpr_workgroup_id_x 1
		.amdhsa_system_sgpr_workgroup_id_y 1
		.amdhsa_system_sgpr_workgroup_id_z 1
		.amdhsa_system_sgpr_workgroup_info 0
		.amdhsa_system_vgpr_workitem_id 1
		.amdhsa_next_free_vgpr 102
		.amdhsa_next_free_sgpr 47
		.amdhsa_accum_offset 104
		.amdhsa_reserve_vcc 1
		.amdhsa_float_round_mode_32 0
		.amdhsa_float_round_mode_16_64 0
		.amdhsa_float_denorm_mode_32 3
		.amdhsa_float_denorm_mode_16_64 3
		.amdhsa_dx10_clamp 1
		.amdhsa_ieee_mode 1
		.amdhsa_fp16_overflow 0
		.amdhsa_tg_split 0
		.amdhsa_exception_fp_ieee_invalid_op 0
		.amdhsa_exception_fp_denorm_src 0
		.amdhsa_exception_fp_ieee_div_zero 0
		.amdhsa_exception_fp_ieee_overflow 0
		.amdhsa_exception_fp_ieee_underflow 0
		.amdhsa_exception_fp_ieee_inexact 0
		.amdhsa_exception_int_div_zero 0
	.end_amdhsa_kernel
	.section	.text._ZL15flash_attn_tileILi112ELi112ELi1ELi4ELb0EEvPKcS1_S1_S1_S1_PKiPfP15HIP_vector_typeIfLj2EEffffjfiS5_IjLj3EEiiiiiiiiiiiliiliiiiil,"axG",@progbits,_ZL15flash_attn_tileILi112ELi112ELi1ELi4ELb0EEvPKcS1_S1_S1_S1_PKiPfP15HIP_vector_typeIfLj2EEffffjfiS5_IjLj3EEiiiiiiiiiiiliiliiiiil,comdat
.Lfunc_end30:
	.size	_ZL15flash_attn_tileILi112ELi112ELi1ELi4ELb0EEvPKcS1_S1_S1_S1_PKiPfP15HIP_vector_typeIfLj2EEffffjfiS5_IjLj3EEiiiiiiiiiiiliiliiiiil, .Lfunc_end30-_ZL15flash_attn_tileILi112ELi112ELi1ELi4ELb0EEvPKcS1_S1_S1_S1_PKiPfP15HIP_vector_typeIfLj2EEffffjfiS5_IjLj3EEiiiiiiiiiiiliiliiiiil
                                        ; -- End function
	.set _ZL15flash_attn_tileILi112ELi112ELi1ELi4ELb0EEvPKcS1_S1_S1_S1_PKiPfP15HIP_vector_typeIfLj2EEffffjfiS5_IjLj3EEiiiiiiiiiiiliiliiiiil.num_vgpr, 102
	.set _ZL15flash_attn_tileILi112ELi112ELi1ELi4ELb0EEvPKcS1_S1_S1_S1_PKiPfP15HIP_vector_typeIfLj2EEffffjfiS5_IjLj3EEiiiiiiiiiiiliiliiiiil.num_agpr, 0
	.set _ZL15flash_attn_tileILi112ELi112ELi1ELi4ELb0EEvPKcS1_S1_S1_S1_PKiPfP15HIP_vector_typeIfLj2EEffffjfiS5_IjLj3EEiiiiiiiiiiiliiliiiiil.numbered_sgpr, 47
	.set _ZL15flash_attn_tileILi112ELi112ELi1ELi4ELb0EEvPKcS1_S1_S1_S1_PKiPfP15HIP_vector_typeIfLj2EEffffjfiS5_IjLj3EEiiiiiiiiiiiliiliiiiil.num_named_barrier, 0
	.set _ZL15flash_attn_tileILi112ELi112ELi1ELi4ELb0EEvPKcS1_S1_S1_S1_PKiPfP15HIP_vector_typeIfLj2EEffffjfiS5_IjLj3EEiiiiiiiiiiiliiliiiiil.private_seg_size, 0
	.set _ZL15flash_attn_tileILi112ELi112ELi1ELi4ELb0EEvPKcS1_S1_S1_S1_PKiPfP15HIP_vector_typeIfLj2EEffffjfiS5_IjLj3EEiiiiiiiiiiiliiliiiiil.uses_vcc, 1
	.set _ZL15flash_attn_tileILi112ELi112ELi1ELi4ELb0EEvPKcS1_S1_S1_S1_PKiPfP15HIP_vector_typeIfLj2EEffffjfiS5_IjLj3EEiiiiiiiiiiiliiliiiiil.uses_flat_scratch, 0
	.set _ZL15flash_attn_tileILi112ELi112ELi1ELi4ELb0EEvPKcS1_S1_S1_S1_PKiPfP15HIP_vector_typeIfLj2EEffffjfiS5_IjLj3EEiiiiiiiiiiiliiliiiiil.has_dyn_sized_stack, 0
	.set _ZL15flash_attn_tileILi112ELi112ELi1ELi4ELb0EEvPKcS1_S1_S1_S1_PKiPfP15HIP_vector_typeIfLj2EEffffjfiS5_IjLj3EEiiiiiiiiiiiliiliiiiil.has_recursion, 0
	.set _ZL15flash_attn_tileILi112ELi112ELi1ELi4ELb0EEvPKcS1_S1_S1_S1_PKiPfP15HIP_vector_typeIfLj2EEffffjfiS5_IjLj3EEiiiiiiiiiiiliiliiiiil.has_indirect_call, 0
	.section	.AMDGPU.csdata,"",@progbits
; Kernel info:
; codeLenInByte = 5836
; TotalNumSgprs: 53
; NumVgprs: 102
; NumAgprs: 0
; TotalNumVgprs: 102
; ScratchSize: 0
; MemoryBound: 0
; FloatMode: 240
; IeeeMode: 1
; LDSByteSize: 5312 bytes/workgroup (compile time only)
; SGPRBlocks: 6
; VGPRBlocks: 12
; NumSGPRsForWavesPerEU: 53
; NumVGPRsForWavesPerEU: 102
; AccumOffset: 104
; Occupancy: 4
; WaveLimiterHint : 1
; COMPUTE_PGM_RSRC2:SCRATCH_EN: 0
; COMPUTE_PGM_RSRC2:USER_SGPR: 2
; COMPUTE_PGM_RSRC2:TRAP_HANDLER: 0
; COMPUTE_PGM_RSRC2:TGID_X_EN: 1
; COMPUTE_PGM_RSRC2:TGID_Y_EN: 1
; COMPUTE_PGM_RSRC2:TGID_Z_EN: 1
; COMPUTE_PGM_RSRC2:TIDIG_COMP_CNT: 1
; COMPUTE_PGM_RSRC3_GFX90A:ACCUM_OFFSET: 25
; COMPUTE_PGM_RSRC3_GFX90A:TG_SPLIT: 0
	.section	.text._ZL33flash_attn_stream_k_fixup_uniformILi112ELi1ELi4EEvPfPK15HIP_vector_typeIfLj2EEiiiiiiS1_IjLj3EES5_S5_,"axG",@progbits,_ZL33flash_attn_stream_k_fixup_uniformILi112ELi1ELi4EEvPfPK15HIP_vector_typeIfLj2EEiiiiiiS1_IjLj3EES5_S5_,comdat
	.globl	_ZL33flash_attn_stream_k_fixup_uniformILi112ELi1ELi4EEvPfPK15HIP_vector_typeIfLj2EEiiiiiiS1_IjLj3EES5_S5_ ; -- Begin function _ZL33flash_attn_stream_k_fixup_uniformILi112ELi1ELi4EEvPfPK15HIP_vector_typeIfLj2EEiiiiiiS1_IjLj3EES5_S5_
	.p2align	8
	.type	_ZL33flash_attn_stream_k_fixup_uniformILi112ELi1ELi4EEvPfPK15HIP_vector_typeIfLj2EEiiiiiiS1_IjLj3EES5_S5_,@function
_ZL33flash_attn_stream_k_fixup_uniformILi112ELi1ELi4EEvPfPK15HIP_vector_typeIfLj2EEiiiiiiS1_IjLj3EES5_S5_: ; @_ZL33flash_attn_stream_k_fixup_uniformILi112ELi1ELi4EEvPfPK15HIP_vector_typeIfLj2EEiiiiiiS1_IjLj3EES5_S5_
; %bb.0:
	s_load_dwordx8 s[8:15], s[0:1], 0x1c
	s_load_dwordx2 s[6:7], s[0:1], 0x10
	s_load_dwordx4 s[16:19], s[0:1], 0x3c
	s_waitcnt lgkmcnt(0)
	s_mul_hi_u32 s5, s11, s2
	s_add_i32 s5, s2, s5
	s_lshr_b32 s5, s5, s12
	s_mul_i32 s11, s5, s13
	s_sub_i32 s12, s2, s11
	s_mul_hi_u32 s11, s12, s14
	s_add_i32 s11, s12, s11
	s_lshr_b32 s11, s11, s15
	s_mul_i32 s13, s11, s16
	s_sub_i32 s12, s12, s13
	;; [unrolled: 5-line block ×3, first 2 shown]
	s_lshl_b32 s16, s13, 2
	s_add_i32 s17, s17, s3
	s_cmp_lt_i32 s17, s6
	s_cselect_b64 s[12:13], -1, 0
	s_add_i32 s16, s16, s4
	s_cmp_lt_i32 s16, s9
	s_cselect_b64 s[14:15], -1, 0
	s_and_b64 s[12:13], s[12:13], s[14:15]
	s_andn2_b64 vcc, exec, s[12:13]
	s_cbranch_vccnz .LBB31_6
; %bb.1:
	s_mul_i32 s5, s5, s6
	s_load_dwordx4 s[12:15], s[0:1], 0x0
	s_mul_i32 s11, s11, s9
	s_add_i32 s0, s17, s5
	s_mul_i32 s0, s0, s7
	s_add_i32 s1, s16, s11
	s_add_i32 s0, s1, s0
	s_mulk_i32 s0, 0x70
	v_add_u32_e32 v4, s0, v0
	s_waitcnt lgkmcnt(0)
	v_mov_b32_e32 v2, s12
	v_mov_b32_e32 v3, s13
	v_ashrrev_i32_e32 v5, 31, v4
	v_lshl_add_u64 v[2:3], v[4:5], 2, v[2:3]
	global_load_dword v5, v[2:3], off
	s_mul_i32 s5, s10, s2
	s_add_i32 s11, s5, s10
	s_add_i32 s0, s3, s11
	s_lshl_b32 s0, s0, 2
	s_add_i32 s0, s0, s4
	s_add_i32 s0, s0, -4
	s_ashr_i32 s1, s0, 31
	s_lshl_b64 s[0:1], s[0:1], 3
	s_add_u32 s0, s14, s0
	s_addc_u32 s1, s15, s1
	s_load_dword s12, s[0:1], 0x4
	s_add_i32 s6, s11, -2
	s_cmp_lt_i32 s6, s5
	s_cbranch_scc1 .LBB31_4
; %bb.2:
	s_lshl_b32 s6, s8, 4
	s_ashr_i32 s7, s6, 31
	s_lshl_b64 s[6:7], s[6:7], 2
	s_add_u32 s6, s14, s6
	s_addc_u32 s7, s15, s7
	s_add_i32 s2, s2, 1
	s_load_dword s0, s[0:1], 0x0
	s_mul_i32 s1, s10, s2
	s_mul_i32 s2, s3, 0x1c0
	;; [unrolled: 1-line block ×3, first 2 shown]
	s_mulk_i32 s1, 0x1c0
	s_add_i32 s2, s10, s2
	s_add_i32 s2, s2, s1
	;; [unrolled: 1-line block ×4, first 2 shown]
	s_lshl_b32 s1, s1, 2
	v_add_u32_e32 v0, s2, v0
	s_add_i32 s1, s4, s1
	s_add_i32 s9, s11, -1
	v_add_u32_e32 v0, 0xfffffc80, v0
	s_add_i32 s2, s1, -8
	s_waitcnt lgkmcnt(0)
	v_mov_b32_e32 v7, s0
	v_mov_b32_e32 v4, s12
	s_mov_b32 s4, 0x3fb8aa3b
	s_mov_b32 s8, 0xc2ce8ed0
	;; [unrolled: 1-line block ×3, first 2 shown]
	v_mov_b32_e32 v6, 0x7f800000
	s_mov_b32 s11, 0xc1a00000
.LBB31_3:                               ; =>This Inner Loop Header: Depth=1
	v_ashrrev_i32_e32 v1, 31, v0
	v_lshl_add_u64 v[8:9], v[0:1], 2, s[6:7]
	global_load_dword v9, v[8:9], off
	s_ashr_i32 s3, s2, 31
	s_lshl_b64 s[0:1], s[2:3], 3
	s_add_u32 s0, s14, s0
	s_addc_u32 s1, s15, s1
	s_load_dwordx2 s[0:1], s[0:1], 0x0
	v_max_f32_e32 v1, v7, v7
	s_add_i32 s9, s9, -1
	s_add_i32 s2, s2, -4
	v_add_u32_e32 v0, 0xfffffe40, v0
	s_waitcnt lgkmcnt(0)
	v_max_f32_e64 v10, s0, s0
	v_max_f32_e32 v1, v1, v10
	v_sub_f32_e32 v11, s0, v1
	v_sub_f32_e32 v10, v7, v1
	v_mul_f32_e32 v12, 0x3fb8aa3b, v11
	v_mov_b32_e32 v7, v1
	v_mul_f32_e32 v1, 0x3fb8aa3b, v10
	v_fma_f32 v15, v11, s4, -v12
	v_rndne_f32_e32 v16, v12
	v_fma_f32 v13, v10, s4, -v1
	v_rndne_f32_e32 v14, v1
	v_fmac_f32_e32 v15, 0x32a5705f, v11
	v_sub_f32_e32 v12, v12, v16
	v_fmac_f32_e32 v13, 0x32a5705f, v10
	v_sub_f32_e32 v1, v1, v14
	v_add_f32_e32 v12, v12, v15
	v_cvt_i32_f32_e32 v16, v16
	v_add_f32_e32 v1, v1, v13
	v_exp_f32_e32 v12, v12
	v_cvt_i32_f32_e32 v14, v14
	v_exp_f32_e32 v1, v1
	v_cmp_ngt_f32_e32 vcc, s8, v11
	v_ldexp_f32 v12, v12, v16
	v_mov_b32_e32 v8, s1
	v_ldexp_f32 v1, v1, v14
	v_cmp_ngt_f32_e64 s[0:1], s8, v10
	v_cndmask_b32_e32 v12, 0, v12, vcc
	v_cmp_nlt_f32_e32 vcc, s10, v11
	v_cndmask_b32_e64 v1, 0, v1, s[0:1]
	v_cmp_nlt_f32_e64 s[0:1], s10, v10
	v_cndmask_b32_e32 v12, v6, v12, vcc
	v_cmp_le_f32_e32 vcc, s11, v11
	v_cndmask_b32_e64 v1, v6, v1, s[0:1]
	v_cmp_le_f32_e64 s[0:1], s11, v10
	v_cndmask_b32_e32 v12, 0, v12, vcc
	s_cmp_le_i32 s9, s5
	v_cndmask_b32_e64 v10, 0, v1, s[0:1]
	s_waitcnt vmcnt(0)
	v_pk_mul_f32 v[8:9], v[8:9], v[12:13] op_sel_hi:[1,0]
	s_nop 0
	v_pk_fma_f32 v[4:5], v[4:5], v[10:11], v[8:9] op_sel_hi:[1,0,1]
	s_cbranch_scc0 .LBB31_3
	s_branch .LBB31_5
.LBB31_4:
	s_waitcnt lgkmcnt(0)
	v_mov_b32_e32 v4, s12
.LBB31_5:
	s_waitcnt vmcnt(0)
	v_div_scale_f32 v0, s[0:1], v4, v4, v5
	v_rcp_f32_e32 v1, v0
	v_div_scale_f32 v6, vcc, v5, v4, v5
	v_fma_f32 v7, -v0, v1, 1.0
	v_fmac_f32_e32 v1, v7, v1
	v_mul_f32_e32 v7, v6, v1
	v_fma_f32 v8, -v0, v7, v6
	v_fmac_f32_e32 v7, v8, v1
	v_fma_f32 v0, -v0, v7, v6
	v_div_fmas_f32 v0, v0, v1, v7
	v_div_fixup_f32 v0, v0, v4, v5
	global_store_dword v[2:3], v0, off
.LBB31_6:
	s_endpgm
	.section	.rodata,"a",@progbits
	.p2align	6, 0x0
	.amdhsa_kernel _ZL33flash_attn_stream_k_fixup_uniformILi112ELi1ELi4EEvPfPK15HIP_vector_typeIfLj2EEiiiiiiS1_IjLj3EES5_S5_
		.amdhsa_group_segment_fixed_size 0
		.amdhsa_private_segment_fixed_size 0
		.amdhsa_kernarg_size 76
		.amdhsa_user_sgpr_count 2
		.amdhsa_user_sgpr_dispatch_ptr 0
		.amdhsa_user_sgpr_queue_ptr 0
		.amdhsa_user_sgpr_kernarg_segment_ptr 1
		.amdhsa_user_sgpr_dispatch_id 0
		.amdhsa_user_sgpr_kernarg_preload_length 0
		.amdhsa_user_sgpr_kernarg_preload_offset 0
		.amdhsa_user_sgpr_private_segment_size 0
		.amdhsa_uses_dynamic_stack 0
		.amdhsa_enable_private_segment 0
		.amdhsa_system_sgpr_workgroup_id_x 1
		.amdhsa_system_sgpr_workgroup_id_y 1
		.amdhsa_system_sgpr_workgroup_id_z 1
		.amdhsa_system_sgpr_workgroup_info 0
		.amdhsa_system_vgpr_workitem_id 0
		.amdhsa_next_free_vgpr 17
		.amdhsa_next_free_sgpr 20
		.amdhsa_accum_offset 20
		.amdhsa_reserve_vcc 1
		.amdhsa_float_round_mode_32 0
		.amdhsa_float_round_mode_16_64 0
		.amdhsa_float_denorm_mode_32 3
		.amdhsa_float_denorm_mode_16_64 3
		.amdhsa_dx10_clamp 1
		.amdhsa_ieee_mode 1
		.amdhsa_fp16_overflow 0
		.amdhsa_tg_split 0
		.amdhsa_exception_fp_ieee_invalid_op 0
		.amdhsa_exception_fp_denorm_src 0
		.amdhsa_exception_fp_ieee_div_zero 0
		.amdhsa_exception_fp_ieee_overflow 0
		.amdhsa_exception_fp_ieee_underflow 0
		.amdhsa_exception_fp_ieee_inexact 0
		.amdhsa_exception_int_div_zero 0
	.end_amdhsa_kernel
	.section	.text._ZL33flash_attn_stream_k_fixup_uniformILi112ELi1ELi4EEvPfPK15HIP_vector_typeIfLj2EEiiiiiiS1_IjLj3EES5_S5_,"axG",@progbits,_ZL33flash_attn_stream_k_fixup_uniformILi112ELi1ELi4EEvPfPK15HIP_vector_typeIfLj2EEiiiiiiS1_IjLj3EES5_S5_,comdat
.Lfunc_end31:
	.size	_ZL33flash_attn_stream_k_fixup_uniformILi112ELi1ELi4EEvPfPK15HIP_vector_typeIfLj2EEiiiiiiS1_IjLj3EES5_S5_, .Lfunc_end31-_ZL33flash_attn_stream_k_fixup_uniformILi112ELi1ELi4EEvPfPK15HIP_vector_typeIfLj2EEiiiiiiS1_IjLj3EES5_S5_
                                        ; -- End function
	.set _ZL33flash_attn_stream_k_fixup_uniformILi112ELi1ELi4EEvPfPK15HIP_vector_typeIfLj2EEiiiiiiS1_IjLj3EES5_S5_.num_vgpr, 17
	.set _ZL33flash_attn_stream_k_fixup_uniformILi112ELi1ELi4EEvPfPK15HIP_vector_typeIfLj2EEiiiiiiS1_IjLj3EES5_S5_.num_agpr, 0
	.set _ZL33flash_attn_stream_k_fixup_uniformILi112ELi1ELi4EEvPfPK15HIP_vector_typeIfLj2EEiiiiiiS1_IjLj3EES5_S5_.numbered_sgpr, 20
	.set _ZL33flash_attn_stream_k_fixup_uniformILi112ELi1ELi4EEvPfPK15HIP_vector_typeIfLj2EEiiiiiiS1_IjLj3EES5_S5_.num_named_barrier, 0
	.set _ZL33flash_attn_stream_k_fixup_uniformILi112ELi1ELi4EEvPfPK15HIP_vector_typeIfLj2EEiiiiiiS1_IjLj3EES5_S5_.private_seg_size, 0
	.set _ZL33flash_attn_stream_k_fixup_uniformILi112ELi1ELi4EEvPfPK15HIP_vector_typeIfLj2EEiiiiiiS1_IjLj3EES5_S5_.uses_vcc, 1
	.set _ZL33flash_attn_stream_k_fixup_uniformILi112ELi1ELi4EEvPfPK15HIP_vector_typeIfLj2EEiiiiiiS1_IjLj3EES5_S5_.uses_flat_scratch, 0
	.set _ZL33flash_attn_stream_k_fixup_uniformILi112ELi1ELi4EEvPfPK15HIP_vector_typeIfLj2EEiiiiiiS1_IjLj3EES5_S5_.has_dyn_sized_stack, 0
	.set _ZL33flash_attn_stream_k_fixup_uniformILi112ELi1ELi4EEvPfPK15HIP_vector_typeIfLj2EEiiiiiiS1_IjLj3EES5_S5_.has_recursion, 0
	.set _ZL33flash_attn_stream_k_fixup_uniformILi112ELi1ELi4EEvPfPK15HIP_vector_typeIfLj2EEiiiiiiS1_IjLj3EES5_S5_.has_indirect_call, 0
	.section	.AMDGPU.csdata,"",@progbits
; Kernel info:
; codeLenInByte = 816
; TotalNumSgprs: 26
; NumVgprs: 17
; NumAgprs: 0
; TotalNumVgprs: 17
; ScratchSize: 0
; MemoryBound: 0
; FloatMode: 240
; IeeeMode: 1
; LDSByteSize: 0 bytes/workgroup (compile time only)
; SGPRBlocks: 3
; VGPRBlocks: 2
; NumSGPRsForWavesPerEU: 26
; NumVGPRsForWavesPerEU: 17
; AccumOffset: 20
; Occupancy: 8
; WaveLimiterHint : 0
; COMPUTE_PGM_RSRC2:SCRATCH_EN: 0
; COMPUTE_PGM_RSRC2:USER_SGPR: 2
; COMPUTE_PGM_RSRC2:TRAP_HANDLER: 0
; COMPUTE_PGM_RSRC2:TGID_X_EN: 1
; COMPUTE_PGM_RSRC2:TGID_Y_EN: 1
; COMPUTE_PGM_RSRC2:TGID_Z_EN: 1
; COMPUTE_PGM_RSRC2:TIDIG_COMP_CNT: 0
; COMPUTE_PGM_RSRC3_GFX90A:ACCUM_OFFSET: 4
; COMPUTE_PGM_RSRC3_GFX90A:TG_SPLIT: 0
	.section	.text._ZL33flash_attn_stream_k_fixup_generalILi112ELi1ELi4EEvPfPK15HIP_vector_typeIfLj2EEiiiiS1_IjLj3EES5_S5_S5_,"axG",@progbits,_ZL33flash_attn_stream_k_fixup_generalILi112ELi1ELi4EEvPfPK15HIP_vector_typeIfLj2EEiiiiS1_IjLj3EES5_S5_S5_,comdat
	.globl	_ZL33flash_attn_stream_k_fixup_generalILi112ELi1ELi4EEvPfPK15HIP_vector_typeIfLj2EEiiiiS1_IjLj3EES5_S5_S5_ ; -- Begin function _ZL33flash_attn_stream_k_fixup_generalILi112ELi1ELi4EEvPfPK15HIP_vector_typeIfLj2EEiiiiS1_IjLj3EES5_S5_S5_
	.p2align	8
	.type	_ZL33flash_attn_stream_k_fixup_generalILi112ELi1ELi4EEvPfPK15HIP_vector_typeIfLj2EEiiiiS1_IjLj3EES5_S5_S5_,@function
_ZL33flash_attn_stream_k_fixup_generalILi112ELi1ELi4EEvPfPK15HIP_vector_typeIfLj2EEiiiiS1_IjLj3EES5_S5_S5_: ; @_ZL33flash_attn_stream_k_fixup_generalILi112ELi1ELi4EEvPfPK15HIP_vector_typeIfLj2EEiiiiS1_IjLj3EES5_S5_S5_
; %bb.0:
	s_load_dwordx4 s[8:11], s[0:1], 0x10
	s_load_dword s5, s[0:1], 0x50
	s_mov_b32 s12, 0
	s_waitcnt lgkmcnt(0)
	s_mul_hi_i32 s13, s11, s2
	s_cmp_lg_u64 s[12:13], 0
	s_mul_i32 s18, s11, s2
	s_cbranch_scc0 .LBB32_20
; %bb.1:
	s_add_u32 s6, s5, 0
	s_addc_u32 s7, 0, 0
	s_xor_b64 s[6:7], s[6:7], 0
	v_cvt_f32_u32_e32 v1, s6
	v_cvt_f32_u32_e32 v2, s7
	s_sub_u32 s12, 0, s6
	s_subb_u32 s19, 0, s7
	v_fmamk_f32 v1, v2, 0x4f800000, v1
	v_rcp_f32_e32 v1, v1
	s_nop 0
	v_mul_f32_e32 v1, 0x5f7ffffc, v1
	v_mul_f32_e32 v2, 0x2f800000, v1
	v_trunc_f32_e32 v2, v2
	v_fmamk_f32 v1, v2, 0xcf800000, v1
	v_cvt_u32_f32_e32 v2, v2
	v_cvt_u32_f32_e32 v1, v1
	v_readfirstlane_b32 s20, v2
	v_readfirstlane_b32 s14, v1
	s_mul_i32 s15, s12, s20
	s_mul_hi_u32 s22, s12, s14
	s_mul_i32 s21, s19, s14
	s_add_i32 s15, s22, s15
	s_add_i32 s15, s15, s21
	s_mul_i32 s23, s12, s14
	s_mul_i32 s22, s14, s15
	s_mul_hi_u32 s24, s14, s23
	s_mul_hi_u32 s21, s14, s15
	s_add_u32 s22, s24, s22
	s_addc_u32 s21, 0, s21
	s_mul_hi_u32 s25, s20, s23
	s_mul_i32 s23, s20, s23
	s_add_u32 s22, s22, s23
	s_mul_hi_u32 s24, s20, s15
	s_addc_u32 s21, s21, s25
	s_addc_u32 s22, s24, 0
	s_mul_i32 s15, s20, s15
	s_add_u32 s15, s21, s15
	s_addc_u32 s21, 0, s22
	s_add_u32 s22, s14, s15
	s_cselect_b64 s[14:15], -1, 0
	s_cmp_lg_u64 s[14:15], 0
	s_addc_u32 s20, s20, s21
	s_mul_i32 s14, s12, s20
	s_mul_hi_u32 s15, s12, s22
	s_add_i32 s14, s15, s14
	s_mul_i32 s19, s19, s22
	s_add_i32 s14, s14, s19
	s_mul_i32 s12, s12, s22
	s_mul_hi_u32 s19, s20, s12
	s_mul_i32 s21, s20, s12
	s_mul_i32 s24, s22, s14
	s_mul_hi_u32 s12, s22, s12
	s_mul_hi_u32 s23, s22, s14
	s_add_u32 s12, s12, s24
	s_addc_u32 s23, 0, s23
	s_add_u32 s12, s12, s21
	s_mul_hi_u32 s15, s20, s14
	s_addc_u32 s12, s23, s19
	s_addc_u32 s15, s15, 0
	s_mul_i32 s14, s20, s14
	s_add_u32 s12, s12, s14
	s_addc_u32 s19, 0, s15
	s_add_u32 s21, s22, s12
	s_cselect_b64 s[14:15], -1, 0
	s_cmp_lg_u64 s[14:15], 0
	s_addc_u32 s19, s20, s19
	s_ashr_i32 s14, s13, 31
	s_add_u32 s12, s18, s14
	s_mov_b32 s15, s14
	s_addc_u32 s13, s13, s14
	s_xor_b64 s[12:13], s[12:13], s[14:15]
	s_mul_i32 s22, s12, s19
	s_mul_hi_u32 s23, s12, s21
	s_mul_hi_u32 s20, s12, s19
	s_add_u32 s22, s23, s22
	s_addc_u32 s20, 0, s20
	s_mul_hi_u32 s24, s13, s21
	s_mul_i32 s21, s13, s21
	s_add_u32 s21, s22, s21
	s_mul_hi_u32 s23, s13, s19
	s_addc_u32 s20, s20, s24
	s_addc_u32 s21, s23, 0
	s_mul_i32 s19, s13, s19
	s_add_u32 s19, s20, s19
	s_addc_u32 s24, 0, s21
	s_mul_i32 s20, s6, s24
	s_mul_hi_u32 s21, s6, s19
	s_add_i32 s20, s21, s20
	s_mul_i32 s21, s7, s19
	s_add_i32 s25, s20, s21
	s_sub_i32 s22, s13, s25
	s_mul_i32 s20, s6, s19
	s_sub_u32 s12, s12, s20
	s_cselect_b64 s[20:21], -1, 0
	s_cmp_lg_u64 s[20:21], 0
	s_subb_u32 s26, s22, s7
	s_sub_u32 s27, s12, s6
	s_cselect_b64 s[22:23], -1, 0
	s_cmp_lg_u64 s[22:23], 0
	s_subb_u32 s22, s26, 0
	s_cmp_ge_u32 s22, s7
	s_cselect_b32 s23, -1, 0
	s_cmp_ge_u32 s27, s6
	s_cselect_b32 s26, -1, 0
	s_cmp_eq_u32 s22, s7
	s_cselect_b32 s22, s26, s23
	s_add_u32 s23, s19, 1
	s_addc_u32 s26, s24, 0
	s_add_u32 s27, s19, 2
	s_addc_u32 s28, s24, 0
	s_cmp_lg_u32 s22, 0
	s_cselect_b32 s22, s27, s23
	s_cselect_b32 s23, s28, s26
	s_cmp_lg_u64 s[20:21], 0
	s_subb_u32 s13, s13, s25
	s_cmp_ge_u32 s13, s7
	s_cselect_b32 s20, -1, 0
	s_cmp_ge_u32 s12, s6
	s_cselect_b32 s6, -1, 0
	s_cmp_eq_u32 s13, s7
	s_cselect_b32 s6, s6, s20
	s_cmp_lg_u32 s6, 0
	s_cselect_b32 s7, s23, s24
	s_cselect_b32 s6, s22, s19
	s_xor_b64 s[12:13], s[14:15], 0
	s_xor_b64 s[6:7], s[6:7], s[12:13]
	s_sub_u32 s6, s6, s12
	s_load_dwordx4 s[12:15], s[0:1], 0x44
	s_cbranch_execnz .LBB32_3
.LBB32_2:
	v_cvt_f32_u32_e32 v1, s5
	s_sub_i32 s6, 0, s5
	v_rcp_iflag_f32_e32 v1, v1
	s_nop 0
	v_mul_f32_e32 v1, 0x4f7ffffe, v1
	v_cvt_u32_f32_e32 v1, v1
	s_nop 0
	v_readfirstlane_b32 s7, v1
	s_mul_i32 s6, s6, s7
	s_mul_hi_u32 s6, s7, s6
	s_add_i32 s7, s7, s6
	s_mul_hi_u32 s6, s18, s7
	s_waitcnt lgkmcnt(0)
	s_mul_i32 s15, s6, s5
	s_sub_i32 s15, s18, s15
	s_add_i32 s7, s6, 1
	s_sub_i32 s16, s15, s5
	s_cmp_ge_u32 s15, s5
	s_cselect_b32 s6, s7, s6
	s_cselect_b32 s15, s16, s15
	s_add_i32 s7, s6, 1
	s_cmp_ge_u32 s15, s5
	s_cselect_b32 s6, s7, s6
.LBB32_3:
	s_add_i32 s7, s2, 1
	s_mul_hi_i32 s21, s11, s7
	s_mov_b32 s20, 0
	s_cmp_lg_u64 s[20:21], 0
	s_mul_i32 s7, s11, s7
	s_cbranch_scc0 .LBB32_21
; %bb.4:
	s_add_u32 s16, s5, 0
	s_addc_u32 s17, 0, 0
	s_xor_b64 s[18:19], s[16:17], 0
	v_cvt_f32_u32_e32 v1, s18
	v_cvt_f32_u32_e32 v2, s19
	s_waitcnt lgkmcnt(0)
	s_sub_u32 s15, 0, s18
	s_subb_u32 s20, 0, s19
	v_fmamk_f32 v1, v2, 0x4f800000, v1
	v_rcp_f32_e32 v1, v1
	s_nop 0
	v_mul_f32_e32 v1, 0x5f7ffffc, v1
	v_mul_f32_e32 v2, 0x2f800000, v1
	v_trunc_f32_e32 v2, v2
	v_fmamk_f32 v1, v2, 0xcf800000, v1
	v_cvt_u32_f32_e32 v2, v2
	v_cvt_u32_f32_e32 v1, v1
	v_readfirstlane_b32 s24, v2
	v_readfirstlane_b32 s22, v1
	s_mul_i32 s23, s15, s24
	s_mul_hi_u32 s26, s15, s22
	s_mul_i32 s25, s20, s22
	s_add_i32 s23, s26, s23
	s_add_i32 s23, s23, s25
	s_mul_i32 s27, s15, s22
	s_mul_i32 s26, s22, s23
	s_mul_hi_u32 s28, s22, s27
	s_mul_hi_u32 s25, s22, s23
	s_add_u32 s26, s28, s26
	s_addc_u32 s25, 0, s25
	s_mul_hi_u32 s29, s24, s27
	s_mul_i32 s27, s24, s27
	s_add_u32 s26, s26, s27
	s_mul_hi_u32 s28, s24, s23
	s_addc_u32 s25, s25, s29
	s_addc_u32 s26, s28, 0
	s_mul_i32 s23, s24, s23
	s_add_u32 s23, s25, s23
	s_addc_u32 s25, 0, s26
	s_add_u32 s26, s22, s23
	s_cselect_b64 s[22:23], -1, 0
	s_cmp_lg_u64 s[22:23], 0
	s_addc_u32 s24, s24, s25
	s_mul_i32 s22, s15, s24
	s_mul_hi_u32 s23, s15, s26
	s_add_i32 s22, s23, s22
	s_mul_i32 s20, s20, s26
	s_add_i32 s22, s22, s20
	s_mul_i32 s15, s15, s26
	s_mul_hi_u32 s23, s24, s15
	s_mul_i32 s25, s24, s15
	s_mul_i32 s28, s26, s22
	s_mul_hi_u32 s15, s26, s15
	s_mul_hi_u32 s27, s26, s22
	s_add_u32 s15, s15, s28
	s_addc_u32 s27, 0, s27
	s_add_u32 s15, s15, s25
	s_mul_hi_u32 s20, s24, s22
	s_addc_u32 s15, s27, s23
	s_addc_u32 s20, s20, 0
	s_mul_i32 s22, s24, s22
	s_add_u32 s15, s15, s22
	s_addc_u32 s20, 0, s20
	s_add_u32 s15, s26, s15
	s_cselect_b64 s[22:23], -1, 0
	s_cmp_lg_u64 s[22:23], 0
	s_addc_u32 s24, s24, s20
	s_ashr_i32 s22, s21, 31
	s_add_u32 s20, s7, s22
	s_mov_b32 s23, s22
	s_addc_u32 s21, s21, s22
	s_xor_b64 s[20:21], s[20:21], s[22:23]
	s_mul_i32 s26, s20, s24
	s_mul_hi_u32 s27, s20, s15
	s_mul_hi_u32 s25, s20, s24
	s_add_u32 s26, s27, s26
	s_addc_u32 s25, 0, s25
	s_mul_hi_u32 s28, s21, s15
	s_mul_i32 s15, s21, s15
	s_add_u32 s15, s26, s15
	s_mul_hi_u32 s27, s21, s24
	s_addc_u32 s15, s25, s28
	s_addc_u32 s25, s27, 0
	s_mul_i32 s24, s21, s24
	s_add_u32 s15, s15, s24
	s_addc_u32 s28, 0, s25
	s_mul_i32 s24, s18, s28
	s_mul_hi_u32 s25, s18, s15
	s_add_i32 s24, s25, s24
	s_mul_i32 s25, s19, s15
	s_add_i32 s29, s24, s25
	s_sub_i32 s26, s21, s29
	s_mul_i32 s24, s18, s15
	s_sub_u32 s20, s20, s24
	s_cselect_b64 s[24:25], -1, 0
	s_cmp_lg_u64 s[24:25], 0
	s_subb_u32 s30, s26, s19
	s_sub_u32 s31, s20, s18
	s_cselect_b64 s[26:27], -1, 0
	s_cmp_lg_u64 s[26:27], 0
	s_subb_u32 s26, s30, 0
	s_cmp_ge_u32 s26, s19
	s_cselect_b32 s27, -1, 0
	s_cmp_ge_u32 s31, s18
	s_cselect_b32 s30, -1, 0
	s_cmp_eq_u32 s26, s19
	s_cselect_b32 s26, s30, s27
	s_add_u32 s27, s15, 1
	s_addc_u32 s30, s28, 0
	s_add_u32 s31, s15, 2
	s_addc_u32 s33, s28, 0
	s_cmp_lg_u32 s26, 0
	s_cselect_b32 s26, s31, s27
	s_cselect_b32 s27, s33, s30
	s_cmp_lg_u64 s[24:25], 0
	s_subb_u32 s21, s21, s29
	s_cmp_ge_u32 s21, s19
	s_cselect_b32 s24, -1, 0
	s_cmp_ge_u32 s20, s18
	s_cselect_b32 s18, -1, 0
	s_cmp_eq_u32 s21, s19
	s_cselect_b32 s18, s18, s24
	s_cmp_lg_u32 s18, 0
	s_cselect_b32 s19, s27, s28
	s_cselect_b32 s18, s26, s15
	s_xor_b64 s[20:21], s[22:23], 0
	s_xor_b64 s[18:19], s[18:19], s[20:21]
	s_sub_u32 s18, s18, s20
	s_cbranch_execnz .LBB32_6
.LBB32_5:
	v_cvt_f32_u32_e32 v1, s5
	s_waitcnt lgkmcnt(0)
	s_sub_i32 s15, 0, s5
	v_rcp_iflag_f32_e32 v1, v1
	s_nop 0
	v_mul_f32_e32 v1, 0x4f7ffffe, v1
	v_cvt_u32_f32_e32 v1, v1
	s_nop 0
	v_readfirstlane_b32 s16, v1
	s_mul_i32 s15, s15, s16
	s_mul_hi_u32 s15, s16, s15
	s_add_i32 s16, s16, s15
	s_mul_hi_u32 s15, s7, s16
	s_mul_i32 s17, s15, s5
	s_sub_i32 s7, s7, s17
	s_add_i32 s16, s15, 1
	s_sub_i32 s17, s7, s5
	s_cmp_ge_u32 s7, s5
	s_cselect_b32 s15, s16, s15
	s_cselect_b32 s7, s17, s7
	s_add_i32 s16, s15, 1
	s_cmp_ge_u32 s7, s5
	s_cselect_b32 s18, s16, s15
.LBB32_6:
	s_cmp_eq_u32 s6, s18
	s_waitcnt lgkmcnt(0)
	s_mul_hi_u32 s7, s6, s12
	s_cselect_b64 s[16:17], -1, 0
	s_add_i32 s7, s7, s6
	s_lshr_b32 s7, s7, s13
	s_mul_i32 s15, s7, s14
	s_cmp_eq_u32 s15, s6
	s_mul_hi_u32 s15, s18, s12
	s_cselect_b64 s[20:21], -1, 0
	s_add_i32 s15, s15, s18
	s_lshr_b32 s15, s15, s13
	s_cmp_eq_u32 s7, s15
	s_mul_i32 s15, s15, s14
	s_cselect_b64 s[22:23], -1, 0
	s_cmp_lg_u32 s15, s18
	s_cselect_b64 s[18:19], -1, 0
	s_and_b64 s[18:19], s[22:23], s[18:19]
	s_or_b64 s[16:17], s[16:17], s[20:21]
	s_or_b64 s[16:17], s[16:17], s[18:19]
	s_and_b64 vcc, exec, s[16:17]
	s_cbranch_vccnz .LBB32_23
; %bb.7:
	s_load_dwordx8 s[16:23], s[0:1], 0x20
	s_load_dword s24, s[0:1], 0x40
	s_waitcnt lgkmcnt(0)
	s_mul_hi_u32 s15, s6, s16
	s_add_i32 s15, s15, s6
	s_lshr_b32 s15, s15, s17
	s_mul_i32 s16, s15, s18
	s_sub_i32 s16, s6, s16
	s_mul_hi_u32 s17, s16, s19
	s_add_i32 s17, s16, s17
	s_lshr_b32 s20, s17, s20
	s_mul_i32 s17, s20, s21
	s_sub_i32 s16, s16, s17
	;; [unrolled: 5-line block ×3, first 2 shown]
	s_lshl_b32 s22, s17, 2
	s_mul_hi_u32 s17, s16, s12
	s_add_i32 s16, s16, s17
	s_lshr_b32 s21, s16, s13
	s_add_i32 s21, s21, s3
	s_cmp_lt_i32 s21, s8
	s_cselect_b64 s[16:17], -1, 0
	s_add_i32 s22, s22, s4
	s_cmp_lt_i32 s22, s10
	s_cselect_b64 s[18:19], -1, 0
	s_and_b64 s[16:17], s[16:17], s[18:19]
	s_andn2_b64 vcc, exec, s[16:17]
	s_cbranch_vccnz .LBB32_23
; %bb.8:
	s_load_dwordx4 s[16:19], s[0:1], 0x0
	s_lshl_b32 s0, s3, 2
	s_add_i32 s1, s0, s4
	s_mov_b32 s0, 0
	s_lshl_b32 s24, s5, 4
	s_mov_b32 s25, s0
	s_waitcnt lgkmcnt(0)
	v_mov_b32_e32 v2, s16
	v_mov_b32_e32 v3, s17
	s_lshl_b64 s[16:17], s[24:25], 2
	s_add_u32 s16, s18, s16
	s_mul_i32 s15, s15, s8
	s_addc_u32 s17, s19, s17
	s_mul_i32 s20, s20, s10
	s_add_i32 s8, s21, s15
	s_mul_i32 s8, s8, s9
	s_add_i32 s9, s22, s20
	s_add_i32 s8, s9, s8
	s_mulk_i32 s8, 0x70
	v_add_u32_e32 v4, s8, v0
	v_ashrrev_i32_e32 v5, 31, v4
	v_lshl_add_u64 v[2:3], v[4:5], 2, v[2:3]
	global_load_dword v1, v[2:3], off
	s_add_i32 s8, s3, s2
	v_cvt_f32_u32_e32 v4, s5
	s_lshl_b32 s8, s8, 2
	s_add_i32 s8, s8, s4
	s_ashr_i32 s9, s8, 31
	s_lshl_b64 s[8:9], s[8:9], 3
	v_rcp_iflag_f32_e32 v4, v4
	s_add_u32 s8, s18, s8
	s_addc_u32 s9, s19, s9
	s_load_dwordx2 s[8:9], s[8:9], 0x0
	v_mul_f32_e32 v4, 0x4f7ffffe, v4
	v_cvt_u32_f32_e32 v7, v4
	s_mulk_i32 s1, 0x70
	s_add_i32 s25, s2, -1
	v_add_u32_e32 v6, s1, v0
	s_add_i32 s10, s5, s3
	s_waitcnt lgkmcnt(0)
	v_mov_b32_e32 v0, s9
	v_mov_b32_e32 v9, s8
	s_mov_b32 s15, 0x3fb8aa3b
	s_mov_b32 s22, 0xc2ce8ed0
	;; [unrolled: 1-line block ×4, first 2 shown]
	v_mov_b32_e32 v8, 0x7f800000
	s_mul_hi_i32 s1, s25, s11
	s_cmp_lg_u64 s[0:1], 0
	s_mul_i32 s20, s25, s11
	s_cbranch_scc0 .LBB32_19
.LBB32_9:
	s_add_u32 s2, s5, 0
	s_addc_u32 s3, 0, 0
	s_xor_b64 s[2:3], s[2:3], 0
	v_cvt_f32_u32_e32 v4, s2
	v_cvt_f32_u32_e32 v5, s3
	s_sub_u32 s21, 0, s2
	s_subb_u32 s26, 0, s3
	v_fmac_f32_e32 v4, 0x4f800000, v5
	v_rcp_f32_e32 v4, v4
	s_nop 0
	v_mul_f32_e32 v4, 0x5f7ffffc, v4
	v_mul_f32_e32 v5, 0x2f800000, v4
	v_trunc_f32_e32 v5, v5
	v_fmac_f32_e32 v4, 0xcf800000, v5
	v_cvt_u32_f32_e32 v5, v5
	v_cvt_u32_f32_e32 v4, v4
	v_readfirstlane_b32 s27, v5
	v_readfirstlane_b32 s8, v4
	s_mul_i32 s9, s21, s27
	s_mul_hi_u32 s29, s21, s8
	s_mul_i32 s28, s26, s8
	s_add_i32 s9, s29, s9
	s_mul_i32 s30, s21, s8
	s_add_i32 s9, s9, s28
	s_mul_i32 s29, s8, s9
	s_mul_hi_u32 s31, s8, s30
	s_mul_hi_u32 s28, s8, s9
	s_add_u32 s29, s31, s29
	s_addc_u32 s28, 0, s28
	s_mul_hi_u32 s33, s27, s30
	s_mul_i32 s30, s27, s30
	s_add_u32 s29, s29, s30
	s_mul_hi_u32 s31, s27, s9
	s_addc_u32 s28, s28, s33
	s_addc_u32 s29, s31, 0
	s_mul_i32 s9, s27, s9
	s_add_u32 s9, s28, s9
	s_addc_u32 s28, 0, s29
	s_add_u32 s29, s8, s9
	s_cselect_b64 s[8:9], -1, 0
	s_cmp_lg_u64 s[8:9], 0
	s_addc_u32 s27, s27, s28
	s_mul_i32 s8, s21, s27
	s_mul_hi_u32 s9, s21, s29
	s_add_i32 s8, s9, s8
	s_mul_i32 s26, s26, s29
	s_add_i32 s8, s8, s26
	s_mul_i32 s21, s21, s29
	s_mul_hi_u32 s26, s27, s21
	s_mul_i32 s28, s27, s21
	s_mul_i32 s31, s29, s8
	s_mul_hi_u32 s21, s29, s21
	s_mul_hi_u32 s30, s29, s8
	s_add_u32 s21, s21, s31
	s_addc_u32 s30, 0, s30
	s_add_u32 s21, s21, s28
	s_mul_hi_u32 s9, s27, s8
	s_addc_u32 s21, s30, s26
	s_addc_u32 s9, s9, 0
	s_mul_i32 s8, s27, s8
	s_add_u32 s8, s21, s8
	s_addc_u32 s21, 0, s9
	s_add_u32 s28, s29, s8
	s_cselect_b64 s[8:9], -1, 0
	s_cmp_lg_u64 s[8:9], 0
	s_addc_u32 s21, s27, s21
	s_ashr_i32 s8, s1, 31
	s_add_u32 s26, s20, s8
	s_mov_b32 s9, s8
	s_addc_u32 s27, s1, s8
	s_xor_b64 s[26:27], s[26:27], s[8:9]
	s_mul_i32 s29, s26, s21
	s_mul_hi_u32 s30, s26, s28
	s_mul_hi_u32 s1, s26, s21
	s_add_u32 s29, s30, s29
	s_addc_u32 s1, 0, s1
	s_mul_hi_u32 s31, s27, s28
	s_mul_i32 s28, s27, s28
	s_add_u32 s28, s29, s28
	s_mul_hi_u32 s30, s27, s21
	s_addc_u32 s1, s1, s31
	s_addc_u32 s28, s30, 0
	s_mul_i32 s21, s27, s21
	s_add_u32 s1, s1, s21
	s_addc_u32 s21, 0, s28
	s_mul_i32 s28, s2, s21
	s_mul_hi_u32 s29, s2, s1
	s_add_i32 s28, s29, s28
	s_mul_i32 s29, s3, s1
	s_add_i32 s33, s28, s29
	s_sub_i32 s30, s27, s33
	s_mul_i32 s28, s2, s1
	s_sub_u32 s26, s26, s28
	s_cselect_b64 s[28:29], -1, 0
	s_cmp_lg_u64 s[28:29], 0
	s_subb_u32 s34, s30, s3
	s_sub_u32 s35, s26, s2
	s_cselect_b64 s[30:31], -1, 0
	s_cmp_lg_u64 s[30:31], 0
	s_subb_u32 s30, s34, 0
	s_cmp_ge_u32 s30, s3
	s_cselect_b32 s31, -1, 0
	s_cmp_ge_u32 s35, s2
	s_cselect_b32 s34, -1, 0
	s_cmp_eq_u32 s30, s3
	s_cselect_b32 s30, s34, s31
	s_add_u32 s31, s1, 1
	s_addc_u32 s34, s21, 0
	s_add_u32 s35, s1, 2
	s_addc_u32 s36, s21, 0
	s_cmp_lg_u32 s30, 0
	s_cselect_b32 s30, s35, s31
	s_cselect_b32 s31, s36, s34
	s_cmp_lg_u64 s[28:29], 0
	s_subb_u32 s27, s27, s33
	s_cmp_ge_u32 s27, s3
	s_cselect_b32 s28, -1, 0
	s_cmp_ge_u32 s26, s2
	s_cselect_b32 s2, -1, 0
	s_cmp_eq_u32 s27, s3
	s_cselect_b32 s2, s2, s28
	s_cmp_lg_u32 s2, 0
	s_cselect_b32 s3, s31, s21
	s_cselect_b32 s2, s30, s1
	s_xor_b64 s[8:9], s[8:9], 0
	s_xor_b64 s[2:3], s[2:3], s[8:9]
	s_sub_u32 s8, s2, s8
	s_cbranch_execnz .LBB32_11
.LBB32_10:
	s_sub_i32 s1, 0, s5
	v_readfirstlane_b32 s2, v7
	s_mul_i32 s1, s1, s2
	s_mul_hi_u32 s1, s2, s1
	s_add_i32 s2, s2, s1
	s_mul_hi_u32 s1, s20, s2
	s_mul_i32 s3, s1, s5
	s_sub_i32 s3, s20, s3
	s_add_i32 s2, s1, 1
	s_sub_i32 s8, s3, s5
	s_cmp_ge_u32 s3, s5
	s_cselect_b32 s1, s2, s1
	s_cselect_b32 s3, s8, s3
	s_add_i32 s2, s1, 1
	s_cmp_ge_u32 s3, s5
	s_cselect_b32 s8, s2, s1
.LBB32_11:
	s_cmp_lg_u32 s6, s8
	s_cbranch_scc0 .LBB32_15
; %bb.12:
	s_add_i32 s1, s10, s25
	s_lshl_b32 s1, s1, 2
	s_add_i32 s2, s1, s4
	s_mov_b32 s3, s0
	s_lshl_b64 s[2:3], s[2:3], 3
	s_add_u32 s20, s18, s2
	s_mul_hi_u32 s1, s8, s12
	s_addc_u32 s21, s19, s3
	s_add_i32 s1, s1, s8
	s_lshr_b32 s1, s1, s13
	s_mul_i32 s2, s1, s14
	s_cmp_eq_u32 s2, s8
	s_cselect_b64 s[2:3], -1, 0
	s_cmp_lt_u32 s1, s7
	s_cselect_b64 s[26:27], -1, 0
	s_or_b64 s[26:27], s[26:27], s[2:3]
	s_mov_b64 s[2:3], -1
	s_and_b64 vcc, exec, s[26:27]
	s_mov_b32 s1, s25
	s_mov_b32 s26, s6
	s_cbranch_vccnz .LBB32_14
; %bb.13:
	s_add_i32 s1, s25, -1
	s_mov_b64 s[2:3], 0
	s_mov_b32 s26, s8
.LBB32_14:
	s_mul_i32 s8, s25, 0x1c0
	v_add_u32_e32 v4, s8, v6
	v_ashrrev_i32_e32 v5, 31, v4
	v_lshl_add_u64 v[4:5], v[4:5], 2, s[16:17]
	global_load_dword v5, v[4:5], off
	s_load_dwordx2 s[8:9], s[20:21], 0x0
	v_max_f32_e32 v4, v9, v9
	s_waitcnt lgkmcnt(0)
	v_max_f32_e64 v10, s8, s8
	v_max_f32_e32 v10, v4, v10
	v_sub_f32_e32 v11, v9, v10
	v_sub_f32_e32 v13, s8, v10
	v_mul_f32_e32 v4, 0x3fb8aa3b, v11
	v_mul_f32_e32 v12, 0x3fb8aa3b, v13
	v_fma_f32 v14, v11, s15, -v4
	v_rndne_f32_e32 v15, v4
	v_fma_f32 v16, v13, s15, -v12
	v_rndne_f32_e32 v17, v12
	v_fmac_f32_e32 v14, 0x32a5705f, v11
	v_sub_f32_e32 v4, v4, v15
	v_fmac_f32_e32 v16, 0x32a5705f, v13
	v_sub_f32_e32 v12, v12, v17
	v_add_f32_e32 v4, v4, v14
	v_cvt_i32_f32_e32 v15, v15
	v_add_f32_e32 v12, v12, v16
	v_exp_f32_e32 v14, v4
	v_cvt_i32_f32_e32 v17, v17
	v_exp_f32_e32 v12, v12
	v_cmp_ngt_f32_e32 vcc, s22, v11
	v_ldexp_f32 v14, v14, v15
	v_mov_b32_e32 v4, s9
	v_ldexp_f32 v12, v12, v17
	v_cndmask_b32_e32 v14, 0, v14, vcc
	v_cmp_ngt_f32_e32 vcc, s22, v13
	s_nop 1
	v_cndmask_b32_e32 v12, 0, v12, vcc
	v_cmp_nlt_f32_e32 vcc, s23, v11
	s_nop 1
	v_cndmask_b32_e32 v14, v8, v14, vcc
	v_cmp_nlt_f32_e32 vcc, s23, v13
	s_nop 1
	v_cndmask_b32_e32 v15, v8, v12, vcc
	v_cmp_le_f32_e32 vcc, s24, v11
	s_nop 1
	v_cndmask_b32_e32 v12, 0, v14, vcc
	v_cmp_le_f32_e32 vcc, s24, v13
	s_nop 1
	v_cndmask_b32_e32 v14, 0, v15, vcc
	s_waitcnt vmcnt(0)
	v_pk_mul_f32 v[4:5], v[4:5], v[14:15] op_sel_hi:[1,0]
	s_nop 0
	v_pk_fma_f32 v[4:5], v[0:1], v[12:13], v[4:5] op_sel_hi:[1,0,1]
	s_cbranch_execz .LBB32_16
	s_branch .LBB32_17
.LBB32_15:
                                        ; implicit-def: $vgpr4_vgpr5
                                        ; implicit-def: $sgpr2_sgpr3
                                        ; implicit-def: $vgpr10
                                        ; implicit-def: $sgpr1
                                        ; implicit-def: $sgpr26
.LBB32_16:
	s_add_i32 s1, s25, -1
	s_mov_b64 s[2:3], 0
	s_mov_b32 s26, s6
	v_mov_b32_e32 v10, v9
	s_waitcnt vmcnt(0)
	v_mov_b64_e32 v[4:5], v[0:1]
.LBB32_17:
	s_andn2_b64 vcc, exec, s[2:3]
	s_cbranch_vccz .LBB32_22
; %bb.18:
	s_mov_b32 s6, s26
	s_mov_b32 s25, s1
	v_mov_b32_e32 v9, v10
	s_waitcnt vmcnt(0)
	v_mov_b64_e32 v[0:1], v[4:5]
	s_mul_hi_i32 s1, s25, s11
	s_cmp_lg_u64 s[0:1], 0
	s_mul_i32 s20, s25, s11
	s_cbranch_scc1 .LBB32_9
.LBB32_19:
                                        ; implicit-def: $sgpr8_sgpr9
	s_branch .LBB32_10
.LBB32_20:
                                        ; implicit-def: $sgpr6_sgpr7
	s_load_dwordx4 s[12:15], s[0:1], 0x44
	s_branch .LBB32_2
.LBB32_21:
                                        ; implicit-def: $sgpr18_sgpr19
	s_branch .LBB32_5
.LBB32_22:
	v_div_scale_f32 v0, s[0:1], v4, v4, v5
	s_waitcnt vmcnt(0)
	v_rcp_f32_e32 v1, v0
	v_div_scale_f32 v6, vcc, v5, v4, v5
	v_fma_f32 v7, -v0, v1, 1.0
	v_fmac_f32_e32 v1, v7, v1
	v_mul_f32_e32 v7, v6, v1
	v_fma_f32 v8, -v0, v7, v6
	v_fmac_f32_e32 v7, v8, v1
	v_fma_f32 v0, -v0, v7, v6
	v_div_fmas_f32 v0, v0, v1, v7
	v_div_fixup_f32 v0, v0, v4, v5
	global_store_dword v[2:3], v0, off
.LBB32_23:
	s_endpgm
	.section	.rodata,"a",@progbits
	.p2align	6, 0x0
	.amdhsa_kernel _ZL33flash_attn_stream_k_fixup_generalILi112ELi1ELi4EEvPfPK15HIP_vector_typeIfLj2EEiiiiS1_IjLj3EES5_S5_S5_
		.amdhsa_group_segment_fixed_size 0
		.amdhsa_private_segment_fixed_size 0
		.amdhsa_kernarg_size 336
		.amdhsa_user_sgpr_count 2
		.amdhsa_user_sgpr_dispatch_ptr 0
		.amdhsa_user_sgpr_queue_ptr 0
		.amdhsa_user_sgpr_kernarg_segment_ptr 1
		.amdhsa_user_sgpr_dispatch_id 0
		.amdhsa_user_sgpr_kernarg_preload_length 0
		.amdhsa_user_sgpr_kernarg_preload_offset 0
		.amdhsa_user_sgpr_private_segment_size 0
		.amdhsa_uses_dynamic_stack 0
		.amdhsa_enable_private_segment 0
		.amdhsa_system_sgpr_workgroup_id_x 1
		.amdhsa_system_sgpr_workgroup_id_y 1
		.amdhsa_system_sgpr_workgroup_id_z 1
		.amdhsa_system_sgpr_workgroup_info 0
		.amdhsa_system_vgpr_workitem_id 0
		.amdhsa_next_free_vgpr 18
		.amdhsa_next_free_sgpr 37
		.amdhsa_accum_offset 20
		.amdhsa_reserve_vcc 1
		.amdhsa_float_round_mode_32 0
		.amdhsa_float_round_mode_16_64 0
		.amdhsa_float_denorm_mode_32 3
		.amdhsa_float_denorm_mode_16_64 3
		.amdhsa_dx10_clamp 1
		.amdhsa_ieee_mode 1
		.amdhsa_fp16_overflow 0
		.amdhsa_tg_split 0
		.amdhsa_exception_fp_ieee_invalid_op 0
		.amdhsa_exception_fp_denorm_src 0
		.amdhsa_exception_fp_ieee_div_zero 0
		.amdhsa_exception_fp_ieee_overflow 0
		.amdhsa_exception_fp_ieee_underflow 0
		.amdhsa_exception_fp_ieee_inexact 0
		.amdhsa_exception_int_div_zero 0
	.end_amdhsa_kernel
	.section	.text._ZL33flash_attn_stream_k_fixup_generalILi112ELi1ELi4EEvPfPK15HIP_vector_typeIfLj2EEiiiiS1_IjLj3EES5_S5_S5_,"axG",@progbits,_ZL33flash_attn_stream_k_fixup_generalILi112ELi1ELi4EEvPfPK15HIP_vector_typeIfLj2EEiiiiS1_IjLj3EES5_S5_S5_,comdat
.Lfunc_end32:
	.size	_ZL33flash_attn_stream_k_fixup_generalILi112ELi1ELi4EEvPfPK15HIP_vector_typeIfLj2EEiiiiS1_IjLj3EES5_S5_S5_, .Lfunc_end32-_ZL33flash_attn_stream_k_fixup_generalILi112ELi1ELi4EEvPfPK15HIP_vector_typeIfLj2EEiiiiS1_IjLj3EES5_S5_S5_
                                        ; -- End function
	.set _ZL33flash_attn_stream_k_fixup_generalILi112ELi1ELi4EEvPfPK15HIP_vector_typeIfLj2EEiiiiS1_IjLj3EES5_S5_S5_.num_vgpr, 18
	.set _ZL33flash_attn_stream_k_fixup_generalILi112ELi1ELi4EEvPfPK15HIP_vector_typeIfLj2EEiiiiS1_IjLj3EES5_S5_S5_.num_agpr, 0
	.set _ZL33flash_attn_stream_k_fixup_generalILi112ELi1ELi4EEvPfPK15HIP_vector_typeIfLj2EEiiiiS1_IjLj3EES5_S5_S5_.numbered_sgpr, 37
	.set _ZL33flash_attn_stream_k_fixup_generalILi112ELi1ELi4EEvPfPK15HIP_vector_typeIfLj2EEiiiiS1_IjLj3EES5_S5_S5_.num_named_barrier, 0
	.set _ZL33flash_attn_stream_k_fixup_generalILi112ELi1ELi4EEvPfPK15HIP_vector_typeIfLj2EEiiiiS1_IjLj3EES5_S5_S5_.private_seg_size, 0
	.set _ZL33flash_attn_stream_k_fixup_generalILi112ELi1ELi4EEvPfPK15HIP_vector_typeIfLj2EEiiiiS1_IjLj3EES5_S5_S5_.uses_vcc, 1
	.set _ZL33flash_attn_stream_k_fixup_generalILi112ELi1ELi4EEvPfPK15HIP_vector_typeIfLj2EEiiiiS1_IjLj3EES5_S5_S5_.uses_flat_scratch, 0
	.set _ZL33flash_attn_stream_k_fixup_generalILi112ELi1ELi4EEvPfPK15HIP_vector_typeIfLj2EEiiiiS1_IjLj3EES5_S5_S5_.has_dyn_sized_stack, 0
	.set _ZL33flash_attn_stream_k_fixup_generalILi112ELi1ELi4EEvPfPK15HIP_vector_typeIfLj2EEiiiiS1_IjLj3EES5_S5_S5_.has_recursion, 0
	.set _ZL33flash_attn_stream_k_fixup_generalILi112ELi1ELi4EEvPfPK15HIP_vector_typeIfLj2EEiiiiS1_IjLj3EES5_S5_S5_.has_indirect_call, 0
	.section	.AMDGPU.csdata,"",@progbits
; Kernel info:
; codeLenInByte = 2936
; TotalNumSgprs: 43
; NumVgprs: 18
; NumAgprs: 0
; TotalNumVgprs: 18
; ScratchSize: 0
; MemoryBound: 0
; FloatMode: 240
; IeeeMode: 1
; LDSByteSize: 0 bytes/workgroup (compile time only)
; SGPRBlocks: 5
; VGPRBlocks: 2
; NumSGPRsForWavesPerEU: 43
; NumVGPRsForWavesPerEU: 18
; AccumOffset: 20
; Occupancy: 8
; WaveLimiterHint : 0
; COMPUTE_PGM_RSRC2:SCRATCH_EN: 0
; COMPUTE_PGM_RSRC2:USER_SGPR: 2
; COMPUTE_PGM_RSRC2:TRAP_HANDLER: 0
; COMPUTE_PGM_RSRC2:TGID_X_EN: 1
; COMPUTE_PGM_RSRC2:TGID_Y_EN: 1
; COMPUTE_PGM_RSRC2:TGID_Z_EN: 1
; COMPUTE_PGM_RSRC2:TIDIG_COMP_CNT: 0
; COMPUTE_PGM_RSRC3_GFX90A:ACCUM_OFFSET: 4
; COMPUTE_PGM_RSRC3_GFX90A:TG_SPLIT: 0
	.section	.text._ZL15flash_attn_tileILi112ELi112ELi32ELi2ELb0EEvPKcS1_S1_S1_S1_PKiPfP15HIP_vector_typeIfLj2EEffffjfiS5_IjLj3EEiiiiiiiiiiiliiliiiiil,"axG",@progbits,_ZL15flash_attn_tileILi112ELi112ELi32ELi2ELb0EEvPKcS1_S1_S1_S1_PKiPfP15HIP_vector_typeIfLj2EEffffjfiS5_IjLj3EEiiiiiiiiiiiliiliiiiil,comdat
	.globl	_ZL15flash_attn_tileILi112ELi112ELi32ELi2ELb0EEvPKcS1_S1_S1_S1_PKiPfP15HIP_vector_typeIfLj2EEffffjfiS5_IjLj3EEiiiiiiiiiiiliiliiiiil ; -- Begin function _ZL15flash_attn_tileILi112ELi112ELi32ELi2ELb0EEvPKcS1_S1_S1_S1_PKiPfP15HIP_vector_typeIfLj2EEffffjfiS5_IjLj3EEiiiiiiiiiiiliiliiiiil
	.p2align	8
	.type	_ZL15flash_attn_tileILi112ELi112ELi32ELi2ELb0EEvPKcS1_S1_S1_S1_PKiPfP15HIP_vector_typeIfLj2EEffffjfiS5_IjLj3EEiiiiiiiiiiiliiliiiiil,@function
_ZL15flash_attn_tileILi112ELi112ELi32ELi2ELb0EEvPKcS1_S1_S1_S1_PKiPfP15HIP_vector_typeIfLj2EEffffjfiS5_IjLj3EEiiiiiiiiiiiliiliiiiil: ; @_ZL15flash_attn_tileILi112ELi112ELi32ELi2ELb0EEvPKcS1_S1_S1_S1_PKiPfP15HIP_vector_typeIfLj2EEffffjfiS5_IjLj3EEiiiiiiiiiiiliiliiiiil
; %bb.0:
	s_load_dwordx4 s[64:67], s[0:1], 0x5c
	s_load_dwordx2 s[70:71], s[0:1], 0x80
	s_load_dwordx16 s[48:63], s[0:1], 0x0
	s_mov_b64 s[72:73], 0
	s_waitcnt lgkmcnt(0)
	s_lshr_b32 s5, s67, 31
	s_add_i32 s5, s67, s5
	s_ashr_i32 s5, s5, 1
	v_cvt_f32_u32_e32 v1, s5
	s_sub_i32 s6, 0, s5
	v_rcp_iflag_f32_e32 v1, v1
	s_nop 0
	v_mul_f32_e32 v1, 0x4f7ffffe, v1
	v_cvt_u32_f32_e32 v1, v1
	s_nop 0
	v_readfirstlane_b32 s7, v1
	s_mul_i32 s6, s6, s7
	s_mul_hi_u32 s6, s7, s6
	s_add_i32 s7, s7, s6
	s_mul_hi_u32 s6, s4, s7
	s_mul_i32 s7, s6, s5
	s_sub_i32 s7, s4, s7
	s_add_i32 s8, s6, 1
	s_sub_i32 s9, s7, s5
	s_cmp_ge_u32 s7, s5
	s_cselect_b32 s6, s8, s6
	s_cselect_b32 s7, s9, s7
	s_add_i32 s8, s6, 1
	s_cmp_ge_u32 s7, s5
	s_cselect_b32 s74, s8, s6
	s_abs_i32 s5, s71
	v_cvt_f32_u32_e32 v1, s5
	s_lshl_b32 s4, s4, 1
	s_mul_i32 s8, s74, s67
	s_sub_i32 s9, 0, s5
	v_rcp_iflag_f32_e32 v1, v1
	s_sub_i32 s68, s4, s8
	s_abs_i32 s7, s67
	s_xor_b32 s6, s67, s71
	v_mul_f32_e32 v1, 0x4f7ffffe, v1
	v_cvt_u32_f32_e32 v1, v1
	s_ashr_i32 s6, s6, 31
	v_readfirstlane_b32 s4, v1
	s_mul_i32 s9, s9, s4
	s_mul_hi_u32 s8, s4, s9
	s_add_i32 s4, s4, s8
	s_mul_hi_u32 s4, s7, s4
	s_mul_i32 s8, s4, s5
	s_sub_i32 s7, s7, s8
	s_add_i32 s9, s4, 1
	s_sub_i32 s8, s7, s5
	s_cmp_ge_u32 s7, s5
	s_cselect_b32 s4, s9, s4
	s_cselect_b32 s7, s8, s7
	s_add_i32 s8, s4, 1
	s_cmp_ge_u32 s7, s5
	s_cselect_b32 s4, s8, s4
	s_xor_b32 s4, s4, s6
	s_sub_i32 s15, s4, s6
	s_abs_i32 s14, s15
	v_cvt_f32_u32_e32 v1, s14
	s_load_dwordx2 s[4:5], s[0:1], 0xb8
	s_cmp_eq_u64 s[54:55], 0
	v_rcp_iflag_f32_e32 v1, v1
	s_nop 0
	v_mul_f32_e32 v1, 0x4f7ffffe, v1
	v_cvt_u32_f32_e32 v1, v1
	s_nop 0
	v_readfirstlane_b32 s16, v1
	s_cbranch_scc1 .LBB33_2
; %bb.1:
	s_waitcnt lgkmcnt(0)
	s_abs_i32 s4, s4
	v_cvt_f32_u32_e32 v1, s4
	s_sub_i32 s10, 0, s4
	s_abs_i32 s9, s74
	s_ashr_i32 s8, s74, 31
	v_rcp_iflag_f32_e32 v1, v1
	s_load_dwordx2 s[6:7], s[0:1], 0xc8
	v_mul_f32_e32 v1, 0x4f7ffffe, v1
	v_cvt_u32_f32_e32 v1, v1
	s_nop 0
	v_readfirstlane_b32 s11, v1
	s_mul_i32 s10, s10, s11
	s_mul_hi_u32 s10, s11, s10
	s_add_i32 s11, s11, s10
	s_mul_hi_u32 s10, s9, s11
	s_mul_i32 s10, s10, s4
	s_sub_i32 s9, s9, s10
	s_sub_i32 s10, s9, s4
	s_cmp_ge_u32 s9, s4
	s_cselect_b32 s9, s10, s9
	s_sub_i32 s10, s9, s4
	s_cmp_ge_u32 s9, s4
	s_cselect_b32 s4, s10, s9
	s_xor_b32 s4, s4, s8
	s_sub_i32 s4, s4, s8
	s_ashr_i32 s8, s4, 31
	s_waitcnt lgkmcnt(0)
	s_mul_hi_u32 s9, s6, s4
	s_mul_i32 s8, s6, s8
	s_mul_i32 s7, s7, s4
	s_add_i32 s8, s9, s8
	s_add_i32 s8, s8, s7
	s_mul_i32 s4, s6, s4
	s_add_u32 s72, s54, s4
	s_addc_u32 s73, s55, s8
.LBB33_2:
	s_load_dwordx4 s[8:11], s[0:1], 0x70
	s_waitcnt lgkmcnt(0)
	s_load_dword s4, s[0:1], 0x40
	s_lshl_b32 s33, s2, 5
	v_and_b32_e32 v152, 0x3ff, v0
	v_lshlrev_b32_e32 v12, 2, v152
	s_mul_i32 s6, s74, s10
	s_ashr_i32 s10, s6, 31
	s_mul_i32 s7, s68, s9
	s_add_u32 s6, s48, s6
	s_addc_u32 s10, s49, s10
	s_ashr_i32 s11, s7, 31
	s_add_u32 s6, s6, s7
	s_addc_u32 s7, s10, s11
	s_ashr_i32 s11, s9, 31
	s_mov_b32 s10, s9
	s_ashr_i32 s9, s8, 31
	v_bfe_u32 v2, v0, 10, 10
	v_cmp_gt_u32_e64 s[48:49], 28, v152
	s_lshr_b64 s[10:11], s[10:11], 2
	s_lshr_b64 s[8:9], s[8:9], 2
	v_mov_b32_e32 v1, 0
	v_lshlrev_b32_e32 v0, 2, v12
	s_and_saveexec_b64 s[12:13], s[48:49]
	s_cbranch_execz .LBB33_4
; %bb.3:
	v_lshl_add_u32 v3, v2, 2, s33
	v_mul_hi_u32 v4, v3, s64
	v_add_u32_e32 v4, v3, v4
	v_lshrrev_b32_e32 v4, s65, v4
	v_mul_lo_u32 v4, v4, s66
	v_sub_u32_e32 v3, v3, v4
	v_mad_u64_u32 v[4:5], s[18:19], s8, v3, 0
	v_mov_b32_e32 v6, v5
	v_mad_u64_u32 v[6:7], s[18:19], s9, v3, v[6:7]
	s_lshl_b64 s[18:19], s[10:11], 2
	v_mov_b32_e32 v5, v6
	s_add_u32 s18, s6, s18
	v_lshlrev_b64 v[8:9], 2, v[4:5]
	s_addc_u32 s19, s7, s19
	v_lshl_add_u64 v[4:5], s[6:7], 0, v[8:9]
	v_lshl_add_u64 v[8:9], s[18:19], 0, v[8:9]
	;; [unrolled: 1-line block ×4, first 2 shown]
	global_load_dwordx4 v[4:7], v[4:5], off
	s_movk_i32 s17, 0x700
	global_load_dwordx4 v[8:11], v[8:9], off
	v_lshlrev_b32_e32 v1, 3, v152
	v_mad_u32_u24 v1, v2, s17, v1
	s_waitcnt vmcnt(1) lgkmcnt(0)
	v_fma_mixlo_f16 v3, s4, v4, 0
	v_fma_mixlo_f16 v4, s4, v5, 0
	;; [unrolled: 1-line block ×4, first 2 shown]
	s_waitcnt vmcnt(0)
	v_fma_mixlo_f16 v7, s4, v8, 0
	v_fma_mixlo_f16 v8, s4, v9, 0
	;; [unrolled: 1-line block ×4, first 2 shown]
	v_lshlrev_b32_e32 v4, 16, v4
	v_and_b32_e32 v3, 0xffff, v3
	v_lshlrev_b32_e32 v6, 16, v6
	v_and_b32_e32 v5, 0xffff, v5
	;; [unrolled: 2-line block ×4, first 2 shown]
	v_or_b32_e32 v3, v4, v3
	v_or3_b32 v5, v6, v5, 0
	v_or_b32_e32 v6, v8, v7
	v_or3_b32 v7, v10, v9, 0
	v_or3_b32 v4, 0, 0, v3
	;; [unrolled: 1-line block ×3, first 2 shown]
	ds_write2_b64 v1, v[4:5], v[6:7] offset1:28
.LBB33_4:
	s_or_b64 exec, exec, s[12:13]
	v_lshlrev_b32_e32 v3, 3, v2
	v_or_b32_e32 v4, 2, v3
	v_lshrrev_b32_e32 v15, 1, v4
	s_and_saveexec_b64 s[12:13], s[48:49]
	s_cbranch_execnz .LBB33_15
; %bb.5:
	s_or_b64 exec, exec, s[12:13]
	v_or_b32_e32 v14, 3, v3
	s_and_saveexec_b64 s[12:13], s[48:49]
	s_cbranch_execnz .LBB33_16
.LBB33_6:
	s_or_b64 exec, exec, s[12:13]
	v_or_b32_e32 v13, 4, v3
	s_and_saveexec_b64 s[12:13], s[48:49]
	s_cbranch_execnz .LBB33_17
.LBB33_7:
	s_or_b64 exec, exec, s[12:13]
	v_or_b32_e32 v11, 5, v3
	s_and_saveexec_b64 s[12:13], s[48:49]
	s_cbranch_execnz .LBB33_18
.LBB33_8:
	s_or_b64 exec, exec, s[12:13]
	v_or_b32_e32 v10, 6, v3
	s_and_saveexec_b64 s[12:13], s[48:49]
	s_cbranch_execnz .LBB33_19
.LBB33_9:
	s_or_b64 exec, exec, s[12:13]
	v_or_b32_e32 v9, 7, v3
	s_and_saveexec_b64 s[12:13], s[48:49]
	s_cbranch_execz .LBB33_11
.LBB33_10:
	v_lshrrev_b32_e32 v1, 1, v9
	v_add_u32_e32 v1, s33, v1
	v_mul_hi_u32 v4, v1, s64
	v_add_u32_e32 v4, v1, v4
	v_lshrrev_b32_e32 v4, s65, v4
	s_lshl_b64 s[10:11], s[10:11], 2
	v_mul_lo_u32 v4, v4, s66
	s_add_u32 s6, s6, s10
	v_sub_u32_e32 v1, v1, v4
	s_addc_u32 s7, s7, s11
	v_mad_u64_u32 v[4:5], s[10:11], s8, v1, 0
	v_mov_b32_e32 v6, v5
	v_mad_u64_u32 v[6:7], s[8:9], s9, v1, v[6:7]
	v_mov_b32_e32 v5, v6
	v_lshl_add_u64 v[4:5], v[4:5], 2, s[6:7]
	v_mov_b32_e32 v1, 0
	v_lshl_add_u64 v[0:1], v[4:5], 0, v[0:1]
	global_load_dwordx4 v[4:7], v[0:1], off
	s_movk_i32 s6, 0xe0
	v_lshlrev_b32_e32 v0, 3, v152
	v_mad_u32_u24 v8, v9, s6, v0
	s_waitcnt vmcnt(0) lgkmcnt(0)
	v_fma_mixlo_f16 v0, s4, v4, 0
	v_fma_mixlo_f16 v1, s4, v6, 0
	v_mov_b32_e32 v4, v7
	v_and_b32_e32 v6, 0xffff, v0
	v_and_b32_e32 v7, 0xffff, v1
	v_pk_mul_f32 v[0:1], s[4:5], v[4:5] op_sel_hi:[0,1]
	v_cvt_pk_f16_f32 v0, v0, v1
	v_lshlrev_b32_e32 v1, 16, v0
	v_and_b32_e32 v0, 0xffff0000, v0
	v_or_b32_e32 v0, v0, v6
	v_or3_b32 v1, v1, v7, 0
	v_or3_b32 v0, 0, 0, v0
	ds_write_b64 v8, v[0:1]
.LBB33_11:
	s_or_b64 exec, exec, s[12:13]
	s_cmp_eq_u64 s[58:59], 0
	s_waitcnt lgkmcnt(0)
	s_barrier
	s_cbranch_scc1 .LBB33_13
; %bb.12:
	s_load_dword s4, s[0:1], 0xd0
	s_mov_b32 s7, 0
	s_waitcnt lgkmcnt(0)
	s_mul_i32 s4, s4, s74
	s_add_i32 s6, s4, s2
	s_lshl_b64 s[6:7], s[6:7], 2
	s_add_u32 s6, s58, s6
	s_addc_u32 s7, s59, s7
	s_load_dword s70, s[6:7], 0x0
.LBB33_13:
	s_lshl_b32 s2, s3, 5
	s_waitcnt lgkmcnt(0)
	s_cmp_lt_i32 s2, s70
	v_mbcnt_lo_u32_b32 v0, -1, 0
	s_cbranch_scc1 .LBB33_20
; %bb.14:
	v_mbcnt_hi_u32_b32 v165, -1, v0
	v_and_b32_e32 v1, 0x60, v165
	v_add_u32_e32 v187, 32, v1
	v_xor_b32_e32 v188, 16, v165
	v_xor_b32_e32 v189, 8, v165
	;; [unrolled: 1-line block ×5, first 2 shown]
	s_mov_b64 s[6:7], 0
	s_branch .LBB33_21
.LBB33_15:
	v_add_u32_e32 v1, s33, v15
	v_mul_hi_u32 v5, v1, s64
	v_add_u32_e32 v5, v1, v5
	v_lshrrev_b32_e32 v5, s65, v5
	v_mul_lo_u32 v5, v5, s66
	v_sub_u32_e32 v1, v1, v5
	v_mad_u64_u32 v[6:7], s[18:19], s8, v1, 0
	v_mov_b32_e32 v8, v7
	v_mad_u64_u32 v[8:9], s[18:19], s9, v1, v[8:9]
	v_mov_b32_e32 v7, v8
	v_lshl_add_u64 v[6:7], v[6:7], 2, s[6:7]
	v_mov_b32_e32 v1, 0
	v_lshl_add_u64 v[6:7], v[6:7], 0, v[0:1]
	global_load_dwordx4 v[6:9], v[6:7], off
	s_movk_i32 s17, 0xe0
	v_lshlrev_b32_e32 v1, 3, v152
	v_mad_u32_u24 v1, v4, s17, v1
	s_waitcnt vmcnt(0) lgkmcnt(0)
	v_fma_mixlo_f16 v4, s4, v6, 0
	v_fma_mixlo_f16 v5, s4, v8, 0
	v_mov_b32_e32 v6, v9
	v_and_b32_e32 v8, 0xffff, v4
	v_and_b32_e32 v9, 0xffff, v5
	v_pk_mul_f32 v[4:5], s[4:5], v[6:7] op_sel_hi:[0,1]
	v_cvt_pk_f16_f32 v4, v4, v5
	v_lshlrev_b32_e32 v5, 16, v4
	v_and_b32_e32 v4, 0xffff0000, v4
	v_or_b32_e32 v4, v4, v8
	v_or3_b32 v5, v5, v9, 0
	v_or3_b32 v4, 0, 0, v4
	ds_write_b64 v1, v[4:5]
	s_or_b64 exec, exec, s[12:13]
	v_or_b32_e32 v14, 3, v3
	s_and_saveexec_b64 s[12:13], s[48:49]
	s_cbranch_execz .LBB33_6
.LBB33_16:
	v_lshrrev_b32_e32 v1, 1, v14
	v_add_u32_e32 v1, s33, v1
	v_mul_hi_u32 v4, v1, s64
	v_add_u32_e32 v4, v1, v4
	v_lshrrev_b32_e32 v4, s65, v4
	v_mul_lo_u32 v4, v4, s66
	v_sub_u32_e32 v1, v1, v4
	v_mad_u64_u32 v[4:5], s[20:21], s8, v1, 0
	s_lshl_b64 s[18:19], s[10:11], 2
	v_mov_b32_e32 v6, v5
	s_add_u32 s18, s6, s18
	v_mad_u64_u32 v[6:7], s[20:21], s9, v1, v[6:7]
	s_addc_u32 s19, s7, s19
	v_mov_b32_e32 v5, v6
	v_lshl_add_u64 v[4:5], v[4:5], 2, s[18:19]
	v_mov_b32_e32 v1, 0
	v_lshl_add_u64 v[4:5], v[4:5], 0, v[0:1]
	global_load_dwordx4 v[4:7], v[4:5], off
	s_movk_i32 s17, 0xe0
	v_lshlrev_b32_e32 v1, 3, v152
	v_mad_u32_u24 v1, v14, s17, v1
	s_waitcnt vmcnt(0) lgkmcnt(0)
	v_fma_mixlo_f16 v8, s4, v4, 0
	v_mov_b32_e32 v4, v7
	v_pk_mul_f32 v[4:5], s[4:5], v[4:5] op_sel_hi:[0,1]
	v_cvt_pk_f16_f32 v4, v4, v5
	v_fma_mixlo_f16 v6, s4, v6, 0
	v_and_b32_e32 v7, 0xffff, v8
	v_lshlrev_b32_e32 v5, 16, v4
	v_and_b32_e32 v4, 0xffff0000, v4
	v_and_b32_e32 v6, 0xffff, v6
	v_or_b32_e32 v4, v4, v7
	v_or3_b32 v5, v5, v6, 0
	v_or3_b32 v4, 0, 0, v4
	ds_write_b64 v1, v[4:5]
	s_or_b64 exec, exec, s[12:13]
	v_or_b32_e32 v13, 4, v3
	s_and_saveexec_b64 s[12:13], s[48:49]
	s_cbranch_execz .LBB33_7
.LBB33_17:
	v_lshrrev_b32_e32 v1, 1, v13
	v_add_u32_e32 v1, s33, v1
	v_mul_hi_u32 v4, v1, s64
	v_add_u32_e32 v4, v1, v4
	v_lshrrev_b32_e32 v4, s65, v4
	v_mul_lo_u32 v4, v4, s66
	v_sub_u32_e32 v1, v1, v4
	v_mad_u64_u32 v[4:5], s[18:19], s8, v1, 0
	v_mov_b32_e32 v6, v5
	v_mad_u64_u32 v[6:7], s[18:19], s9, v1, v[6:7]
	v_mov_b32_e32 v5, v6
	v_lshl_add_u64 v[4:5], v[4:5], 2, s[6:7]
	v_mov_b32_e32 v1, 0
	v_lshl_add_u64 v[4:5], v[4:5], 0, v[0:1]
	global_load_dwordx4 v[4:7], v[4:5], off
	s_movk_i32 s17, 0xe0
	v_lshlrev_b32_e32 v1, 3, v152
	v_mad_u32_u24 v1, v13, s17, v1
	s_waitcnt vmcnt(0) lgkmcnt(0)
	v_fma_mixlo_f16 v8, s4, v4, 0
	v_mov_b32_e32 v4, v7
	v_pk_mul_f32 v[4:5], s[4:5], v[4:5] op_sel_hi:[0,1]
	v_cvt_pk_f16_f32 v4, v4, v5
	v_fma_mixlo_f16 v6, s4, v6, 0
	v_and_b32_e32 v7, 0xffff, v8
	v_lshlrev_b32_e32 v5, 16, v4
	v_and_b32_e32 v4, 0xffff0000, v4
	v_and_b32_e32 v6, 0xffff, v6
	v_or_b32_e32 v4, v4, v7
	v_or3_b32 v5, v5, v6, 0
	v_or3_b32 v4, 0, 0, v4
	ds_write_b64 v1, v[4:5]
	s_or_b64 exec, exec, s[12:13]
	v_or_b32_e32 v11, 5, v3
	s_and_saveexec_b64 s[12:13], s[48:49]
	s_cbranch_execz .LBB33_8
.LBB33_18:
	v_lshrrev_b32_e32 v1, 1, v11
	v_add_u32_e32 v1, s33, v1
	v_mul_hi_u32 v4, v1, s64
	v_add_u32_e32 v4, v1, v4
	v_lshrrev_b32_e32 v4, s65, v4
	v_mul_lo_u32 v4, v4, s66
	v_sub_u32_e32 v1, v1, v4
	v_mad_u64_u32 v[4:5], s[20:21], s8, v1, 0
	s_lshl_b64 s[18:19], s[10:11], 2
	v_mov_b32_e32 v6, v5
	s_add_u32 s18, s6, s18
	v_mad_u64_u32 v[6:7], s[20:21], s9, v1, v[6:7]
	s_addc_u32 s19, s7, s19
	v_mov_b32_e32 v5, v6
	v_lshl_add_u64 v[4:5], v[4:5], 2, s[18:19]
	v_mov_b32_e32 v1, 0
	v_lshl_add_u64 v[4:5], v[4:5], 0, v[0:1]
	global_load_dwordx4 v[4:7], v[4:5], off
	s_movk_i32 s17, 0xe0
	v_lshlrev_b32_e32 v1, 3, v152
	v_mad_u32_u24 v1, v11, s17, v1
	s_waitcnt vmcnt(0) lgkmcnt(0)
	v_fma_mixlo_f16 v8, s4, v4, 0
	v_mov_b32_e32 v4, v7
	v_pk_mul_f32 v[4:5], s[4:5], v[4:5] op_sel_hi:[0,1]
	v_cvt_pk_f16_f32 v4, v4, v5
	v_fma_mixlo_f16 v6, s4, v6, 0
	v_and_b32_e32 v7, 0xffff, v8
	v_lshlrev_b32_e32 v5, 16, v4
	v_and_b32_e32 v4, 0xffff0000, v4
	v_and_b32_e32 v6, 0xffff, v6
	v_or_b32_e32 v4, v4, v7
	v_or3_b32 v5, v5, v6, 0
	v_or3_b32 v4, 0, 0, v4
	ds_write_b64 v1, v[4:5]
	s_or_b64 exec, exec, s[12:13]
	v_or_b32_e32 v10, 6, v3
	s_and_saveexec_b64 s[12:13], s[48:49]
	s_cbranch_execz .LBB33_9
.LBB33_19:
	v_lshrrev_b32_e32 v1, 1, v10
	v_add_u32_e32 v1, s33, v1
	v_mul_hi_u32 v4, v1, s64
	v_add_u32_e32 v4, v1, v4
	v_lshrrev_b32_e32 v4, s65, v4
	v_mul_lo_u32 v4, v4, s66
	v_sub_u32_e32 v1, v1, v4
	v_mad_u64_u32 v[4:5], s[18:19], s8, v1, 0
	v_mov_b32_e32 v6, v5
	v_mad_u64_u32 v[6:7], s[18:19], s9, v1, v[6:7]
	v_mov_b32_e32 v5, v6
	v_lshl_add_u64 v[4:5], v[4:5], 2, s[6:7]
	v_mov_b32_e32 v1, 0
	v_lshl_add_u64 v[4:5], v[4:5], 0, v[0:1]
	global_load_dwordx4 v[4:7], v[4:5], off
	s_movk_i32 s17, 0xe0
	v_lshlrev_b32_e32 v1, 3, v152
	v_mad_u32_u24 v1, v10, s17, v1
	s_waitcnt vmcnt(0) lgkmcnt(0)
	v_fma_mixlo_f16 v8, s4, v4, 0
	v_mov_b32_e32 v4, v7
	v_pk_mul_f32 v[4:5], s[4:5], v[4:5] op_sel_hi:[0,1]
	v_cvt_pk_f16_f32 v4, v4, v5
	v_fma_mixlo_f16 v6, s4, v6, 0
	v_and_b32_e32 v7, 0xffff, v8
	v_lshlrev_b32_e32 v5, 16, v4
	v_and_b32_e32 v4, 0xffff0000, v4
	v_and_b32_e32 v6, 0xffff, v6
	v_or_b32_e32 v4, v4, v7
	v_or3_b32 v5, v5, v6, 0
	v_or3_b32 v4, 0, 0, v4
	ds_write_b64 v1, v[4:5]
	s_or_b64 exec, exec, s[12:13]
	v_or_b32_e32 v9, 7, v3
	s_and_saveexec_b64 s[12:13], s[48:49]
	s_cbranch_execnz .LBB33_10
	s_branch .LBB33_11
.LBB33_20:
	s_mov_b64 s[6:7], -1
                                        ; implicit-def: $vgpr165
                                        ; implicit-def: $vgpr187
                                        ; implicit-def: $vgpr188
                                        ; implicit-def: $vgpr189
                                        ; implicit-def: $vgpr191
                                        ; implicit-def: $vgpr192
                                        ; implicit-def: $vgpr190
.LBB33_21:
	scratch_store_dword off, v15, off offset:4 ; 4-byte Folded Spill
	scratch_store_dword off, v14, off offset:12 ; 4-byte Folded Spill
	;; [unrolled: 1-line block ×6, first 2 shown]
	s_andn2_b64 vcc, exec, s[6:7]
	v_lshlrev_b32_e32 v11, 2, v2
	scratch_store_dword off, v11, off offset:8 ; 4-byte Folded Spill
	s_cbranch_vccnz .LBB33_49
; %bb.22:
	s_load_dwordx2 s[6:7], s[0:1], 0x8c
	s_load_dwordx4 s[8:11], s[0:1], 0x98
	v_lshrrev_b32_e32 v4, 1, v152
	v_lshl_add_u32 v5, v2, 4, v4
	v_lshrrev_b32_e32 v4, 2, v152
	v_add_u32_e32 v3, v4, v3
	v_lshlrev_b32_e32 v4, 7, v152
	s_waitcnt lgkmcnt(0)
	s_ashr_i32 s59, s6, 2
	v_lshl_add_u32 v1, v2, 5, v152
	v_add_u32_e32 v170, 0x3800, v4
	v_add_u32_e32 v173, 0x3860, v4
	v_and_b32_e32 v4, 4, v12
	v_cmp_gt_u32_e32 vcc, 32, v1
	v_mul_lo_u32 v114, s59, v1
	v_lshlrev_b32_e32 v1, 2, v4
	v_lshl_or_b32 v6, v5, 7, v1
	v_add_u32_e32 v6, 0x3840, v6
	scratch_store_dword off, v6, off        ; 4-byte Folded Spill
	v_and_b32_e32 v6, 12, v12
	v_lshlrev_b32_e32 v7, 2, v6
	v_lshl_or_b32 v8, v3, 7, v7
	v_add_u32_e32 v174, 0x3800, v8
	v_add_u32_e32 v8, s33, v11
	s_sub_i32 s4, 0, s14
	v_mul_hi_u32 v9, s64, v8
	s_mul_i32 s4, s4, s16
	s_ashr_i32 s58, s10, 2
	s_ashr_i32 s10, s5, 1
	;; [unrolled: 1-line block ×3, first 2 shown]
	v_add_u32_e32 v9, v8, v9
	s_mul_hi_u32 s4, s16, s4
	s_mul_hi_u32 s6, s8, s74
	s_mul_i32 s18, s8, s5
	v_lshrrev_b32_e32 v9, s65, v9
	s_abs_i32 s17, s68
	s_add_i32 s16, s16, s4
	s_add_i32 s6, s6, s18
	s_mul_i32 s9, s9, s74
	v_mul_lo_u32 v9, v9, s66
	s_mul_hi_u32 s4, s17, s16
	s_ashr_i32 s16, s68, 31
	s_ashr_i32 s15, s15, 31
	s_add_i32 s6, s6, s9
	s_mul_i32 s8, s8, s74
	v_sub_u32_e32 v9, v8, v9
	s_add_u32 s8, s50, s8
	v_mul_lo_u32 v175, v9, s10
	v_add_u32_e32 v9, 1, v8
	s_addc_u32 s6, s51, s6
	s_xor_b32 s9, s16, s15
	s_mul_i32 s15, s4, s14
	v_mul_hi_u32 v10, s64, v9
	s_sub_i32 s15, s17, s15
	v_add_u32_e32 v10, v9, v10
	s_add_i32 s16, s4, 1
	s_sub_i32 s17, s15, s14
	v_lshrrev_b32_e32 v10, s65, v10
	s_cmp_ge_u32 s15, s14
	v_mul_lo_u32 v10, v10, s66
	s_cselect_b32 s4, s16, s4
	v_sub_u32_e32 v9, v9, v10
	s_cselect_b32 s15, s17, s15
	s_add_i32 s16, s4, 1
	v_mul_lo_u32 v176, v9, s10
	v_add_u32_e32 v9, 2, v8
	s_cmp_ge_u32 s15, s14
	v_mul_hi_u32 v10, s64, v9
	s_cselect_b32 s4, s16, s4
	v_add_u32_e32 v10, v9, v10
	s_load_dwordx2 s[12:13], s[0:1], 0xa8
	s_xor_b32 s4, s4, s9
	v_lshrrev_b32_e32 v10, s65, v10
	s_sub_i32 s4, s4, s9
	v_mul_lo_u32 v10, v10, s66
	s_mul_i32 s7, s4, s7
	v_sub_u32_e32 v9, v9, v10
	v_add_u32_e32 v8, 3, v8
	s_ashr_i32 s9, s7, 31
	v_mul_lo_u32 v177, v9, s10
	v_mul_hi_u32 v9, s64, v8
	s_add_u32 s69, s8, s7
	v_add_u32_e32 v9, v8, v9
	s_addc_u32 s71, s6, s9
	s_waitcnt lgkmcnt(0)
	s_mul_hi_u32 s6, s12, s74
	s_mul_i32 s5, s12, s5
	v_lshrrev_b32_e32 v9, s65, v9
	s_add_i32 s5, s6, s5
	s_mul_i32 s6, s13, s74
	v_mul_lo_u32 v9, v9, s66
	s_add_i32 s5, s5, s6
	s_mul_i32 s6, s12, s74
	v_sub_u32_e32 v8, v8, v9
	s_add_u32 s6, s52, s6
	s_mul_i32 s4, s4, s11
	v_mul_lo_u32 v178, v8, s10
	v_mov_b32_e32 v8, 0x4840
	s_addc_u32 s5, s53, s5
	s_ashr_i32 s7, s4, 31
	v_lshl_add_u32 v179, v2, 9, v8
	v_mul_u32_u24_e32 v8, 0xe0, v5
	s_add_u32 s75, s6, s4
	v_mul_u32_u24_e32 v171, 0x700, v2
	v_lshrrev_b32_e32 v2, 3, v152
	v_or_b32_e32 v1, v8, v1
	s_addc_u32 s76, s5, s7
	v_add_u32_e32 v2, v2, v11
	v_add_u32_e32 v180, 0x38c0, v1
	v_mul_u32_u24_e32 v1, 0xe0, v3
	s_movk_i32 s15, 0x3880
	v_and_b32_e32 v8, 28, v12
	v_cmp_gt_u32_e64 s[6:7], 32, v3
	s_movk_i32 s14, 0x3800
	v_mul_lo_u32 v116, s59, v5
	v_mov_b32_e32 v119, 0
	v_mul_lo_u32 v120, s59, v3
	v_lshlrev_b32_e32 v9, 4, v152
	v_cmp_gt_u32_e64 s[10:11], 16, v3
	v_mul_lo_u32 v122, s58, v5
	v_add3_u32 v182, v1, v7, s15
	v_mul_lo_u32 v124, s58, v3
	v_mul_u32_u24_e32 v1, 0xe0, v2
	v_lshlrev_b32_e32 v3, 2, v8
	v_mul_lo_u32 v128, s58, v2
	s_add_u32 s50, s0, 0xd0
	v_cmp_gt_u32_e64 s[4:5], 32, v5
	v_ashrrev_i32_e32 v115, 31, v114
	v_ashrrev_i32_e32 v117, 31, v116
	v_ashrrev_i32_e32 v121, 31, v120
	v_cmp_gt_u32_e64 s[8:9], 16, v5
	v_cmp_gt_u32_e64 s[12:13], 16, v2
	v_ashrrev_i32_e32 v123, 31, v122
	v_ashrrev_i32_e32 v125, 31, v124
	v_mov_b32_e32 v172, v8
	v_add3_u32 v183, v1, v3, s14
	v_ashrrev_i32_e32 v129, 31, v128
	s_addc_u32 s51, s1, 0
	v_mov_b32_e32 v8, 0xfeffffff
	s_mov_b32 s64, 0x3fb8aa3b
	s_mov_b32 s65, 0xc2ce8ed0
	;; [unrolled: 1-line block ×3, first 2 shown]
	v_add_u32_e32 v185, v179, v9
	s_mov_b32 s78, 0x10001
	v_lshlrev_b32_e32 v118, 2, v4
	v_lshlrev_b32_e32 v130, 2, v6
	v_mbcnt_hi_u32_b32 v165, -1, v0
	v_mov_b32_e32 v186, 0x7f800000
	v_mov_b32_e32 v156, v119
	;; [unrolled: 1-line block ×32, first 2 shown]
.LBB33_23:                              ; =>This Inner Loop Header: Depth=1
	s_mul_hi_i32 s15, s2, s59
	s_mul_i32 s14, s2, s59
	s_lshl_b64 s[14:15], s[14:15], 2
	s_add_u32 s14, s69, s14
	s_addc_u32 s15, s71, s15
	v_lshl_add_u64 v[4:5], v[114:115], 2, s[14:15]
	s_and_saveexec_b64 s[16:17], vcc
	s_cbranch_execnz .LBB33_41
; %bb.24:                               ;   in Loop: Header=BB33_23 Depth=1
	s_or_b64 exec, exec, s[16:17]
	v_lshl_add_u64 v[0:1], v[116:117], 2, s[14:15]
	s_and_saveexec_b64 s[16:17], s[4:5]
	s_cbranch_execnz .LBB33_42
.LBB33_25:                              ;   in Loop: Header=BB33_23 Depth=1
	s_or_b64 exec, exec, s[16:17]
	v_lshl_add_u64 v[2:3], v[120:121], 2, s[14:15]
	s_and_saveexec_b64 s[14:15], s[6:7]
	s_cbranch_execz .LBB33_27
.LBB33_26:                              ;   in Loop: Header=BB33_23 Depth=1
	v_mov_b32_e32 v131, v119
	v_lshl_add_u64 v[6:7], v[2:3], 0, v[130:131]
	global_load_dwordx4 v[16:19], v[6:7], off
	s_waitcnt vmcnt(0)
	ds_write_b128 v174, v[16:19]
.LBB33_27:                              ;   in Loop: Header=BB33_23 Depth=1
	s_or_b64 exec, exec, s[14:15]
	v_mov_b32_e32 v21, 0
	s_waitcnt lgkmcnt(0)
	s_barrier
	ds_read_b128 v[22:25], v170
	ds_read_b128 v[16:19], v171
	ds_read_b128 v[26:29], v171 offset:224
	ds_read_b128 v[30:33], v171 offset:448
	;; [unrolled: 1-line block ×7, first 2 shown]
	s_waitcnt lgkmcnt(7)
	;;#ASMSTART
	v_dot2_f32_f16 v21, v22, v16, v21
	;;#ASMEND
	v_mov_b32_e32 v20, 0
	;;#ASMSTART
	v_dot2_f32_f16 v21, v23, v17, v21
	;;#ASMEND
	v_mov_b32_e32 v17, 0
	;; [unrolled: 4-line block ×3, first 2 shown]
	;;#ASMSTART
	v_dot2_f32_f16 v21, v25, v19, v21
	;;#ASMEND
	s_waitcnt lgkmcnt(6)
	;;#ASMSTART
	v_dot2_f32_f16 v20, v22, v26, v20
	;;#ASMEND
	v_mov_b32_e32 v19, 0
	;;#ASMSTART
	v_dot2_f32_f16 v20, v23, v27, v20
	;;#ASMEND
	v_mov_b32_e32 v16, 0
	;; [unrolled: 4-line block ×3, first 2 shown]
	;;#ASMSTART
	v_dot2_f32_f16 v20, v25, v29, v20
	;;#ASMEND
	s_waitcnt lgkmcnt(5)
	;;#ASMSTART
	v_dot2_f32_f16 v19, v22, v30, v19
	;;#ASMEND
	v_mov_b32_e32 v6, 0
	;;#ASMSTART
	v_dot2_f32_f16 v19, v23, v31, v19
	;;#ASMEND
	s_nop 0
	;;#ASMSTART
	v_dot2_f32_f16 v19, v24, v32, v19
	;;#ASMEND
	s_nop 0
	;;#ASMSTART
	v_dot2_f32_f16 v19, v25, v33, v19
	;;#ASMEND
	s_waitcnt lgkmcnt(4)
	;;#ASMSTART
	v_dot2_f32_f16 v18, v22, v34, v18
	;;#ASMEND
	s_nop 0
	;;#ASMSTART
	v_dot2_f32_f16 v18, v23, v35, v18
	;;#ASMEND
	s_nop 0
	;;#ASMSTART
	v_dot2_f32_f16 v18, v24, v36, v18
	;;#ASMEND
	s_nop 0
	;;#ASMSTART
	v_dot2_f32_f16 v18, v25, v37, v18
	;;#ASMEND
	s_waitcnt lgkmcnt(3)
	;;#ASMSTART
	v_dot2_f32_f16 v17, v22, v38, v17
	;;#ASMEND
	s_nop 0
	;; [unrolled: 16-line block ×5, first 2 shown]
	;;#ASMSTART
	v_dot2_f32_f16 v6, v23, v51, v6
	;;#ASMEND
	s_nop 0
	;;#ASMSTART
	v_dot2_f32_f16 v6, v24, v52, v6
	;;#ASMEND
	s_nop 0
	;;#ASMSTART
	v_dot2_f32_f16 v6, v25, v53, v6
	;;#ASMEND
	ds_read_b128 v[22:25], v170 offset:16
	ds_read_b128 v[26:29], v171 offset:16
	;; [unrolled: 1-line block ×9, first 2 shown]
	s_waitcnt lgkmcnt(7)
	;;#ASMSTART
	v_dot2_f32_f16 v21, v22, v26, v21
	;;#ASMEND
	s_nop 0
	;;#ASMSTART
	v_dot2_f32_f16 v21, v23, v27, v21
	;;#ASMEND
	s_nop 0
	;;#ASMSTART
	v_dot2_f32_f16 v21, v24, v28, v21
	;;#ASMEND
	s_nop 0
	;;#ASMSTART
	v_dot2_f32_f16 v21, v25, v29, v21
	;;#ASMEND
	s_waitcnt lgkmcnt(6)
	;;#ASMSTART
	v_dot2_f32_f16 v20, v22, v30, v20
	;;#ASMEND
	s_nop 0
	;;#ASMSTART
	v_dot2_f32_f16 v20, v23, v31, v20
	;;#ASMEND
	s_nop 0
	;;#ASMSTART
	v_dot2_f32_f16 v20, v24, v32, v20
	;;#ASMEND
	s_nop 0
	;;#ASMSTART
	v_dot2_f32_f16 v20, v25, v33, v20
	;;#ASMEND
	s_waitcnt lgkmcnt(5)
	;;#ASMSTART
	v_dot2_f32_f16 v19, v22, v34, v19
	;;#ASMEND
	s_nop 0
	;;#ASMSTART
	v_dot2_f32_f16 v19, v23, v35, v19
	;;#ASMEND
	s_nop 0
	;;#ASMSTART
	v_dot2_f32_f16 v19, v24, v36, v19
	;;#ASMEND
	s_nop 0
	;;#ASMSTART
	v_dot2_f32_f16 v19, v25, v37, v19
	;;#ASMEND
	s_waitcnt lgkmcnt(4)
	;;#ASMSTART
	v_dot2_f32_f16 v18, v22, v38, v18
	;;#ASMEND
	s_nop 0
	;;#ASMSTART
	v_dot2_f32_f16 v18, v23, v39, v18
	;;#ASMEND
	s_nop 0
	;;#ASMSTART
	v_dot2_f32_f16 v18, v24, v40, v18
	;;#ASMEND
	s_nop 0
	;;#ASMSTART
	v_dot2_f32_f16 v18, v25, v41, v18
	;;#ASMEND
	s_waitcnt lgkmcnt(3)
	;;#ASMSTART
	v_dot2_f32_f16 v17, v22, v42, v17
	;;#ASMEND
	s_nop 0
	;;#ASMSTART
	v_dot2_f32_f16 v17, v23, v43, v17
	;;#ASMEND
	s_nop 0
	;;#ASMSTART
	v_dot2_f32_f16 v17, v24, v44, v17
	;;#ASMEND
	s_nop 0
	;;#ASMSTART
	v_dot2_f32_f16 v17, v25, v45, v17
	;;#ASMEND
	s_waitcnt lgkmcnt(2)
	;;#ASMSTART
	v_dot2_f32_f16 v16, v22, v46, v16
	;;#ASMEND
	s_nop 0
	;;#ASMSTART
	v_dot2_f32_f16 v16, v23, v47, v16
	;;#ASMEND
	s_nop 0
	;;#ASMSTART
	v_dot2_f32_f16 v16, v24, v48, v16
	;;#ASMEND
	s_nop 0
	;;#ASMSTART
	v_dot2_f32_f16 v16, v25, v49, v16
	;;#ASMEND
	s_waitcnt lgkmcnt(1)
	;;#ASMSTART
	v_dot2_f32_f16 v7, v22, v50, v7
	;;#ASMEND
	s_nop 0
	;;#ASMSTART
	v_dot2_f32_f16 v7, v23, v51, v7
	;;#ASMEND
	s_nop 0
	;;#ASMSTART
	v_dot2_f32_f16 v7, v24, v52, v7
	;;#ASMEND
	s_nop 0
	;;#ASMSTART
	v_dot2_f32_f16 v7, v25, v53, v7
	;;#ASMEND
	s_waitcnt lgkmcnt(0)
	;;#ASMSTART
	v_dot2_f32_f16 v6, v22, v54, v6
	;;#ASMEND
	s_nop 0
	;;#ASMSTART
	v_dot2_f32_f16 v6, v23, v55, v6
	;;#ASMEND
	s_nop 0
	;;#ASMSTART
	v_dot2_f32_f16 v6, v24, v56, v6
	;;#ASMEND
	s_nop 0
	;;#ASMSTART
	v_dot2_f32_f16 v6, v25, v57, v6
	;;#ASMEND
	ds_read_b128 v[22:25], v170 offset:32
	ds_read_b128 v[26:29], v171 offset:32
	;; [unrolled: 1-line block ×9, first 2 shown]
	s_waitcnt lgkmcnt(7)
	;;#ASMSTART
	v_dot2_f32_f16 v21, v22, v26, v21
	;;#ASMEND
	s_nop 0
	;;#ASMSTART
	v_dot2_f32_f16 v21, v23, v27, v21
	;;#ASMEND
	s_nop 0
	;;#ASMSTART
	v_dot2_f32_f16 v21, v24, v28, v21
	;;#ASMEND
	s_nop 0
	;;#ASMSTART
	v_dot2_f32_f16 v21, v25, v29, v21
	;;#ASMEND
	s_waitcnt lgkmcnt(6)
	;;#ASMSTART
	v_dot2_f32_f16 v20, v22, v30, v20
	;;#ASMEND
	s_nop 0
	;;#ASMSTART
	v_dot2_f32_f16 v20, v23, v31, v20
	;;#ASMEND
	s_nop 0
	;;#ASMSTART
	v_dot2_f32_f16 v20, v24, v32, v20
	;;#ASMEND
	s_nop 0
	;;#ASMSTART
	v_dot2_f32_f16 v20, v25, v33, v20
	;;#ASMEND
	;; [unrolled: 16-line block ×8, first 2 shown]
	ds_read_b128 v[22:25], v170 offset:48
	ds_read_b128 v[26:29], v171 offset:48
	;; [unrolled: 1-line block ×9, first 2 shown]
	s_waitcnt lgkmcnt(7)
	;;#ASMSTART
	v_dot2_f32_f16 v21, v22, v26, v21
	;;#ASMEND
	s_nop 0
	;;#ASMSTART
	v_dot2_f32_f16 v21, v23, v27, v21
	;;#ASMEND
	s_nop 0
	;;#ASMSTART
	v_dot2_f32_f16 v21, v24, v28, v21
	;;#ASMEND
	s_nop 0
	;;#ASMSTART
	v_dot2_f32_f16 v21, v25, v29, v21
	;;#ASMEND
	s_waitcnt lgkmcnt(6)
	;;#ASMSTART
	v_dot2_f32_f16 v20, v22, v30, v20
	;;#ASMEND
	s_nop 0
	;;#ASMSTART
	v_dot2_f32_f16 v20, v23, v31, v20
	;;#ASMEND
	s_nop 0
	;;#ASMSTART
	v_dot2_f32_f16 v20, v24, v32, v20
	;;#ASMEND
	s_nop 0
	;;#ASMSTART
	v_dot2_f32_f16 v20, v25, v33, v20
	;;#ASMEND
	;; [unrolled: 16-line block ×8, first 2 shown]
	ds_read_b128 v[22:25], v170 offset:64
	ds_read_b128 v[26:29], v171 offset:64
	;; [unrolled: 1-line block ×9, first 2 shown]
	s_waitcnt lgkmcnt(7)
	;;#ASMSTART
	v_dot2_f32_f16 v21, v22, v26, v21
	;;#ASMEND
	s_nop 0
	;;#ASMSTART
	v_dot2_f32_f16 v21, v23, v27, v21
	;;#ASMEND
	s_nop 0
	;;#ASMSTART
	v_dot2_f32_f16 v21, v24, v28, v21
	;;#ASMEND
	s_nop 0
	;;#ASMSTART
	v_dot2_f32_f16 v21, v25, v29, v21
	;;#ASMEND
	s_waitcnt lgkmcnt(6)
	;;#ASMSTART
	v_dot2_f32_f16 v20, v22, v30, v20
	;;#ASMEND
	s_nop 0
	;;#ASMSTART
	v_dot2_f32_f16 v20, v23, v31, v20
	;;#ASMEND
	s_nop 0
	;;#ASMSTART
	v_dot2_f32_f16 v20, v24, v32, v20
	;;#ASMEND
	s_nop 0
	;;#ASMSTART
	v_dot2_f32_f16 v20, v25, v33, v20
	;;#ASMEND
	;; [unrolled: 16-line block ×8, first 2 shown]
	ds_read_b128 v[22:25], v170 offset:80
	ds_read_b128 v[26:29], v171 offset:80
	;; [unrolled: 1-line block ×9, first 2 shown]
	s_waitcnt lgkmcnt(7)
	;;#ASMSTART
	v_dot2_f32_f16 v21, v22, v26, v21
	;;#ASMEND
	s_nop 0
	;;#ASMSTART
	v_dot2_f32_f16 v21, v23, v27, v21
	;;#ASMEND
	s_nop 0
	;;#ASMSTART
	v_dot2_f32_f16 v21, v24, v28, v21
	;;#ASMEND
	s_nop 0
	;;#ASMSTART
	v_dot2_f32_f16 v21, v25, v29, v21
	;;#ASMEND
	s_waitcnt lgkmcnt(6)
	;;#ASMSTART
	v_dot2_f32_f16 v20, v22, v30, v20
	;;#ASMEND
	s_nop 0
	;;#ASMSTART
	v_dot2_f32_f16 v20, v23, v31, v20
	;;#ASMEND
	s_nop 0
	;;#ASMSTART
	v_dot2_f32_f16 v20, v24, v32, v20
	;;#ASMEND
	s_nop 0
	;;#ASMSTART
	v_dot2_f32_f16 v20, v25, v33, v20
	;;#ASMEND
	;; [unrolled: 16-line block ×8, first 2 shown]
	ds_read_b128 v[22:25], v170 offset:96
	ds_read_b128 v[26:29], v171 offset:96
	ds_read_b128 v[30:33], v171 offset:320
	ds_read_b128 v[34:37], v171 offset:544
	ds_read_b128 v[38:41], v171 offset:768
	ds_read_b128 v[42:45], v171 offset:992
	ds_read_b128 v[46:49], v171 offset:1216
	ds_read_b128 v[50:53], v171 offset:1440
	ds_read_b128 v[54:57], v171 offset:1664
	s_waitcnt lgkmcnt(7)
	;;#ASMSTART
	v_dot2_f32_f16 v21, v22, v26, v21
	;;#ASMEND
	s_nop 0
	;;#ASMSTART
	v_dot2_f32_f16 v21, v23, v27, v21
	;;#ASMEND
	s_nop 0
	;;#ASMSTART
	v_dot2_f32_f16 v21, v24, v28, v21
	;;#ASMEND
	s_nop 0
	;;#ASMSTART
	v_dot2_f32_f16 v21, v25, v29, v21
	;;#ASMEND
	s_waitcnt lgkmcnt(6)
	;;#ASMSTART
	v_dot2_f32_f16 v20, v22, v30, v20
	;;#ASMEND
	s_nop 0
	;;#ASMSTART
	v_dot2_f32_f16 v20, v23, v31, v20
	;;#ASMEND
	s_nop 0
	;;#ASMSTART
	v_dot2_f32_f16 v20, v24, v32, v20
	;;#ASMEND
	s_nop 0
	;;#ASMSTART
	v_dot2_f32_f16 v20, v25, v33, v20
	;;#ASMEND
	;; [unrolled: 16-line block ×8, first 2 shown]
	s_barrier
	s_and_saveexec_b64 s[14:15], vcc
	s_cbranch_execnz .LBB33_43
; %bb.28:                               ;   in Loop: Header=BB33_23 Depth=1
	s_or_b64 exec, exec, s[14:15]
	s_and_saveexec_b64 s[14:15], s[4:5]
	s_cbranch_execnz .LBB33_44
.LBB33_29:                              ;   in Loop: Header=BB33_23 Depth=1
	s_or_b64 exec, exec, s[14:15]
	s_and_saveexec_b64 s[14:15], s[6:7]
	s_cbranch_execz .LBB33_31
.LBB33_30:                              ;   in Loop: Header=BB33_23 Depth=1
	v_mov_b32_e32 v131, v119
	v_lshl_add_u64 v[0:1], v[2:3], 0, v[130:131]
	global_load_dwordx4 v[0:3], v[0:1], off offset:112
	s_waitcnt vmcnt(0)
	ds_write_b128 v174, v[0:3]
.LBB33_31:                              ;   in Loop: Header=BB33_23 Depth=1
	s_or_b64 exec, exec, s[14:15]
	s_waitcnt lgkmcnt(0)
	s_barrier
	ds_read_b128 v[0:3], v170
	ds_read_b128 v[22:25], v171 offset:112
	ds_read_b128 v[26:29], v171 offset:336
	;; [unrolled: 1-line block ×8, first 2 shown]
	s_waitcnt lgkmcnt(7)
	;;#ASMSTART
	v_dot2_f32_f16 v21, v0, v22, v21
	;;#ASMEND
	v_xor_b32_e32 v188, 16, v165
	;;#ASMSTART
	v_dot2_f32_f16 v21, v1, v23, v21
	;;#ASMEND
	v_xor_b32_e32 v189, 8, v165
	;; [unrolled: 4-line block ×3, first 2 shown]
	;;#ASMSTART
	v_dot2_f32_f16 v21, v3, v25, v21
	;;#ASMEND
	s_waitcnt lgkmcnt(6)
	;;#ASMSTART
	v_dot2_f32_f16 v20, v0, v26, v20
	;;#ASMEND
	v_xor_b32_e32 v192, 2, v165
	;;#ASMSTART
	v_dot2_f32_f16 v20, v1, v27, v20
	;;#ASMEND
	v_xor_b32_e32 v190, 1, v165
	;;#ASMSTART
	v_dot2_f32_f16 v20, v2, v28, v20
	;;#ASMEND
	s_nop 0
	;;#ASMSTART
	v_dot2_f32_f16 v20, v3, v29, v20
	;;#ASMEND
	s_waitcnt lgkmcnt(5)
	;;#ASMSTART
	v_dot2_f32_f16 v19, v0, v30, v19
	;;#ASMEND
	s_nop 0
	;;#ASMSTART
	v_dot2_f32_f16 v19, v1, v31, v19
	;;#ASMEND
	s_nop 0
	;;#ASMSTART
	v_dot2_f32_f16 v19, v2, v32, v19
	;;#ASMEND
	s_nop 0
	;;#ASMSTART
	v_dot2_f32_f16 v19, v3, v33, v19
	;;#ASMEND
	s_waitcnt lgkmcnt(4)
	;;#ASMSTART
	v_dot2_f32_f16 v18, v0, v34, v18
	;;#ASMEND
	s_nop 0
	;;#ASMSTART
	v_dot2_f32_f16 v18, v1, v35, v18
	;;#ASMEND
	s_nop 0
	;; [unrolled: 16-line block ×6, first 2 shown]
	;;#ASMSTART
	v_dot2_f32_f16 v6, v2, v52, v6
	;;#ASMEND
	s_nop 0
	;;#ASMSTART
	v_dot2_f32_f16 v6, v3, v53, v6
	;;#ASMEND
	ds_read_b128 v[0:3], v170 offset:16
	ds_read_b128 v[22:25], v171 offset:128
	;; [unrolled: 1-line block ×9, first 2 shown]
	s_waitcnt lgkmcnt(7)
	;;#ASMSTART
	v_dot2_f32_f16 v21, v0, v22, v21
	;;#ASMEND
	s_nop 0
	;;#ASMSTART
	v_dot2_f32_f16 v21, v1, v23, v21
	;;#ASMEND
	s_nop 0
	;;#ASMSTART
	v_dot2_f32_f16 v21, v2, v24, v21
	;;#ASMEND
	s_nop 0
	;;#ASMSTART
	v_dot2_f32_f16 v21, v3, v25, v21
	;;#ASMEND
	s_waitcnt lgkmcnt(6)
	;;#ASMSTART
	v_dot2_f32_f16 v20, v0, v26, v20
	;;#ASMEND
	s_nop 0
	;;#ASMSTART
	v_dot2_f32_f16 v20, v1, v27, v20
	;;#ASMEND
	s_nop 0
	;;#ASMSTART
	v_dot2_f32_f16 v20, v2, v28, v20
	;;#ASMEND
	s_nop 0
	;;#ASMSTART
	v_dot2_f32_f16 v20, v3, v29, v20
	;;#ASMEND
	s_waitcnt lgkmcnt(5)
	;;#ASMSTART
	v_dot2_f32_f16 v19, v0, v30, v19
	;;#ASMEND
	s_nop 0
	;;#ASMSTART
	v_dot2_f32_f16 v19, v1, v31, v19
	;;#ASMEND
	s_nop 0
	;;#ASMSTART
	v_dot2_f32_f16 v19, v2, v32, v19
	;;#ASMEND
	s_nop 0
	;;#ASMSTART
	v_dot2_f32_f16 v19, v3, v33, v19
	;;#ASMEND
	s_waitcnt lgkmcnt(4)
	;;#ASMSTART
	v_dot2_f32_f16 v18, v0, v34, v18
	;;#ASMEND
	s_nop 0
	;;#ASMSTART
	v_dot2_f32_f16 v18, v1, v35, v18
	;;#ASMEND
	s_nop 0
	;;#ASMSTART
	v_dot2_f32_f16 v18, v2, v36, v18
	;;#ASMEND
	s_nop 0
	;;#ASMSTART
	v_dot2_f32_f16 v18, v3, v37, v18
	;;#ASMEND
	s_waitcnt lgkmcnt(3)
	;;#ASMSTART
	v_dot2_f32_f16 v17, v0, v38, v17
	;;#ASMEND
	s_nop 0
	;;#ASMSTART
	v_dot2_f32_f16 v17, v1, v39, v17
	;;#ASMEND
	s_nop 0
	;;#ASMSTART
	v_dot2_f32_f16 v17, v2, v40, v17
	;;#ASMEND
	s_nop 0
	;;#ASMSTART
	v_dot2_f32_f16 v17, v3, v41, v17
	;;#ASMEND
	s_waitcnt lgkmcnt(2)
	;;#ASMSTART
	v_dot2_f32_f16 v16, v0, v42, v16
	;;#ASMEND
	s_nop 0
	;;#ASMSTART
	v_dot2_f32_f16 v16, v1, v43, v16
	;;#ASMEND
	s_nop 0
	;;#ASMSTART
	v_dot2_f32_f16 v16, v2, v44, v16
	;;#ASMEND
	s_nop 0
	;;#ASMSTART
	v_dot2_f32_f16 v16, v3, v45, v16
	;;#ASMEND
	s_waitcnt lgkmcnt(1)
	;;#ASMSTART
	v_dot2_f32_f16 v7, v0, v46, v7
	;;#ASMEND
	s_nop 0
	;;#ASMSTART
	v_dot2_f32_f16 v7, v1, v47, v7
	;;#ASMEND
	s_nop 0
	;;#ASMSTART
	v_dot2_f32_f16 v7, v2, v48, v7
	;;#ASMEND
	s_nop 0
	;;#ASMSTART
	v_dot2_f32_f16 v7, v3, v49, v7
	;;#ASMEND
	s_waitcnt lgkmcnt(0)
	;;#ASMSTART
	v_dot2_f32_f16 v6, v0, v50, v6
	;;#ASMEND
	s_nop 0
	;;#ASMSTART
	v_dot2_f32_f16 v6, v1, v51, v6
	;;#ASMEND
	s_nop 0
	;;#ASMSTART
	v_dot2_f32_f16 v6, v2, v52, v6
	;;#ASMEND
	s_nop 0
	;;#ASMSTART
	v_dot2_f32_f16 v6, v3, v53, v6
	;;#ASMEND
	ds_read_b128 v[0:3], v170 offset:32
	ds_read_b128 v[22:25], v171 offset:144
	ds_read_b128 v[26:29], v171 offset:368
	ds_read_b128 v[30:33], v171 offset:592
	ds_read_b128 v[34:37], v171 offset:816
	ds_read_b128 v[38:41], v171 offset:1040
	ds_read_b128 v[42:45], v171 offset:1264
	ds_read_b128 v[46:49], v171 offset:1488
	ds_read_b128 v[50:53], v171 offset:1712
	s_waitcnt lgkmcnt(7)
	;;#ASMSTART
	v_dot2_f32_f16 v21, v0, v22, v21
	;;#ASMEND
	s_nop 0
	;;#ASMSTART
	v_dot2_f32_f16 v21, v1, v23, v21
	;;#ASMEND
	s_nop 0
	;;#ASMSTART
	v_dot2_f32_f16 v21, v2, v24, v21
	;;#ASMEND
	s_nop 0
	;;#ASMSTART
	v_dot2_f32_f16 v21, v3, v25, v21
	;;#ASMEND
	s_waitcnt lgkmcnt(6)
	;;#ASMSTART
	v_dot2_f32_f16 v20, v0, v26, v20
	;;#ASMEND
	s_nop 0
	;;#ASMSTART
	v_dot2_f32_f16 v20, v1, v27, v20
	;;#ASMEND
	s_nop 0
	;;#ASMSTART
	v_dot2_f32_f16 v20, v2, v28, v20
	;;#ASMEND
	s_nop 0
	;;#ASMSTART
	v_dot2_f32_f16 v20, v3, v29, v20
	;;#ASMEND
	;; [unrolled: 16-line block ×8, first 2 shown]
	ds_read_b128 v[0:3], v170 offset:48
	ds_read_b128 v[22:25], v171 offset:160
	;; [unrolled: 1-line block ×9, first 2 shown]
	s_waitcnt lgkmcnt(7)
	;;#ASMSTART
	v_dot2_f32_f16 v21, v0, v22, v21
	;;#ASMEND
	s_nop 0
	;;#ASMSTART
	v_dot2_f32_f16 v21, v1, v23, v21
	;;#ASMEND
	s_nop 0
	;;#ASMSTART
	v_dot2_f32_f16 v21, v2, v24, v21
	;;#ASMEND
	s_nop 0
	;;#ASMSTART
	v_dot2_f32_f16 v21, v3, v25, v21
	;;#ASMEND
	s_waitcnt lgkmcnt(6)
	;;#ASMSTART
	v_dot2_f32_f16 v20, v0, v26, v20
	;;#ASMEND
	s_nop 0
	;;#ASMSTART
	v_dot2_f32_f16 v20, v1, v27, v20
	;;#ASMEND
	s_nop 0
	;;#ASMSTART
	v_dot2_f32_f16 v20, v2, v28, v20
	;;#ASMEND
	s_nop 0
	;;#ASMSTART
	v_dot2_f32_f16 v20, v3, v29, v20
	;;#ASMEND
	;; [unrolled: 16-line block ×8, first 2 shown]
	ds_read_b128 v[0:3], v170 offset:64
	ds_read_b128 v[22:25], v171 offset:176
	;; [unrolled: 1-line block ×9, first 2 shown]
	s_waitcnt lgkmcnt(7)
	;;#ASMSTART
	v_dot2_f32_f16 v21, v0, v22, v21
	;;#ASMEND
	s_nop 0
	;;#ASMSTART
	v_dot2_f32_f16 v21, v1, v23, v21
	;;#ASMEND
	s_nop 0
	;;#ASMSTART
	v_dot2_f32_f16 v21, v2, v24, v21
	;;#ASMEND
	s_nop 0
	;;#ASMSTART
	v_dot2_f32_f16 v21, v3, v25, v21
	;;#ASMEND
	s_waitcnt lgkmcnt(6)
	;;#ASMSTART
	v_dot2_f32_f16 v20, v0, v26, v20
	;;#ASMEND
	s_nop 0
	;;#ASMSTART
	v_dot2_f32_f16 v20, v1, v27, v20
	;;#ASMEND
	s_nop 0
	;;#ASMSTART
	v_dot2_f32_f16 v20, v2, v28, v20
	;;#ASMEND
	s_nop 0
	;;#ASMSTART
	v_dot2_f32_f16 v20, v3, v29, v20
	;;#ASMEND
	;; [unrolled: 16-line block ×8, first 2 shown]
	ds_read_b128 v[0:3], v170 offset:80
	ds_read_b128 v[22:25], v171 offset:192
	;; [unrolled: 1-line block ×9, first 2 shown]
	s_waitcnt lgkmcnt(7)
	;;#ASMSTART
	v_dot2_f32_f16 v21, v0, v22, v21
	;;#ASMEND
	s_nop 0
	;;#ASMSTART
	v_dot2_f32_f16 v21, v1, v23, v21
	;;#ASMEND
	s_nop 0
	;;#ASMSTART
	v_dot2_f32_f16 v21, v2, v24, v21
	;;#ASMEND
	s_nop 0
	;;#ASMSTART
	v_dot2_f32_f16 v21, v3, v25, v21
	;;#ASMEND
	s_waitcnt lgkmcnt(6)
	;;#ASMSTART
	v_dot2_f32_f16 v20, v0, v26, v20
	;;#ASMEND
	s_nop 0
	;;#ASMSTART
	v_dot2_f32_f16 v20, v1, v27, v20
	;;#ASMEND
	s_nop 0
	;;#ASMSTART
	v_dot2_f32_f16 v20, v2, v28, v20
	;;#ASMEND
	s_nop 0
	;;#ASMSTART
	v_dot2_f32_f16 v20, v3, v29, v20
	;;#ASMEND
	;; [unrolled: 16-line block ×8, first 2 shown]
	ds_read_b128 v[0:3], v170 offset:96
	ds_read_b128 v[22:25], v171 offset:208
	;; [unrolled: 1-line block ×9, first 2 shown]
	s_waitcnt lgkmcnt(7)
	;;#ASMSTART
	v_dot2_f32_f16 v21, v0, v22, v21
	;;#ASMEND
	s_nop 0
	;;#ASMSTART
	v_dot2_f32_f16 v21, v1, v23, v21
	;;#ASMEND
	s_nop 0
	;; [unrolled: 4-line block ×3, first 2 shown]
	;;#ASMSTART
	v_dot2_f32_f16 v21, v3, v25, v21
	;;#ASMEND
	s_waitcnt lgkmcnt(6)
	;;#ASMSTART
	v_dot2_f32_f16 v20, v0, v26, v20
	;;#ASMEND
	s_nop 0
	;;#ASMSTART
	v_dot2_f32_f16 v20, v1, v27, v20
	;;#ASMEND
	v_max_f32_e32 v27, v13, v13
	;;#ASMSTART
	v_dot2_f32_f16 v20, v2, v28, v20
	;;#ASMEND
	s_nop 0
	;;#ASMSTART
	v_dot2_f32_f16 v20, v3, v29, v20
	;;#ASMEND
	s_waitcnt lgkmcnt(5)
	;;#ASMSTART
	v_dot2_f32_f16 v19, v0, v30, v19
	;;#ASMEND
	v_max_f32_e32 v29, v12, v12
	;;#ASMSTART
	v_dot2_f32_f16 v19, v1, v31, v19
	;;#ASMEND
	s_nop 0
	;;#ASMSTART
	v_dot2_f32_f16 v19, v2, v32, v19
	;;#ASMEND
	s_nop 0
	;;#ASMSTART
	v_dot2_f32_f16 v19, v3, v33, v19
	;;#ASMEND
	s_waitcnt lgkmcnt(4)
	;;#ASMSTART
	v_dot2_f32_f16 v18, v0, v34, v18
	;;#ASMEND
	s_nop 0
	;;#ASMSTART
	v_dot2_f32_f16 v18, v1, v35, v18
	;;#ASMEND
	s_nop 0
	;;#ASMSTART
	v_dot2_f32_f16 v18, v2, v36, v18
	;;#ASMEND
	s_nop 0
	;;#ASMSTART
	v_dot2_f32_f16 v18, v3, v37, v18
	;;#ASMEND
	s_waitcnt lgkmcnt(3)
	;;#ASMSTART
	v_dot2_f32_f16 v17, v0, v38, v17
	;;#ASMEND
	s_nop 0
	;; [unrolled: 16-line block ×5, first 2 shown]
	;;#ASMSTART
	v_dot2_f32_f16 v6, v1, v51, v6
	;;#ASMEND
	s_nop 0
	;;#ASMSTART
	v_dot2_f32_f16 v6, v2, v52, v6
	;;#ASMEND
	v_add_u32_e32 v2, s2, v152
	v_add_u32_e32 v0, v2, v175
	v_ashrrev_i32_e32 v1, 31, v0
	v_lshl_add_u64 v[0:1], v[0:1], 1, s[72:73]
	;;#ASMSTART
	v_dot2_f32_f16 v6, v3, v53, v6
	;;#ASMEND
	global_load_ushort v3, v[0:1], off
	v_add_u32_e32 v0, v2, v176
	v_ashrrev_i32_e32 v1, 31, v0
	v_lshl_add_u64 v[0:1], v[0:1], 1, s[72:73]
	global_load_ushort v4, v[0:1], off
	v_and_b32_e32 v0, 0x60, v165
	v_add_u32_e32 v187, 32, v0
	v_cmp_lt_i32_e64 s[14:15], v188, v187
	s_waitcnt vmcnt(0)
	v_cvt_f32_f16_e32 v4, v4
	v_cndmask_b32_e64 v0, v165, v188, s[14:15]
	v_cmp_lt_i32_e64 s[14:15], v189, v187
	v_lshlrev_b32_e32 v5, 2, v0
	v_add_f32_e32 v19, v19, v4
	v_cndmask_b32_e64 v0, v165, v189, s[14:15]
	v_lshlrev_b32_e32 v22, 2, v0
	v_add_u32_e32 v0, v2, v177
	v_ashrrev_i32_e32 v1, 31, v0
	v_lshl_add_u64 v[0:1], v[0:1], 1, s[72:73]
	global_load_ushort v23, v[0:1], off
	v_add_u32_e32 v0, v2, v178
	v_ashrrev_i32_e32 v1, 31, v0
	v_lshl_add_u64 v[0:1], v[0:1], 1, s[72:73]
	global_load_ushort v24, v[0:1], off
	v_cvt_f32_f16_e32 v0, v3
	v_max_f32_e32 v3, v8, v8
	v_cmp_lt_i32_e64 s[14:15], v191, v187
	v_add_f32_e32 v18, v18, v4
	v_add_f32_e32 v21, v21, v0
	;; [unrolled: 1-line block ×3, first 2 shown]
	v_max_f32_e32 v2, v3, v2
	ds_bpermute_b32 v3, v5, v2
	v_add_f32_e32 v20, v20, v0
	v_add_f32_e32 v0, 0x40051340, v20
	v_max_f32_e32 v0, v27, v0
	ds_bpermute_b32 v27, v5, v0
	s_waitcnt lgkmcnt(1)
	v_max_f32_e32 v3, v3, v3
	v_max_f32_e32 v2, v2, v3
	ds_bpermute_b32 v3, v22, v2
	v_cndmask_b32_e64 v1, v165, v191, s[14:15]
	v_cmp_lt_i32_e64 s[14:15], v192, v187
	v_lshlrev_b32_e32 v25, 2, v1
	v_add_f32_e32 v4, 0x40051340, v18
	v_cndmask_b32_e64 v1, v165, v192, s[14:15]
	v_cmp_lt_i32_e64 s[14:15], v190, v187
	v_lshlrev_b32_e32 v26, 2, v1
	s_waitcnt lgkmcnt(0)
	v_max_f32_e32 v3, v3, v3
	v_cndmask_b32_e64 v1, v165, v190, s[14:15]
	v_lshlrev_b32_e32 v28, 2, v1
	v_max_f32_e32 v1, v27, v27
	v_max_f32_e32 v2, v2, v3
	v_max_f32_e32 v0, v0, v1
	ds_bpermute_b32 v3, v25, v2
	ds_bpermute_b32 v1, v22, v0
	v_add_f32_e32 v27, 0x40051340, v19
	v_max_f32_e32 v27, v29, v27
	ds_bpermute_b32 v29, v5, v27
	s_waitcnt lgkmcnt(2)
	v_max_f32_e32 v3, v3, v3
	s_waitcnt lgkmcnt(1)
	v_max_f32_e32 v1, v1, v1
	v_max_f32_e32 v2, v2, v3
	;; [unrolled: 1-line block ×3, first 2 shown]
	ds_bpermute_b32 v3, v26, v2
	ds_bpermute_b32 v1, v25, v0
	s_waitcnt lgkmcnt(0)
	s_barrier
	v_max_f32_e32 v3, v3, v3
	v_max_f32_e32 v1, v1, v1
	;; [unrolled: 1-line block ×5, first 2 shown]
	ds_bpermute_b32 v3, v28, v2
	v_max_f32_e32 v27, v27, v0
	ds_bpermute_b32 v29, v22, v27
	ds_bpermute_b32 v30, v26, v1
	s_waitcnt lgkmcnt(2)
	v_max_f32_e32 v3, v3, v3
	v_max_f32_e32 v0, v2, v3
	s_waitcnt lgkmcnt(1)
	v_max_f32_e32 v3, v29, v29
	v_max_f32_e32 v3, v27, v3
	ds_bpermute_b32 v27, v25, v3
	v_max_f32_e32 v29, v11, v11
	s_waitcnt lgkmcnt(1)
	v_max_f32_e32 v2, v30, v30
	v_max_f32_e32 v4, v29, v4
	;; [unrolled: 1-line block ×3, first 2 shown]
	ds_bpermute_b32 v29, v5, v4
	s_waitcnt lgkmcnt(1)
	v_max_f32_e32 v27, v27, v27
	ds_bpermute_b32 v2, v28, v1
	v_max_f32_e32 v3, v3, v27
	ds_bpermute_b32 v27, v26, v3
	s_waitcnt lgkmcnt(2)
	v_max_f32_e32 v29, v29, v29
	v_max_f32_e32 v4, v4, v29
	s_waitcnt lgkmcnt(1)
	v_max_f32_e32 v2, v2, v2
	ds_bpermute_b32 v29, v22, v4
	v_max_f32_e32 v1, v1, v2
	s_waitcnt lgkmcnt(1)
	v_max_f32_e32 v2, v27, v27
	v_max_f32_e32 v2, v3, v2
	ds_bpermute_b32 v30, v28, v2
	v_sub_f32_e32 v21, v21, v0
	s_waitcnt vmcnt(1)
	v_cvt_f32_f16_e32 v3, v23
	s_waitcnt lgkmcnt(1)
	v_max_f32_e32 v23, v29, v29
	v_max_f32_e32 v4, v4, v23
	;; [unrolled: 1-line block ×3, first 2 shown]
	v_add_f32_e32 v17, v17, v3
	v_add_f32_e32 v27, 0x40051340, v17
	ds_bpermute_b32 v23, v25, v4
	v_max_f32_e32 v27, v29, v27
	ds_bpermute_b32 v29, v5, v27
	v_add_f32_e32 v16, v16, v3
	v_add_f32_e32 v3, 0x40051340, v16
	s_waitcnt lgkmcnt(1)
	v_max_f32_e32 v23, v23, v23
	v_max_f32_e32 v4, v4, v23
	s_waitcnt lgkmcnt(0)
	v_max_f32_e32 v29, v29, v29
	ds_bpermute_b32 v23, v26, v4
	v_max_f32_e32 v27, v27, v29
	ds_bpermute_b32 v29, v22, v27
	v_max_f32_e32 v30, v30, v30
	v_max_f32_e32 v2, v2, v30
	s_waitcnt lgkmcnt(1)
	v_max_f32_e32 v23, v23, v23
	v_max_f32_e32 v4, v4, v23
	s_waitcnt lgkmcnt(0)
	v_max_f32_e32 v23, v29, v29
	v_max_f32_e32 v23, v27, v23
	;; [unrolled: 1-line block ×3, first 2 shown]
	ds_bpermute_b32 v27, v25, v23
	v_max_f32_e32 v3, v29, v3
	ds_bpermute_b32 v29, v5, v3
	ds_bpermute_b32 v30, v28, v4
	s_waitcnt vmcnt(0)
	v_cvt_f32_f16_e32 v24, v24
	s_waitcnt lgkmcnt(2)
	v_max_f32_e32 v27, v27, v27
	v_max_f32_e32 v23, v23, v27
	s_waitcnt lgkmcnt(1)
	v_max_f32_e32 v29, v29, v29
	ds_bpermute_b32 v27, v26, v23
	v_max_f32_e32 v3, v3, v29
	ds_bpermute_b32 v29, v22, v3
	s_waitcnt lgkmcnt(2)
	v_max_f32_e32 v30, v30, v30
	v_sub_f32_e32 v20, v20, v1
	s_waitcnt lgkmcnt(1)
	v_max_f32_e32 v27, v27, v27
	v_max_f32_e32 v23, v23, v27
	s_waitcnt lgkmcnt(0)
	v_max_f32_e32 v29, v29, v29
	ds_bpermute_b32 v27, v28, v23
	v_max_f32_e32 v29, v3, v29
	ds_bpermute_b32 v31, v25, v29
	v_max_f32_e32 v3, v4, v30
	v_max_f32_e32 v30, v14, v14
	s_waitcnt lgkmcnt(1)
	v_max_f32_e32 v4, v27, v27
	v_max_f32_e32 v4, v23, v4
	s_waitcnt lgkmcnt(0)
	v_max_f32_e32 v23, v31, v31
	v_add_f32_e32 v27, v7, v24
	v_max_f32_e32 v23, v29, v23
	v_add_f32_e32 v7, 0x40051340, v27
	v_max_f32_e32 v29, v15, v15
	v_max_f32_e32 v7, v29, v7
	ds_bpermute_b32 v29, v5, v7
	v_add_f32_e32 v24, v6, v24
	v_add_f32_e32 v6, 0x40051340, v24
	v_max_f32_e32 v6, v30, v6
	ds_bpermute_b32 v5, v5, v6
	s_waitcnt lgkmcnt(1)
	v_max_f32_e32 v29, v29, v29
	v_max_f32_e32 v7, v7, v29
	ds_bpermute_b32 v29, v22, v7
	ds_bpermute_b32 v30, v26, v23
	s_waitcnt lgkmcnt(2)
	v_max_f32_e32 v5, v5, v5
	v_max_f32_e32 v5, v6, v5
	ds_bpermute_b32 v6, v22, v5
	s_waitcnt lgkmcnt(2)
	v_max_f32_e32 v29, v29, v29
	v_max_f32_e32 v7, v7, v29
	ds_bpermute_b32 v29, v25, v7
	s_waitcnt lgkmcnt(2)
	v_max_f32_e32 v22, v30, v30
	s_waitcnt lgkmcnt(1)
	v_max_f32_e32 v6, v6, v6
	v_max_f32_e32 v5, v5, v6
	ds_bpermute_b32 v6, v25, v5
	v_max_f32_e32 v22, v23, v22
	s_waitcnt lgkmcnt(1)
	v_max_f32_e32 v23, v29, v29
	v_max_f32_e32 v7, v7, v23
	ds_bpermute_b32 v23, v26, v7
	s_waitcnt lgkmcnt(1)
	v_max_f32_e32 v6, v6, v6
	v_max_f32_e32 v5, v5, v6
	ds_bpermute_b32 v6, v26, v5
	ds_bpermute_b32 v25, v28, v22
	s_waitcnt lgkmcnt(2)
	v_max_f32_e32 v23, v23, v23
	v_max_f32_e32 v7, v7, v23
	ds_bpermute_b32 v23, v28, v7
	s_waitcnt lgkmcnt(2)
	v_max_f32_e32 v6, v6, v6
	v_max_f32_e32 v26, v5, v6
	s_waitcnt lgkmcnt(1)
	v_max_f32_e32 v5, v25, v25
	v_max_f32_e32 v5, v22, v5
	v_mul_f32_e32 v22, 0x3fb8aa3b, v21
	s_waitcnt lgkmcnt(0)
	v_max_f32_e32 v6, v23, v23
	v_fma_f32 v23, v21, s64, -v22
	v_rndne_f32_e32 v25, v22
	v_fmac_f32_e32 v23, 0x32a5705f, v21
	v_sub_f32_e32 v22, v22, v25
	ds_bpermute_b32 v28, v28, v26
	v_add_f32_e32 v22, v22, v23
	v_exp_f32_e32 v22, v22
	v_cvt_i32_f32_e32 v23, v25
	v_max_f32_e32 v6, v7, v6
	s_waitcnt lgkmcnt(0)
	v_max_f32_e32 v7, v28, v28
	v_max_f32_e32 v7, v26, v7
	v_ldexp_f32 v22, v22, v23
	v_mul_f32_e32 v23, 0x3fb8aa3b, v20
	v_fma_f32 v25, v20, s64, -v23
	v_rndne_f32_e32 v26, v23
	v_fmac_f32_e32 v25, 0x32a5705f, v20
	v_sub_f32_e32 v23, v23, v26
	v_add_f32_e32 v23, v23, v25
	v_exp_f32_e32 v23, v23
	v_cvt_i32_f32_e32 v25, v26
	v_cmp_ngt_f32_e64 s[14:15], s65, v21
	v_sub_f32_e32 v19, v19, v2
	v_sub_f32_e32 v18, v18, v3
	v_cndmask_b32_e64 v22, 0, v22, s[14:15]
	v_cmp_nlt_f32_e64 s[14:15], s77, v21
	v_ldexp_f32 v21, v23, v25
	v_sub_f32_e32 v17, v17, v4
	v_cndmask_b32_e64 v132, v186, v22, s[14:15]
	v_mul_f32_e32 v22, 0x3fb8aa3b, v19
	v_fma_f32 v23, v19, s64, -v22
	v_rndne_f32_e32 v25, v22
	v_fmac_f32_e32 v23, 0x32a5705f, v19
	v_sub_f32_e32 v22, v22, v25
	v_add_f32_e32 v22, v22, v23
	v_exp_f32_e32 v22, v22
	v_cvt_i32_f32_e32 v23, v25
	v_cmp_ngt_f32_e64 s[14:15], s65, v20
	v_sub_f32_e32 v16, v16, v5
	s_nop 0
	v_cndmask_b32_e64 v21, 0, v21, s[14:15]
	v_cmp_nlt_f32_e64 s[14:15], s77, v20
	v_ldexp_f32 v20, v22, v23
	s_nop 0
	v_cndmask_b32_e64 v133, v186, v21, s[14:15]
	v_mul_f32_e32 v21, 0x3fb8aa3b, v18
	v_fma_f32 v22, v18, s64, -v21
	v_rndne_f32_e32 v23, v21
	v_fmac_f32_e32 v22, 0x32a5705f, v18
	v_sub_f32_e32 v21, v21, v23
	v_add_f32_e32 v21, v21, v22
	v_exp_f32_e32 v21, v21
	v_cvt_i32_f32_e32 v22, v23
	v_cmp_ngt_f32_e64 s[14:15], s65, v19
	s_nop 1
	v_cndmask_b32_e64 v20, 0, v20, s[14:15]
	v_cmp_nlt_f32_e64 s[14:15], s77, v19
	v_ldexp_f32 v19, v21, v22
	s_nop 0
	v_cndmask_b32_e64 v134, v186, v20, s[14:15]
	v_mul_f32_e32 v20, 0x3fb8aa3b, v17
	v_fma_f32 v21, v17, s64, -v20
	v_rndne_f32_e32 v22, v20
	v_fmac_f32_e32 v21, 0x32a5705f, v17
	v_sub_f32_e32 v20, v20, v22
	v_add_f32_e32 v20, v20, v21
	v_exp_f32_e32 v20, v20
	v_cvt_i32_f32_e32 v21, v22
	v_cmp_ngt_f32_e64 s[14:15], s65, v18
	;; [unrolled: 15-line block ×3, first 2 shown]
	s_nop 1
	v_cndmask_b32_e64 v18, 0, v18, s[14:15]
	v_cmp_nlt_f32_e64 s[14:15], s77, v17
	v_ldexp_f32 v17, v19, v20
	s_nop 0
	v_cndmask_b32_e64 v136, v186, v18, s[14:15]
	v_sub_f32_e32 v18, v27, v6
	v_mul_f32_e32 v19, 0x3fb8aa3b, v18
	v_fma_f32 v20, v18, s64, -v19
	v_rndne_f32_e32 v21, v19
	v_fmac_f32_e32 v20, 0x32a5705f, v18
	v_sub_f32_e32 v19, v19, v21
	v_add_f32_e32 v19, v19, v20
	v_exp_f32_e32 v19, v19
	v_cvt_i32_f32_e32 v20, v21
	v_cmp_ngt_f32_e64 s[14:15], s65, v16
	s_nop 1
	v_cndmask_b32_e64 v17, 0, v17, s[14:15]
	v_cmp_nlt_f32_e64 s[14:15], s77, v16
	v_ldexp_f32 v16, v19, v20
	s_nop 0
	v_cndmask_b32_e64 v137, v186, v17, s[14:15]
	v_sub_f32_e32 v17, v24, v7
	v_mul_f32_e32 v19, 0x3fb8aa3b, v17
	v_fma_f32 v20, v17, s64, -v19
	v_rndne_f32_e32 v21, v19
	v_fmac_f32_e32 v20, 0x32a5705f, v17
	v_sub_f32_e32 v19, v19, v21
	v_add_f32_e32 v19, v19, v20
	v_exp_f32_e32 v19, v19
	v_cvt_i32_f32_e32 v20, v21
	v_cmp_ngt_f32_e64 s[14:15], s65, v18
	s_nop 1
	v_cndmask_b32_e64 v16, 0, v16, s[14:15]
	v_cmp_nlt_f32_e64 s[14:15], s77, v18
	v_cvt_pk_f16_f32 v18, v136, v137
	s_nop 0
	v_cndmask_b32_e64 v138, v186, v16, s[14:15]
	v_ldexp_f32 v16, v19, v20
	v_cmp_ngt_f32_e64 s[14:15], s65, v17
	s_nop 1
	v_cndmask_b32_e64 v16, 0, v16, s[14:15]
	v_cmp_nlt_f32_e64 s[14:15], s77, v17
	v_cvt_pk_f16_f32 v17, v134, v135
	s_nop 0
	v_cndmask_b32_e64 v139, v186, v16, s[14:15]
	s_mul_hi_i32 s15, s2, s58
	s_mul_i32 s14, s2, s58
	s_lshl_b64 s[14:15], s[14:15], 2
	s_add_u32 s14, s75, s14
	v_cvt_pk_f16_f32 v19, v138, v139
	v_cvt_pk_f16_f32 v16, v132, v133
	s_addc_u32 s15, s76, s15
	ds_write_b128 v185, v[16:19]
	s_and_saveexec_b64 s[16:17], s[8:9]
	s_cbranch_execnz .LBB33_45
; %bb.32:                               ;   in Loop: Header=BB33_23 Depth=1
	s_or_b64 exec, exec, s[16:17]
	s_and_saveexec_b64 s[16:17], s[10:11]
	s_cbranch_execnz .LBB33_46
.LBB33_33:                              ;   in Loop: Header=BB33_23 Depth=1
	s_or_b64 exec, exec, s[16:17]
	v_lshlrev_b32_e32 v140, 2, v172
	s_and_saveexec_b64 s[16:17], s[12:13]
	s_cbranch_execz .LBB33_35
.LBB33_34:                              ;   in Loop: Header=BB33_23 Depth=1
	v_lshl_add_u64 v[16:17], v[128:129], 2, s[14:15]
	v_mov_b32_e32 v141, v119
	v_lshl_add_u64 v[16:17], v[16:17], 0, v[140:141]
	global_load_dwordx4 v[16:19], v[16:17], off
	s_waitcnt vmcnt(0)
	ds_write_b128 v183, v[16:19]
.LBB33_35:                              ;   in Loop: Header=BB33_23 Depth=1
	s_or_b64 exec, exec, s[16:17]
	v_sub_f32_e32 v196, v8, v0
	v_lshlrev_b32_e32 v8, 3, v152
	v_add_u32_e32 v194, 0x3800, v8
	s_waitcnt lgkmcnt(0)
	s_barrier
	ds_read2_b64 v[36:39], v194 offset1:28
	ds_read_b128 v[100:103], v179
	ds_read_b128 v[96:99], v179 offset:16
	ds_read_b128 v[92:95], v179 offset:32
	;; [unrolled: 1-line block ×3, first 2 shown]
	ds_read2_b64 v[32:35], v194 offset0:56 offset1:84
	ds_read2_b64 v[28:31], v194 offset0:112 offset1:140
	ds_read_b128 v[84:87], v179 offset:64
	ds_read_b128 v[80:83], v179 offset:80
	ds_read2_b64 v[24:27], v194 offset0:168 offset1:196
	ds_read_b128 v[76:79], v179 offset:96
	ds_read_b128 v[72:75], v179 offset:112
	;; [unrolled: 3-line block ×3, first 2 shown]
	v_add_u32_e32 v193, 0x4000, v8
	v_sub_f32_e32 v195, v13, v1
	v_sub_f32_e32 v143, v12, v2
	;; [unrolled: 1-line block ×7, first 2 shown]
	ds_read2_b64 v[16:19], v193 offset0:24 offset1:52
	ds_read_b128 v[60:63], v179 offset:160
	ds_read_b128 v[56:59], v179 offset:176
	ds_read2_b64 v[12:15], v193 offset0:80 offset1:108
	ds_read_b128 v[52:55], v179 offset:192
	ds_read_b128 v[48:51], v179 offset:208
	;; [unrolled: 3-line block ×3, first 2 shown]
	s_or_b32 s52, s2, 16
	s_mul_hi_i32 s53, s52, s58
	s_mul_i32 s52, s52, s58
	s_lshl_b64 s[52:53], s[52:53], 2
	s_add_u32 s52, s75, s52
	v_cmp_ngt_f32_e64 s[44:45], s65, v196
	v_cmp_nlt_f32_e64 s[46:47], s77, v196
	v_cmp_ngt_f32_e64 s[40:41], s65, v195
	v_cmp_nlt_f32_e64 s[42:43], s77, v195
	;; [unrolled: 2-line block ×8, first 2 shown]
	s_addc_u32 s53, s76, s53
	s_waitcnt lgkmcnt(0)
	s_barrier
	s_and_saveexec_b64 s[54:55], s[8:9]
	s_cbranch_execnz .LBB33_47
; %bb.36:                               ;   in Loop: Header=BB33_23 Depth=1
	s_or_b64 exec, exec, s[54:55]
	s_and_saveexec_b64 s[54:55], s[10:11]
	s_cbranch_execnz .LBB33_48
.LBB33_37:                              ;   in Loop: Header=BB33_23 Depth=1
	s_or_b64 exec, exec, s[54:55]
	s_and_saveexec_b64 s[54:55], s[12:13]
	s_cbranch_execz .LBB33_39
.LBB33_38:                              ;   in Loop: Header=BB33_23 Depth=1
	v_lshl_add_u64 v[198:199], v[128:129], 2, s[52:53]
	v_mov_b32_e32 v141, v119
	v_lshl_add_u64 v[140:141], v[198:199], 0, v[140:141]
	global_load_dwordx4 v[198:201], v[140:141], off
	s_waitcnt vmcnt(0)
	ds_write_b128 v183, v[198:201]
.LBB33_39:                              ;   in Loop: Header=BB33_23 Depth=1
	s_or_b64 exec, exec, s[54:55]
	v_mul_f32_e32 v131, 0x3fb8aa3b, v196
	v_fma_f32 v140, v196, s64, -v131
	v_rndne_f32_e32 v141, v131
	v_fmac_f32_e32 v140, 0x32a5705f, v196
	v_sub_f32_e32 v131, v131, v141
	v_add_f32_e32 v131, v131, v140
	v_cvt_i32_f32_e32 v140, v141
	v_mul_f32_e32 v141, 0x3fb8aa3b, v195
	v_fma_f32 v196, v195, s64, -v141
	v_fmac_f32_e32 v196, 0x32a5705f, v195
	v_rndne_f32_e32 v195, v141
	v_sub_f32_e32 v141, v141, v195
	v_add_f32_e32 v141, v141, v196
	v_exp_f32_e32 v141, v141
	v_cvt_i32_f32_e32 v195, v195
	v_exp_f32_e32 v131, v131
	v_mul_u32_u24_sdwa v203, v101, s78 dst_sel:DWORD dst_unused:UNUSED_PAD src0_sel:WORD_0 src1_sel:DWORD
	v_mul_u32_u24_sdwa v101, v101, s78 dst_sel:DWORD dst_unused:UNUSED_PAD src0_sel:WORD_1 src1_sel:DWORD
	v_ldexp_f32 v141, v141, v195
	v_mul_f32_e32 v195, 0x3fb8aa3b, v143
	v_fma_f32 v196, v143, s64, -v195
	v_fmac_f32_e32 v196, 0x32a5705f, v143
	v_rndne_f32_e32 v143, v195
	v_sub_f32_e32 v195, v195, v143
	v_add_f32_e32 v195, v195, v196
	v_exp_f32_e32 v195, v195
	v_cvt_i32_f32_e32 v143, v143
	v_ldexp_f32 v131, v131, v140
	v_cndmask_b32_e64 v131, 0, v131, s[44:45]
	v_cndmask_b32_e64 v141, 0, v141, s[40:41]
	v_ldexp_f32 v143, v195, v143
	v_mul_f32_e32 v195, 0x3fb8aa3b, v142
	v_fma_f32 v197, v142, s64, -v195
	v_fmac_f32_e32 v197, 0x32a5705f, v142
	v_rndne_f32_e32 v142, v195
	v_sub_f32_e32 v195, v195, v142
	v_add_f32_e32 v195, v195, v197
	v_exp_f32_e32 v195, v195
	v_cvt_i32_f32_e32 v197, v142
	v_cndmask_b32_e64 v142, 0, v143, s[36:37]
	v_cndmask_b32_e64 v140, v186, v131, s[46:47]
	v_cndmask_b32_e64 v141, v186, v141, s[42:43]
	v_ldexp_f32 v143, v195, v197
	v_mul_f32_e32 v197, 0x3fb8aa3b, v147
	v_fma_f32 v199, v147, s64, -v197
	v_fmac_f32_e32 v199, 0x32a5705f, v147
	v_rndne_f32_e32 v147, v197
	v_sub_f32_e32 v197, v197, v147
	v_add_f32_e32 v197, v197, v199
	v_exp_f32_e32 v197, v197
	v_cvt_i32_f32_e32 v147, v147
	v_cndmask_b32_e64 v143, 0, v143, s[30:31]
	;; [unrolled: 12-line block ×3, first 2 shown]
	v_cndmask_b32_e64 v144, v186, v144, s[28:29]
	v_cvt_f16_f32_e32 v131, v140
	v_ldexp_f32 v147, v197, v199
	v_mul_f32_e32 v197, 0x3fb8aa3b, v145
	v_fma_f32 v199, v145, s64, -v197
	v_fmac_f32_e32 v199, 0x32a5705f, v145
	v_rndne_f32_e32 v145, v197
	v_sub_f32_e32 v197, v197, v145
	v_add_f32_e32 v197, v197, v199
	v_exp_f32_e32 v197, v197
	v_cvt_i32_f32_e32 v199, v145
	v_cndmask_b32_e64 v145, 0, v147, s[22:23]
	v_cndmask_b32_e64 v145, v186, v145, s[24:25]
	v_cvt_f16_f32_e32 v196, v141
	v_ldexp_f32 v147, v197, v199
	v_mul_f32_e32 v197, 0x3fb8aa3b, v146
	v_fma_f32 v199, v146, s64, -v197
	v_fmac_f32_e32 v199, 0x32a5705f, v146
	v_rndne_f32_e32 v146, v197
	v_sub_f32_e32 v197, v197, v146
	v_add_f32_e32 v197, v197, v199
	v_exp_f32_e32 v197, v197
	v_cvt_i32_f32_e32 v199, v146
	v_cndmask_b32_e64 v146, 0, v147, s[18:19]
	v_cndmask_b32_e64 v146, v186, v146, s[20:21]
	v_cvt_f16_f32_e32 v198, v142
	v_ldexp_f32 v147, v197, v199
	v_cndmask_b32_e64 v147, 0, v147, s[14:15]
	v_cndmask_b32_e64 v147, v186, v147, s[16:17]
	v_cvt_f16_f32_e32 v195, v143
	v_cvt_f16_f32_e32 v200, v144
	;; [unrolled: 1-line block ×5, first 2 shown]
	v_mul_u32_u24_e32 v131, 0x10001, v131
	v_mul_u32_u24_e32 v196, 0x10001, v196
	;; [unrolled: 1-line block ×8, first 2 shown]
	v_mul_u32_u24_sdwa v202, v100, s78 dst_sel:DWORD dst_unused:UNUSED_PAD src0_sel:WORD_0 src1_sel:DWORD
	v_mul_u32_u24_sdwa v100, v100, s78 dst_sel:DWORD dst_unused:UNUSED_PAD src0_sel:WORD_1 src1_sel:DWORD
	v_mul_u32_u24_sdwa v204, v102, s78 dst_sel:DWORD dst_unused:UNUSED_PAD src0_sel:WORD_0 src1_sel:DWORD
	v_mul_u32_u24_sdwa v102, v102, s78 dst_sel:DWORD dst_unused:UNUSED_PAD src0_sel:WORD_1 src1_sel:DWORD
	;; [unrolled: 2-line block ×3, first 2 shown]
	v_pk_mul_f16 v181, v181, v131
	v_pk_mul_f16 v131, v184, v131
	;; [unrolled: 1-line block ×16, first 2 shown]
	v_mul_u32_u24_sdwa v206, v96, s78 dst_sel:DWORD dst_unused:UNUSED_PAD src0_sel:WORD_0 src1_sel:DWORD
	v_mul_u32_u24_sdwa v96, v96, s78 dst_sel:DWORD dst_unused:UNUSED_PAD src0_sel:WORD_1 src1_sel:DWORD
	v_mul_u32_u24_sdwa v207, v97, s78 dst_sel:DWORD dst_unused:UNUSED_PAD src0_sel:WORD_0 src1_sel:DWORD
	v_mul_u32_u24_sdwa v97, v97, s78 dst_sel:DWORD dst_unused:UNUSED_PAD src0_sel:WORD_1 src1_sel:DWORD
	v_mul_u32_u24_sdwa v208, v98, s78 dst_sel:DWORD dst_unused:UNUSED_PAD src0_sel:WORD_0 src1_sel:DWORD
	v_mul_u32_u24_sdwa v98, v98, s78 dst_sel:DWORD dst_unused:UNUSED_PAD src0_sel:WORD_1 src1_sel:DWORD
	v_mul_u32_u24_sdwa v209, v99, s78 dst_sel:DWORD dst_unused:UNUSED_PAD src0_sel:WORD_0 src1_sel:DWORD
	v_mul_u32_u24_sdwa v99, v99, s78 dst_sel:DWORD dst_unused:UNUSED_PAD src0_sel:WORD_1 src1_sel:DWORD
	v_pk_fma_f16 v181, v36, v202, v181
	v_pk_fma_f16 v168, v36, v100, v168
	v_pk_fma_f16 v166, v36, v203, v166
	v_pk_fma_f16 v163, v36, v101, v163
	v_pk_fma_f16 v161, v36, v204, v161
	v_pk_fma_f16 v159, v36, v102, v159
	v_pk_fma_f16 v157, v36, v205, v157
	v_pk_fma_f16 v36, v36, v103, v155
	v_pk_fma_f16 v131, v37, v202, v131
	v_pk_fma_f16 v100, v37, v100, v169
	v_pk_fma_f16 v155, v37, v203, v167
	v_pk_fma_f16 v101, v37, v101, v164
	v_pk_fma_f16 v162, v37, v204, v162
	v_pk_fma_f16 v102, v37, v102, v160
	v_pk_fma_f16 v158, v37, v205, v158
	v_pk_fma_f16 v37, v37, v103, v156
	v_mul_u32_u24_sdwa v210, v92, s78 dst_sel:DWORD dst_unused:UNUSED_PAD src0_sel:WORD_0 src1_sel:DWORD
	v_mul_u32_u24_sdwa v92, v92, s78 dst_sel:DWORD dst_unused:UNUSED_PAD src0_sel:WORD_1 src1_sel:DWORD
	v_mul_u32_u24_sdwa v211, v93, s78 dst_sel:DWORD dst_unused:UNUSED_PAD src0_sel:WORD_0 src1_sel:DWORD
	v_mul_u32_u24_sdwa v93, v93, s78 dst_sel:DWORD dst_unused:UNUSED_PAD src0_sel:WORD_1 src1_sel:DWORD
	v_mul_u32_u24_sdwa v212, v94, s78 dst_sel:DWORD dst_unused:UNUSED_PAD src0_sel:WORD_0 src1_sel:DWORD
	v_mul_u32_u24_sdwa v94, v94, s78 dst_sel:DWORD dst_unused:UNUSED_PAD src0_sel:WORD_1 src1_sel:DWORD
	v_mul_u32_u24_sdwa v213, v95, s78 dst_sel:DWORD dst_unused:UNUSED_PAD src0_sel:WORD_0 src1_sel:DWORD
	v_mul_u32_u24_sdwa v95, v95, s78 dst_sel:DWORD dst_unused:UNUSED_PAD src0_sel:WORD_1 src1_sel:DWORD
	v_pk_fma_f16 v103, v38, v206, v181
	v_pk_fma_f16 v156, v38, v96, v168
	v_pk_fma_f16 v160, v38, v207, v166
	v_pk_fma_f16 v163, v38, v97, v163
	v_pk_fma_f16 v161, v38, v208, v161
	v_pk_fma_f16 v159, v38, v98, v159
	v_pk_fma_f16 v157, v38, v209, v157
	v_pk_fma_f16 v36, v38, v99, v36
	v_pk_fma_f16 v38, v39, v206, v131
	v_pk_fma_f16 v96, v39, v96, v100
	v_pk_fma_f16 v100, v39, v207, v155
	v_pk_fma_f16 v97, v39, v97, v101
	v_pk_fma_f16 v101, v39, v208, v162
	v_pk_fma_f16 v98, v39, v98, v102
	v_pk_fma_f16 v102, v39, v209, v158
	v_pk_fma_f16 v37, v39, v99, v37
	;; [unrolled: 24-line block ×15, first 2 shown]
	v_pk_fma_f16 v28, v10, v104, v15
	v_pk_fma_f16 v29, v10, v40, v17
	;; [unrolled: 1-line block ×16, first 2 shown]
	s_waitcnt lgkmcnt(0)
	s_barrier
	ds_read_b128 v[8:11], v179 offset:256
	ds_read2_b64 v[12:15], v194 offset1:28
	ds_read_b128 v[16:19], v179 offset:272
	ds_read_b128 v[20:23], v179 offset:288
	;; [unrolled: 1-line block ×3, first 2 shown]
	s_waitcnt lgkmcnt(4)
	v_mul_u32_u24_sdwa v44, v8, s78 dst_sel:DWORD dst_unused:UNUSED_PAD src0_sel:WORD_0 src1_sel:DWORD
	v_mul_u32_u24_sdwa v8, v8, s78 dst_sel:DWORD dst_unused:UNUSED_PAD src0_sel:WORD_1 src1_sel:DWORD
	v_mul_u32_u24_sdwa v45, v9, s78 dst_sel:DWORD dst_unused:UNUSED_PAD src0_sel:WORD_0 src1_sel:DWORD
	v_mul_u32_u24_sdwa v9, v9, s78 dst_sel:DWORD dst_unused:UNUSED_PAD src0_sel:WORD_1 src1_sel:DWORD
	;; [unrolled: 2-line block ×4, first 2 shown]
	s_waitcnt lgkmcnt(3)
	v_pk_fma_f16 v28, v12, v44, v28
	v_pk_fma_f16 v29, v12, v8, v29
	;; [unrolled: 1-line block ×16, first 2 shown]
	s_waitcnt lgkmcnt(2)
	v_mul_u32_u24_sdwa v13, v16, s78 dst_sel:DWORD dst_unused:UNUSED_PAD src0_sel:WORD_0 src1_sel:DWORD
	v_mul_u32_u24_sdwa v16, v16, s78 dst_sel:DWORD dst_unused:UNUSED_PAD src0_sel:WORD_1 src1_sel:DWORD
	v_mul_u32_u24_sdwa v39, v17, s78 dst_sel:DWORD dst_unused:UNUSED_PAD src0_sel:WORD_0 src1_sel:DWORD
	v_mul_u32_u24_sdwa v17, v17, s78 dst_sel:DWORD dst_unused:UNUSED_PAD src0_sel:WORD_1 src1_sel:DWORD
	;; [unrolled: 2-line block ×4, first 2 shown]
	v_pk_fma_f16 v28, v14, v13, v28
	v_pk_fma_f16 v29, v14, v16, v29
	;; [unrolled: 1-line block ×16, first 2 shown]
	ds_read2_b64 v[8:11], v194 offset0:56 offset1:84
	s_waitcnt lgkmcnt(2)
	v_mul_u32_u24_sdwa v19, v20, s78 dst_sel:DWORD dst_unused:UNUSED_PAD src0_sel:WORD_0 src1_sel:DWORD
	v_mul_u32_u24_sdwa v20, v20, s78 dst_sel:DWORD dst_unused:UNUSED_PAD src0_sel:WORD_1 src1_sel:DWORD
	v_mul_u32_u24_sdwa v37, v21, s78 dst_sel:DWORD dst_unused:UNUSED_PAD src0_sel:WORD_0 src1_sel:DWORD
	v_mul_u32_u24_sdwa v21, v21, s78 dst_sel:DWORD dst_unused:UNUSED_PAD src0_sel:WORD_1 src1_sel:DWORD
	;; [unrolled: 2-line block ×4, first 2 shown]
	s_waitcnt lgkmcnt(0)
	v_pk_fma_f16 v28, v8, v19, v28
	v_pk_fma_f16 v29, v8, v20, v29
	;; [unrolled: 1-line block ×16, first 2 shown]
	v_mul_u32_u24_sdwa v15, v24, s78 dst_sel:DWORD dst_unused:UNUSED_PAD src0_sel:WORD_0 src1_sel:DWORD
	v_mul_u32_u24_sdwa v20, v24, s78 dst_sel:DWORD dst_unused:UNUSED_PAD src0_sel:WORD_1 src1_sel:DWORD
	v_mul_u32_u24_sdwa v21, v25, s78 dst_sel:DWORD dst_unused:UNUSED_PAD src0_sel:WORD_0 src1_sel:DWORD
	v_mul_u32_u24_sdwa v22, v25, s78 dst_sel:DWORD dst_unused:UNUSED_PAD src0_sel:WORD_1 src1_sel:DWORD
	;; [unrolled: 2-line block ×4, first 2 shown]
	v_pk_fma_f16 v27, v10, v15, v28
	v_pk_fma_f16 v28, v10, v20, v29
	;; [unrolled: 1-line block ×6, first 2 shown]
	ds_read_b128 v[12:15], v179 offset:320
	v_pk_fma_f16 v30, v10, v22, v31
	v_pk_fma_f16 v31, v10, v23, v32
	;; [unrolled: 1-line block ×10, first 2 shown]
	ds_read2_b64 v[8:11], v194 offset0:112 offset1:140
	ds_read_b128 v[16:19], v179 offset:336
	s_waitcnt lgkmcnt(2)
	v_mul_u32_u24_sdwa v36, v12, s78 dst_sel:DWORD dst_unused:UNUSED_PAD src0_sel:WORD_0 src1_sel:DWORD
	v_mul_u32_u24_sdwa v12, v12, s78 dst_sel:DWORD dst_unused:UNUSED_PAD src0_sel:WORD_1 src1_sel:DWORD
	v_mul_u32_u24_sdwa v37, v13, s78 dst_sel:DWORD dst_unused:UNUSED_PAD src0_sel:WORD_0 src1_sel:DWORD
	v_mul_u32_u24_sdwa v13, v13, s78 dst_sel:DWORD dst_unused:UNUSED_PAD src0_sel:WORD_1 src1_sel:DWORD
	;; [unrolled: 2-line block ×4, first 2 shown]
	s_waitcnt lgkmcnt(1)
	v_pk_fma_f16 v27, v8, v36, v27
	v_pk_fma_f16 v28, v8, v12, v28
	;; [unrolled: 1-line block ×16, first 2 shown]
	s_waitcnt lgkmcnt(0)
	v_mul_u32_u24_sdwa v15, v16, s78 dst_sel:DWORD dst_unused:UNUSED_PAD src0_sel:WORD_0 src1_sel:DWORD
	v_mul_u32_u24_sdwa v16, v16, s78 dst_sel:DWORD dst_unused:UNUSED_PAD src0_sel:WORD_1 src1_sel:DWORD
	v_mul_u32_u24_sdwa v23, v17, s78 dst_sel:DWORD dst_unused:UNUSED_PAD src0_sel:WORD_0 src1_sel:DWORD
	v_mul_u32_u24_sdwa v17, v17, s78 dst_sel:DWORD dst_unused:UNUSED_PAD src0_sel:WORD_1 src1_sel:DWORD
	;; [unrolled: 2-line block ×4, first 2 shown]
	v_pk_fma_f16 v26, v10, v15, v27
	v_pk_fma_f16 v27, v10, v16, v28
	;; [unrolled: 1-line block ×11, first 2 shown]
	ds_read_b128 v[12:15], v179 offset:352
	v_pk_fma_f16 v31, v10, v18, v32
	v_pk_fma_f16 v32, v10, v25, v33
	v_pk_fma_f16 v33, v10, v19, v8
	v_pk_fma_f16 v22, v11, v25, v22
	v_pk_fma_f16 v25, v11, v19, v9
	ds_read2_b64 v[8:11], v194 offset0:168 offset1:196
	ds_read_b128 v[16:19], v179 offset:368
	s_waitcnt lgkmcnt(2)
	v_mul_u32_u24_sdwa v36, v12, s78 dst_sel:DWORD dst_unused:UNUSED_PAD src0_sel:WORD_0 src1_sel:DWORD
	v_mul_u32_u24_sdwa v12, v12, s78 dst_sel:DWORD dst_unused:UNUSED_PAD src0_sel:WORD_1 src1_sel:DWORD
	v_mul_u32_u24_sdwa v37, v13, s78 dst_sel:DWORD dst_unused:UNUSED_PAD src0_sel:WORD_0 src1_sel:DWORD
	v_mul_u32_u24_sdwa v13, v13, s78 dst_sel:DWORD dst_unused:UNUSED_PAD src0_sel:WORD_1 src1_sel:DWORD
	v_mul_u32_u24_sdwa v38, v14, s78 dst_sel:DWORD dst_unused:UNUSED_PAD src0_sel:WORD_0 src1_sel:DWORD
	v_mul_u32_u24_sdwa v14, v14, s78 dst_sel:DWORD dst_unused:UNUSED_PAD src0_sel:WORD_1 src1_sel:DWORD
	v_mul_u32_u24_sdwa v39, v15, s78 dst_sel:DWORD dst_unused:UNUSED_PAD src0_sel:WORD_0 src1_sel:DWORD
	v_mul_u32_u24_sdwa v15, v15, s78 dst_sel:DWORD dst_unused:UNUSED_PAD src0_sel:WORD_1 src1_sel:DWORD
	s_waitcnt lgkmcnt(1)
	v_pk_fma_f16 v26, v8, v36, v26
	v_pk_fma_f16 v27, v8, v12, v27
	v_pk_fma_f16 v28, v8, v37, v28
	v_pk_fma_f16 v29, v8, v13, v29
	v_pk_fma_f16 v30, v8, v38, v30
	v_pk_fma_f16 v31, v8, v14, v31
	v_pk_fma_f16 v32, v8, v39, v32
	v_pk_fma_f16 v8, v8, v15, v33
	v_pk_fma_f16 v33, v9, v36, v34
	v_pk_fma_f16 v12, v9, v12, v35
	v_pk_fma_f16 v20, v9, v37, v20
	v_pk_fma_f16 v13, v9, v13, v23
	v_pk_fma_f16 v21, v9, v38, v21
	v_pk_fma_f16 v14, v9, v14, v24
	v_pk_fma_f16 v22, v9, v39, v22
	v_pk_fma_f16 v9, v9, v15, v25
	s_waitcnt lgkmcnt(0)
	v_mul_u32_u24_sdwa v15, v16, s78 dst_sel:DWORD dst_unused:UNUSED_PAD src0_sel:WORD_0 src1_sel:DWORD
	v_mul_u32_u24_sdwa v16, v16, s78 dst_sel:DWORD dst_unused:UNUSED_PAD src0_sel:WORD_1 src1_sel:DWORD
	v_mul_u32_u24_sdwa v23, v17, s78 dst_sel:DWORD dst_unused:UNUSED_PAD src0_sel:WORD_0 src1_sel:DWORD
	v_mul_u32_u24_sdwa v17, v17, s78 dst_sel:DWORD dst_unused:UNUSED_PAD src0_sel:WORD_1 src1_sel:DWORD
	v_mul_u32_u24_sdwa v24, v18, s78 dst_sel:DWORD dst_unused:UNUSED_PAD src0_sel:WORD_0 src1_sel:DWORD
	v_mul_u32_u24_sdwa v18, v18, s78 dst_sel:DWORD dst_unused:UNUSED_PAD src0_sel:WORD_1 src1_sel:DWORD
	v_mul_u32_u24_sdwa v25, v19, s78 dst_sel:DWORD dst_unused:UNUSED_PAD src0_sel:WORD_0 src1_sel:DWORD
	v_mul_u32_u24_sdwa v19, v19, s78 dst_sel:DWORD dst_unused:UNUSED_PAD src0_sel:WORD_1 src1_sel:DWORD
	v_pk_fma_f16 v26, v10, v15, v26
	v_pk_fma_f16 v28, v10, v23, v28
	v_pk_fma_f16 v30, v10, v24, v30
	v_pk_fma_f16 v33, v11, v15, v33
	v_pk_fma_f16 v35, v11, v16, v12
	v_pk_fma_f16 v20, v11, v23, v20
	v_pk_fma_f16 v23, v11, v17, v13
	v_pk_fma_f16 v21, v11, v24, v21
	v_pk_fma_f16 v24, v11, v18, v14
	ds_read_b128 v[12:15], v179 offset:384
	v_pk_fma_f16 v27, v10, v16, v27
	v_pk_fma_f16 v29, v10, v17, v29
	v_pk_fma_f16 v31, v10, v18, v31
	v_pk_fma_f16 v32, v10, v25, v32
	v_pk_fma_f16 v34, v10, v19, v8
	v_pk_fma_f16 v22, v11, v25, v22
	v_pk_fma_f16 v25, v11, v19, v9
	ds_read2_b64 v[8:11], v194 offset0:224 offset1:252
	ds_read_b128 v[16:19], v179 offset:400
	s_waitcnt lgkmcnt(2)
	v_mul_u32_u24_sdwa v36, v12, s78 dst_sel:DWORD dst_unused:UNUSED_PAD src0_sel:WORD_0 src1_sel:DWORD
	v_mul_u32_u24_sdwa v12, v12, s78 dst_sel:DWORD dst_unused:UNUSED_PAD src0_sel:WORD_1 src1_sel:DWORD
	v_mul_u32_u24_sdwa v37, v13, s78 dst_sel:DWORD dst_unused:UNUSED_PAD src0_sel:WORD_0 src1_sel:DWORD
	v_mul_u32_u24_sdwa v13, v13, s78 dst_sel:DWORD dst_unused:UNUSED_PAD src0_sel:WORD_1 src1_sel:DWORD
	v_mul_u32_u24_sdwa v38, v14, s78 dst_sel:DWORD dst_unused:UNUSED_PAD src0_sel:WORD_0 src1_sel:DWORD
	v_mul_u32_u24_sdwa v14, v14, s78 dst_sel:DWORD dst_unused:UNUSED_PAD src0_sel:WORD_1 src1_sel:DWORD
	v_mul_u32_u24_sdwa v39, v15, s78 dst_sel:DWORD dst_unused:UNUSED_PAD src0_sel:WORD_0 src1_sel:DWORD
	v_mul_u32_u24_sdwa v15, v15, s78 dst_sel:DWORD dst_unused:UNUSED_PAD src0_sel:WORD_1 src1_sel:DWORD
	s_waitcnt lgkmcnt(1)
	v_pk_fma_f16 v26, v8, v36, v26
	v_pk_fma_f16 v27, v8, v12, v27
	v_pk_fma_f16 v28, v8, v37, v28
	v_pk_fma_f16 v29, v8, v13, v29
	v_pk_fma_f16 v30, v8, v38, v30
	v_pk_fma_f16 v31, v8, v14, v31
	v_pk_fma_f16 v32, v8, v39, v32
	v_pk_fma_f16 v8, v8, v15, v34
	v_pk_fma_f16 v33, v9, v36, v33
	v_pk_fma_f16 v12, v9, v12, v35
	v_pk_fma_f16 v20, v9, v37, v20
	v_pk_fma_f16 v13, v9, v13, v23
	v_pk_fma_f16 v21, v9, v38, v21
	v_pk_fma_f16 v14, v9, v14, v24
	v_pk_fma_f16 v22, v9, v39, v22
	v_pk_fma_f16 v9, v9, v15, v25
	s_waitcnt lgkmcnt(0)
	v_mul_u32_u24_sdwa v15, v16, s78 dst_sel:DWORD dst_unused:UNUSED_PAD src0_sel:WORD_0 src1_sel:DWORD
	v_mul_u32_u24_sdwa v16, v16, s78 dst_sel:DWORD dst_unused:UNUSED_PAD src0_sel:WORD_1 src1_sel:DWORD
	v_mul_u32_u24_sdwa v23, v17, s78 dst_sel:DWORD dst_unused:UNUSED_PAD src0_sel:WORD_0 src1_sel:DWORD
	v_mul_u32_u24_sdwa v17, v17, s78 dst_sel:DWORD dst_unused:UNUSED_PAD src0_sel:WORD_1 src1_sel:DWORD
	v_mul_u32_u24_sdwa v24, v18, s78 dst_sel:DWORD dst_unused:UNUSED_PAD src0_sel:WORD_0 src1_sel:DWORD
	v_mul_u32_u24_sdwa v18, v18, s78 dst_sel:DWORD dst_unused:UNUSED_PAD src0_sel:WORD_1 src1_sel:DWORD
	v_mul_u32_u24_sdwa v25, v19, s78 dst_sel:DWORD dst_unused:UNUSED_PAD src0_sel:WORD_0 src1_sel:DWORD
	v_mul_u32_u24_sdwa v19, v19, s78 dst_sel:DWORD dst_unused:UNUSED_PAD src0_sel:WORD_1 src1_sel:DWORD
	v_pk_fma_f16 v26, v10, v15, v26
	v_pk_fma_f16 v28, v10, v23, v28
	v_pk_fma_f16 v30, v10, v24, v30
	v_pk_fma_f16 v33, v11, v15, v33
	v_pk_fma_f16 v35, v11, v16, v12
	v_pk_fma_f16 v20, v11, v23, v20
	v_pk_fma_f16 v23, v11, v17, v13
	v_pk_fma_f16 v21, v11, v24, v21
	v_pk_fma_f16 v24, v11, v18, v14
	ds_read_b128 v[12:15], v179 offset:416
	v_pk_fma_f16 v27, v10, v16, v27
	v_pk_fma_f16 v29, v10, v17, v29
	;; [unrolled: 54-line block ×3, first 2 shown]
	v_pk_fma_f16 v31, v10, v18, v31
	v_pk_fma_f16 v32, v10, v25, v32
	;; [unrolled: 1-line block ×5, first 2 shown]
	ds_read2_b64 v[8:11], v193 offset0:80 offset1:108
	ds_read_b128 v[16:19], v179 offset:464
	s_waitcnt lgkmcnt(2)
	v_mul_u32_u24_sdwa v36, v12, s78 dst_sel:DWORD dst_unused:UNUSED_PAD src0_sel:WORD_0 src1_sel:DWORD
	v_mul_u32_u24_sdwa v12, v12, s78 dst_sel:DWORD dst_unused:UNUSED_PAD src0_sel:WORD_1 src1_sel:DWORD
	v_mul_u32_u24_sdwa v37, v13, s78 dst_sel:DWORD dst_unused:UNUSED_PAD src0_sel:WORD_0 src1_sel:DWORD
	v_mul_u32_u24_sdwa v13, v13, s78 dst_sel:DWORD dst_unused:UNUSED_PAD src0_sel:WORD_1 src1_sel:DWORD
	;; [unrolled: 2-line block ×4, first 2 shown]
	s_waitcnt lgkmcnt(1)
	v_pk_fma_f16 v26, v8, v36, v26
	v_pk_fma_f16 v27, v8, v12, v27
	;; [unrolled: 1-line block ×16, first 2 shown]
	s_waitcnt lgkmcnt(0)
	v_mul_u32_u24_sdwa v15, v16, s78 dst_sel:DWORD dst_unused:UNUSED_PAD src0_sel:WORD_0 src1_sel:DWORD
	v_mul_u32_u24_sdwa v16, v16, s78 dst_sel:DWORD dst_unused:UNUSED_PAD src0_sel:WORD_1 src1_sel:DWORD
	v_mul_u32_u24_sdwa v23, v17, s78 dst_sel:DWORD dst_unused:UNUSED_PAD src0_sel:WORD_0 src1_sel:DWORD
	v_mul_u32_u24_sdwa v17, v17, s78 dst_sel:DWORD dst_unused:UNUSED_PAD src0_sel:WORD_1 src1_sel:DWORD
	;; [unrolled: 2-line block ×4, first 2 shown]
	v_pk_fma_f16 v26, v10, v15, v26
	v_pk_fma_f16 v27, v10, v16, v27
	;; [unrolled: 1-line block ×14, first 2 shown]
	ds_read_b128 v[12:15], v179 offset:480
	v_pk_fma_f16 v22, v11, v25, v22
	v_pk_fma_f16 v25, v11, v19, v9
	ds_read2_b64 v[8:11], v193 offset0:136 offset1:164
	ds_read_b128 v[16:19], v179 offset:496
	s_waitcnt lgkmcnt(0)
	s_barrier
	s_load_dword s14, s[50:51], 0x4
	v_mul_u32_u24_sdwa v36, v12, s78 dst_sel:DWORD dst_unused:UNUSED_PAD src0_sel:WORD_0 src1_sel:DWORD
	v_mul_u32_u24_sdwa v12, v12, s78 dst_sel:DWORD dst_unused:UNUSED_PAD src0_sel:WORD_1 src1_sel:DWORD
	v_mul_u32_u24_sdwa v37, v13, s78 dst_sel:DWORD dst_unused:UNUSED_PAD src0_sel:WORD_0 src1_sel:DWORD
	v_mul_u32_u24_sdwa v13, v13, s78 dst_sel:DWORD dst_unused:UNUSED_PAD src0_sel:WORD_1 src1_sel:DWORD
	;; [unrolled: 2-line block ×4, first 2 shown]
	s_waitcnt lgkmcnt(0)
	s_lshl_b32 s14, s14, 5
	v_pk_fma_f16 v26, v8, v36, v26
	v_pk_fma_f16 v27, v8, v12, v27
	v_pk_fma_f16 v28, v8, v37, v28
	v_pk_fma_f16 v29, v8, v13, v29
	v_pk_fma_f16 v30, v8, v38, v30
	v_pk_fma_f16 v31, v8, v14, v31
	v_pk_fma_f16 v32, v8, v39, v32
	v_pk_fma_f16 v8, v8, v15, v34
	v_pk_fma_f16 v33, v9, v36, v33
	v_pk_fma_f16 v12, v9, v12, v35
	v_pk_fma_f16 v20, v9, v37, v20
	v_pk_fma_f16 v13, v9, v13, v23
	v_pk_fma_f16 v21, v9, v38, v21
	v_pk_fma_f16 v14, v9, v14, v24
	v_pk_fma_f16 v22, v9, v39, v22
	v_pk_fma_f16 v9, v9, v15, v25
	v_mul_u32_u24_sdwa v15, v16, s78 dst_sel:DWORD dst_unused:UNUSED_PAD src0_sel:WORD_0 src1_sel:DWORD
	v_mul_u32_u24_sdwa v16, v16, s78 dst_sel:DWORD dst_unused:UNUSED_PAD src0_sel:WORD_1 src1_sel:DWORD
	v_mul_u32_u24_sdwa v23, v17, s78 dst_sel:DWORD dst_unused:UNUSED_PAD src0_sel:WORD_0 src1_sel:DWORD
	v_mul_u32_u24_sdwa v17, v17, s78 dst_sel:DWORD dst_unused:UNUSED_PAD src0_sel:WORD_1 src1_sel:DWORD
	;; [unrolled: 2-line block ×4, first 2 shown]
	s_add_i32 s2, s14, s2
	v_pk_fma_f32 v[106:107], v[106:107], v[146:147], v[138:139]
	v_pk_fma_f32 v[108:109], v[108:109], v[144:145], v[136:137]
	;; [unrolled: 1-line block ×4, first 2 shown]
	v_pk_fma_f16 v181, v10, v15, v26
	v_pk_fma_f16 v168, v10, v16, v27
	v_pk_fma_f16 v166, v10, v23, v28
	v_pk_fma_f16 v163, v10, v17, v29
	v_pk_fma_f16 v161, v10, v24, v30
	v_pk_fma_f16 v159, v10, v18, v31
	v_pk_fma_f16 v157, v10, v25, v32
	v_pk_fma_f16 v155, v10, v19, v8
	v_pk_fma_f16 v184, v11, v15, v33
	v_pk_fma_f16 v169, v11, v16, v12
	v_pk_fma_f16 v167, v11, v23, v20
	v_pk_fma_f16 v164, v11, v17, v13
	v_pk_fma_f16 v162, v11, v24, v21
	v_pk_fma_f16 v160, v11, v18, v14
	v_pk_fma_f16 v158, v11, v25, v22
	s_cmp_ge_i32 s2, s70
	v_pk_fma_f16 v156, v11, v19, v9
	s_cbranch_scc1 .LBB33_50
; %bb.40:                               ;   in Loop: Header=BB33_23 Depth=1
	v_mov_b32_e32 v8, v0
	v_mov_b32_e32 v13, v1
	;; [unrolled: 1-line block ×8, first 2 shown]
	s_branch .LBB33_23
.LBB33_41:                              ;   in Loop: Header=BB33_23 Depth=1
	global_load_dwordx4 v[0:3], v[4:5], off offset:96
	s_waitcnt vmcnt(0)
	ds_write_b128 v173, v[0:3]
	s_or_b64 exec, exec, s[16:17]
	v_lshl_add_u64 v[0:1], v[116:117], 2, s[14:15]
	s_and_saveexec_b64 s[16:17], s[4:5]
	s_cbranch_execz .LBB33_25
.LBB33_42:                              ;   in Loop: Header=BB33_23 Depth=1
	v_lshl_add_u64 v[2:3], v[0:1], 0, v[118:119]
	global_load_dwordx4 v[16:19], v[2:3], off offset:64
	s_nop 0
	scratch_load_dword v2, off, off         ; 4-byte Folded Reload
	s_waitcnt vmcnt(0)
	ds_write_b128 v2, v[16:19]
	s_or_b64 exec, exec, s[16:17]
	v_lshl_add_u64 v[2:3], v[120:121], 2, s[14:15]
	s_and_saveexec_b64 s[14:15], s[6:7]
	s_cbranch_execnz .LBB33_26
	s_branch .LBB33_27
.LBB33_43:                              ;   in Loop: Header=BB33_23 Depth=1
	global_load_dwordx4 v[22:25], v[4:5], off offset:208
	s_waitcnt vmcnt(0)
	ds_write_b128 v173, v[22:25]
	s_or_b64 exec, exec, s[14:15]
	s_and_saveexec_b64 s[14:15], s[4:5]
	s_cbranch_execz .LBB33_29
.LBB33_44:                              ;   in Loop: Header=BB33_23 Depth=1
	v_lshl_add_u64 v[0:1], v[0:1], 0, v[118:119]
	global_load_dwordx4 v[22:25], v[0:1], off offset:176
	s_nop 0
	scratch_load_dword v0, off, off         ; 4-byte Folded Reload
	s_waitcnt vmcnt(0)
	ds_write_b128 v0, v[22:25]
	s_or_b64 exec, exec, s[14:15]
	s_and_saveexec_b64 s[14:15], s[6:7]
	s_cbranch_execnz .LBB33_30
	s_branch .LBB33_31
.LBB33_45:                              ;   in Loop: Header=BB33_23 Depth=1
	v_lshl_add_u64 v[16:17], v[122:123], 2, s[14:15]
	v_lshl_add_u64 v[16:17], v[16:17], 0, v[118:119]
	global_load_dwordx4 v[16:19], v[16:17], off offset:192
	s_waitcnt vmcnt(0)
	ds_write_b128 v180, v[16:19]
	s_or_b64 exec, exec, s[16:17]
	s_and_saveexec_b64 s[16:17], s[10:11]
	s_cbranch_execz .LBB33_33
.LBB33_46:                              ;   in Loop: Header=BB33_23 Depth=1
	v_lshl_add_u64 v[16:17], v[124:125], 2, s[14:15]
	v_mov_b32_e32 v131, v119
	v_lshl_add_u64 v[16:17], v[16:17], 0, v[130:131]
	global_load_dwordx4 v[16:19], v[16:17], off offset:128
	s_waitcnt vmcnt(0)
	ds_write_b128 v182, v[16:19]
	s_or_b64 exec, exec, s[16:17]
	v_lshlrev_b32_e32 v140, 2, v172
	s_and_saveexec_b64 s[16:17], s[12:13]
	s_cbranch_execnz .LBB33_34
	s_branch .LBB33_35
.LBB33_47:                              ;   in Loop: Header=BB33_23 Depth=1
	v_lshl_add_u64 v[198:199], v[122:123], 2, s[52:53]
	v_lshl_add_u64 v[198:199], v[198:199], 0, v[118:119]
	global_load_dwordx4 v[198:201], v[198:199], off offset:192
	s_waitcnt vmcnt(0)
	ds_write_b128 v180, v[198:201]
	s_or_b64 exec, exec, s[54:55]
	s_and_saveexec_b64 s[54:55], s[10:11]
	s_cbranch_execz .LBB33_37
.LBB33_48:                              ;   in Loop: Header=BB33_23 Depth=1
	v_lshl_add_u64 v[198:199], v[124:125], 2, s[52:53]
	v_mov_b32_e32 v131, v119
	v_lshl_add_u64 v[198:199], v[198:199], 0, v[130:131]
	global_load_dwordx4 v[198:201], v[198:199], off offset:128
	s_waitcnt vmcnt(0)
	ds_write_b128 v182, v[198:201]
	s_or_b64 exec, exec, s[54:55]
	s_and_saveexec_b64 s[54:55], s[12:13]
	s_cbranch_execnz .LBB33_38
	s_branch .LBB33_39
.LBB33_49:
	v_mov_b32_e32 v107, 0
	v_mov_b32_e32 v181, 0
	;; [unrolled: 1-line block ×32, first 2 shown]
.LBB33_50:
	v_cmp_lt_i32_e32 vcc, v188, v187
	s_cmp_lg_u64 s[56:57], 0
	s_cselect_b64 s[4:5], -1, 0
	v_cndmask_b32_e32 v8, v165, v188, vcc
	v_lshlrev_b32_e32 v17, 2, v8
	ds_bpermute_b32 v12, v17, v110
	ds_bpermute_b32 v13, v17, v111
	v_cmp_lt_i32_e32 vcc, v189, v187
	ds_bpermute_b32 v8, v17, v112
	ds_bpermute_b32 v9, v17, v113
	v_cndmask_b32_e32 v10, v165, v189, vcc
	v_cmp_lt_i32_e32 vcc, v191, v187
	v_lshlrev_b32_e32 v23, 2, v10
	s_waitcnt lgkmcnt(2)
	v_pk_add_f32 v[12:13], v[110:111], v[12:13]
	v_cndmask_b32_e32 v10, v165, v191, vcc
	v_cmp_lt_i32_e32 vcc, v192, v187
	ds_bpermute_b32 v15, v23, v13
	v_lshlrev_b32_e32 v24, 2, v10
	v_cndmask_b32_e32 v14, v165, v192, vcc
	v_lshlrev_b32_e32 v25, 2, v14
	ds_bpermute_b32 v14, v23, v12
	ds_bpermute_b32 v18, v17, v106
	;; [unrolled: 1-line block ×3, first 2 shown]
	s_waitcnt lgkmcnt(4)
	v_pk_add_f32 v[8:9], v[112:113], v[8:9]
	v_cmp_lt_i32_e32 vcc, v190, v187
	s_waitcnt lgkmcnt(2)
	v_pk_add_f32 v[12:13], v[12:13], v[14:15]
	ds_bpermute_b32 v14, v24, v12
	ds_bpermute_b32 v15, v24, v13
	s_waitcnt lgkmcnt(2)
	v_pk_add_f32 v[18:19], v[106:107], v[18:19]
	ds_bpermute_b32 v10, v23, v8
	ds_bpermute_b32 v11, v23, v9
	v_cndmask_b32_e32 v16, v165, v190, vcc
	s_waitcnt lgkmcnt(2)
	v_pk_add_f32 v[12:13], v[12:13], v[14:15]
	ds_bpermute_b32 v14, v17, v108
	ds_bpermute_b32 v15, v17, v109
	ds_bpermute_b32 v22, v23, v18
	v_lshlrev_b32_e32 v29, 2, v16
	ds_bpermute_b32 v16, v25, v12
	ds_bpermute_b32 v17, v25, v13
	s_waitcnt lgkmcnt(3)
	v_pk_add_f32 v[14:15], v[108:109], v[14:15]
	ds_bpermute_b32 v20, v23, v14
	ds_bpermute_b32 v21, v23, v15
	;; [unrolled: 1-line block ×3, first 2 shown]
	v_pk_add_f32 v[8:9], v[8:9], v[10:11]
	ds_bpermute_b32 v10, v24, v8
	ds_bpermute_b32 v11, v24, v9
	s_waitcnt lgkmcnt(3)
	v_pk_add_f32 v[14:15], v[14:15], v[20:21]
	s_waitcnt lgkmcnt(2)
	v_pk_add_f32 v[18:19], v[18:19], v[22:23]
	v_pk_add_f32 v[12:13], v[12:13], v[16:17]
	ds_bpermute_b32 v16, v24, v14
	ds_bpermute_b32 v17, v24, v15
	;; [unrolled: 1-line block ×4, first 2 shown]
	s_waitcnt lgkmcnt(4)
	v_pk_add_f32 v[8:9], v[8:9], v[10:11]
	ds_bpermute_b32 v10, v25, v8
	s_waitcnt lgkmcnt(3)
	v_pk_add_f32 v[14:15], v[14:15], v[16:17]
	ds_bpermute_b32 v11, v25, v9
	;; [unrolled: 3-line block ×3, first 2 shown]
	ds_bpermute_b32 v17, v25, v15
	ds_bpermute_b32 v20, v25, v18
	;; [unrolled: 1-line block ×3, first 2 shown]
	s_waitcnt lgkmcnt(4)
	v_pk_add_f32 v[8:9], v[8:9], v[10:11]
	ds_bpermute_b32 v10, v29, v8
	s_waitcnt lgkmcnt(3)
	v_pk_add_f32 v[14:15], v[14:15], v[16:17]
	ds_bpermute_b32 v11, v29, v9
	;; [unrolled: 3-line block ×3, first 2 shown]
	ds_bpermute_b32 v25, v29, v13
	ds_bpermute_b32 v16, v29, v14
	;; [unrolled: 1-line block ×5, first 2 shown]
	s_cmp_eq_u32 s3, 0
	s_cselect_b64 s[6:7], -1, 0
	s_and_b64 s[4:5], s[6:7], s[4:5]
	s_waitcnt lgkmcnt(6)
	v_pk_add_f32 v[22:23], v[8:9], v[10:11]
	s_waitcnt lgkmcnt(4)
	v_pk_add_f32 v[20:21], v[12:13], v[24:25]
	;; [unrolled: 2-line block ×4, first 2 shown]
	s_and_b64 vcc, exec, s[4:5]
	s_cbranch_vccz .LBB33_52
; %bb.51:
	s_ashr_i32 s69, s68, 31
	s_lshl_b64 s[4:5], s[68:69], 2
	s_add_u32 s4, s56, s4
	s_addc_u32 s5, s57, s5
	v_mov_b32_e32 v8, 0
	global_load_dwordx2 v[24:25], v8, s[4:5]
	v_max_f32_e32 v8, v0, v0
	v_max_f32_e32 v9, v1, v1
	s_mov_b32 s5, 0x3fb8aa3b
	v_max_f32_e32 v10, v2, v2
	s_mov_b32 s2, 0xc2ce8ed0
	s_mov_b32 s4, 0x42b17218
	v_mov_b32_e32 v32, 0x7f800000
	s_waitcnt vmcnt(0)
	v_max_f32_e32 v14, v24, v24
	v_max_f32_e32 v8, v8, v14
	;; [unrolled: 1-line block ×3, first 2 shown]
	v_sub_f32_e32 v0, v0, v8
	v_max_f32_e32 v9, v9, v15
	v_sub_f32_e32 v11, v24, v8
	v_mul_f32_e32 v26, 0x3fb8aa3b, v0
	v_sub_f32_e32 v1, v1, v9
	v_mul_f32_e32 v27, 0x3fb8aa3b, v11
	v_fma_f32 v33, v0, s5, -v26
	v_rndne_f32_e32 v34, v26
	v_max_f32_e32 v10, v10, v14
	v_sub_f32_e32 v12, v25, v9
	v_mul_f32_e32 v28, 0x3fb8aa3b, v1
	v_fma_f32 v35, v11, s5, -v27
	v_rndne_f32_e32 v36, v27
	v_fmac_f32_e32 v33, 0x32a5705f, v0
	v_sub_f32_e32 v26, v26, v34
	v_sub_f32_e32 v2, v2, v10
	v_mul_f32_e32 v29, 0x3fb8aa3b, v12
	v_fma_f32 v37, v1, s5, -v28
	v_rndne_f32_e32 v38, v28
	v_fmac_f32_e32 v35, 0x32a5705f, v11
	v_sub_f32_e32 v27, v27, v36
	v_add_f32_e32 v26, v26, v33
	v_mul_f32_e32 v30, 0x3fb8aa3b, v2
	v_fma_f32 v39, v12, s5, -v29
	v_rndne_f32_e32 v40, v29
	v_cvt_i32_f32_e32 v34, v34
	v_fmac_f32_e32 v37, 0x32a5705f, v1
	v_sub_f32_e32 v28, v28, v38
	v_add_f32_e32 v27, v27, v35
	v_exp_f32_e32 v26, v26
	v_fma_f32 v41, v2, s5, -v30
	v_rndne_f32_e32 v42, v30
	v_cvt_i32_f32_e32 v36, v36
	v_fmac_f32_e32 v39, 0x32a5705f, v12
	v_sub_f32_e32 v29, v29, v40
	v_add_f32_e32 v28, v28, v37
	v_exp_f32_e32 v27, v27
	v_cvt_i32_f32_e32 v38, v38
	v_fmac_f32_e32 v41, 0x32a5705f, v2
	v_sub_f32_e32 v30, v30, v42
	v_add_f32_e32 v29, v29, v39
	v_exp_f32_e32 v28, v28
	v_cvt_i32_f32_e32 v40, v40
	v_add_f32_e32 v30, v30, v41
	v_exp_f32_e32 v29, v29
	v_cvt_i32_f32_e32 v42, v42
	v_exp_f32_e32 v30, v30
	v_ldexp_f32 v26, v26, v34
	v_cmp_ngt_f32_e32 vcc, s2, v0
	v_ldexp_f32 v27, v27, v36
	v_ldexp_f32 v28, v28, v38
	v_cndmask_b32_e32 v26, 0, v26, vcc
	v_cmp_ngt_f32_e32 vcc, s2, v11
	v_sub_f32_e32 v13, v24, v10
	v_ldexp_f32 v29, v29, v40
	v_cndmask_b32_e32 v27, 0, v27, vcc
	v_cmp_ngt_f32_e32 vcc, s2, v1
	v_mul_f32_e32 v31, 0x3fb8aa3b, v13
	v_ldexp_f32 v30, v30, v42
	v_cndmask_b32_e32 v28, 0, v28, vcc
	v_cmp_ngt_f32_e32 vcc, s2, v12
	v_fma_f32 v43, v13, s5, -v31
	v_rndne_f32_e32 v44, v31
	v_cndmask_b32_e32 v29, 0, v29, vcc
	v_cmp_ngt_f32_e32 vcc, s2, v2
	v_fmac_f32_e32 v43, 0x32a5705f, v13
	v_sub_f32_e32 v31, v31, v44
	v_cndmask_b32_e32 v30, 0, v30, vcc
	v_cmp_nlt_f32_e32 vcc, s4, v0
	v_add_f32_e32 v31, v31, v43
	v_cvt_i32_f32_e32 v44, v44
	v_cndmask_b32_e32 v0, v32, v26, vcc
	v_cmp_nlt_f32_e32 vcc, s4, v11
	v_cvt_f16_f32_e32 v11, v0
	v_exp_f32_e32 v31, v31
	v_cndmask_b32_e32 v26, v32, v27, vcc
	v_cmp_nlt_f32_e32 vcc, s4, v1
	v_mul_u32_u24_e32 v11, 0x10001, v11
	v_pk_mul_f16 v181, v181, v11
	v_cndmask_b32_e32 v1, v32, v28, vcc
	v_cvt_f16_f32_e32 v28, v1
	v_cmp_nlt_f32_e32 vcc, s4, v12
	v_pk_mul_f16 v184, v184, v11
	v_ldexp_f32 v11, v31, v44
	v_cndmask_b32_e32 v27, v32, v29, vcc
	v_cmp_nlt_f32_e32 vcc, s4, v2
	v_mul_u32_u24_e32 v12, 0x10001, v28
	v_pk_mul_f16 v168, v168, v12
	v_cndmask_b32_e32 v2, v32, v30, vcc
	v_cmp_ngt_f32_e32 vcc, s2, v13
	v_pk_mul_f16 v169, v169, v12
	v_cvt_f16_f32_e32 v12, v2
	v_cndmask_b32_e32 v11, 0, v11, vcc
	v_cmp_nlt_f32_e32 vcc, s4, v13
	v_pk_fma_f32 v[22:23], v[22:23], v[0:1], v[26:27]
	v_mul_u32_u24_e32 v12, 0x10001, v12
	v_cndmask_b32_e32 v28, v32, v11, vcc
	v_max_f32_e32 v11, v3, v3
	v_max_f32_e32 v11, v11, v15
	v_sub_f32_e32 v3, v3, v11
	v_mul_f32_e32 v13, 0x3fb8aa3b, v3
	v_fma_f32 v29, v3, s5, -v13
	v_rndne_f32_e32 v30, v13
	v_fmac_f32_e32 v29, 0x32a5705f, v3
	v_sub_f32_e32 v13, v13, v30
	v_add_f32_e32 v13, v13, v29
	v_exp_f32_e32 v13, v13
	v_cvt_i32_f32_e32 v29, v30
	v_pk_mul_f16 v166, v166, v12
	v_pk_mul_f16 v167, v167, v12
	v_cmp_ngt_f32_e32 vcc, s2, v3
	v_ldexp_f32 v12, v13, v29
	v_sub_f32_e32 v13, v25, v11
	v_mul_f32_e32 v29, 0x3fb8aa3b, v13
	v_fma_f32 v30, v13, s5, -v29
	v_rndne_f32_e32 v31, v29
	v_fmac_f32_e32 v30, 0x32a5705f, v13
	v_sub_f32_e32 v29, v29, v31
	v_add_f32_e32 v29, v29, v30
	v_exp_f32_e32 v29, v29
	v_cvt_i32_f32_e32 v30, v31
	v_cndmask_b32_e32 v12, 0, v12, vcc
	v_cmp_nlt_f32_e32 vcc, s4, v3
	s_nop 1
	v_cndmask_b32_e32 v3, v32, v12, vcc
	v_ldexp_f32 v12, v29, v30
	v_cmp_ngt_f32_e32 vcc, s2, v13
	s_nop 1
	v_cndmask_b32_e32 v12, 0, v12, vcc
	v_cmp_nlt_f32_e32 vcc, s4, v13
	v_cvt_f16_f32_e32 v13, v3
	v_mul_u32_u24_e32 v13, 0x10001, v13
	v_cndmask_b32_e32 v29, v32, v12, vcc
	v_max_f32_e32 v12, v4, v4
	v_max_f32_e32 v12, v12, v14
	v_sub_f32_e32 v4, v4, v12
	v_mul_f32_e32 v30, 0x3fb8aa3b, v4
	v_fma_f32 v31, v4, s5, -v30
	v_rndne_f32_e32 v33, v30
	v_fmac_f32_e32 v31, 0x32a5705f, v4
	v_sub_f32_e32 v30, v30, v33
	v_add_f32_e32 v30, v30, v31
	v_exp_f32_e32 v30, v30
	v_cvt_i32_f32_e32 v31, v33
	v_pk_mul_f16 v163, v163, v13
	v_pk_mul_f16 v164, v164, v13
	v_cmp_ngt_f32_e32 vcc, s2, v4
	v_ldexp_f32 v13, v30, v31
	v_sub_f32_e32 v30, v24, v12
	v_mul_f32_e32 v31, 0x3fb8aa3b, v30
	v_fma_f32 v33, v30, s5, -v31
	v_rndne_f32_e32 v34, v31
	v_fmac_f32_e32 v33, 0x32a5705f, v30
	v_sub_f32_e32 v31, v31, v34
	v_add_f32_e32 v31, v31, v33
	v_exp_f32_e32 v31, v31
	v_cvt_i32_f32_e32 v33, v34
	v_cndmask_b32_e32 v13, 0, v13, vcc
	v_cmp_nlt_f32_e32 vcc, s4, v4
	v_pk_fma_f32 v[20:21], v[20:21], v[2:3], v[28:29]
	s_nop 0
	v_cndmask_b32_e32 v4, v32, v13, vcc
	v_ldexp_f32 v13, v31, v33
	v_cmp_ngt_f32_e32 vcc, s2, v30
	v_cvt_f16_f32_e32 v31, v4
	v_mul_u32_u24_e32 v31, 0x10001, v31
	v_cndmask_b32_e32 v13, 0, v13, vcc
	v_cmp_nlt_f32_e32 vcc, s4, v30
	v_pk_mul_f16 v161, v161, v31
	v_pk_mul_f16 v162, v162, v31
	v_cndmask_b32_e32 v30, v32, v13, vcc
	v_max_f32_e32 v13, v5, v5
	v_max_f32_e32 v13, v13, v15
	v_sub_f32_e32 v5, v5, v13
	v_mul_f32_e32 v33, 0x3fb8aa3b, v5
	v_fma_f32 v34, v5, s5, -v33
	v_rndne_f32_e32 v35, v33
	v_fmac_f32_e32 v34, 0x32a5705f, v5
	v_sub_f32_e32 v33, v33, v35
	v_add_f32_e32 v33, v33, v34
	v_exp_f32_e32 v33, v33
	v_cvt_i32_f32_e32 v34, v35
	v_cmp_ngt_f32_e32 vcc, s2, v5
	v_ldexp_f32 v31, v33, v34
	v_sub_f32_e32 v33, v25, v13
	v_mul_f32_e32 v34, 0x3fb8aa3b, v33
	v_fma_f32 v35, v33, s5, -v34
	v_rndne_f32_e32 v36, v34
	v_fmac_f32_e32 v35, 0x32a5705f, v33
	v_sub_f32_e32 v34, v34, v36
	v_add_f32_e32 v34, v34, v35
	v_exp_f32_e32 v34, v34
	v_cvt_i32_f32_e32 v35, v36
	v_cndmask_b32_e32 v31, 0, v31, vcc
	v_cmp_nlt_f32_e32 vcc, s4, v5
	s_nop 1
	v_cndmask_b32_e32 v5, v32, v31, vcc
	v_ldexp_f32 v31, v34, v35
	v_max_f32_e32 v34, v6, v6
	v_max_f32_e32 v14, v34, v14
	v_sub_f32_e32 v6, v6, v14
	v_mul_f32_e32 v34, 0x3fb8aa3b, v6
	v_fma_f32 v35, v6, s5, -v34
	v_rndne_f32_e32 v36, v34
	v_cmp_ngt_f32_e32 vcc, s2, v33
	v_fmac_f32_e32 v35, 0x32a5705f, v6
	v_sub_f32_e32 v34, v34, v36
	v_cndmask_b32_e32 v31, 0, v31, vcc
	v_cmp_nlt_f32_e32 vcc, s4, v33
	v_cvt_f16_f32_e32 v33, v5
	v_add_f32_e32 v34, v34, v35
	v_exp_f32_e32 v34, v34
	v_cvt_i32_f32_e32 v35, v36
	v_mul_u32_u24_e32 v33, 0x10001, v33
	v_sub_f32_e32 v24, v24, v14
	v_pk_mul_f16 v159, v159, v33
	v_pk_mul_f16 v160, v160, v33
	v_ldexp_f32 v33, v34, v35
	v_mul_f32_e32 v34, 0x3fb8aa3b, v24
	v_fma_f32 v35, v24, s5, -v34
	v_rndne_f32_e32 v36, v34
	v_fmac_f32_e32 v35, 0x32a5705f, v24
	v_sub_f32_e32 v34, v34, v36
	v_add_f32_e32 v34, v34, v35
	v_exp_f32_e32 v34, v34
	v_cvt_i32_f32_e32 v35, v36
	v_cndmask_b32_e32 v31, v32, v31, vcc
	v_cmp_ngt_f32_e32 vcc, s2, v6
	v_pk_fma_f32 v[18:19], v[18:19], v[4:5], v[30:31]
	s_nop 0
	v_cndmask_b32_e32 v33, 0, v33, vcc
	v_cmp_nlt_f32_e32 vcc, s4, v6
	s_nop 1
	v_cndmask_b32_e32 v6, v32, v33, vcc
	v_ldexp_f32 v33, v34, v35
	v_max_f32_e32 v34, v7, v7
	v_max_f32_e32 v15, v34, v15
	v_sub_f32_e32 v7, v7, v15
	v_mul_f32_e32 v34, 0x3fb8aa3b, v7
	v_cmp_ngt_f32_e32 vcc, s2, v24
	v_fma_f32 v35, v7, s5, -v34
	v_rndne_f32_e32 v36, v34
	v_cndmask_b32_e32 v33, 0, v33, vcc
	v_cmp_nlt_f32_e32 vcc, s4, v24
	v_fmac_f32_e32 v35, 0x32a5705f, v7
	v_sub_f32_e32 v34, v34, v36
	v_cndmask_b32_e32 v24, v32, v33, vcc
	v_cvt_f16_f32_e32 v33, v6
	v_add_f32_e32 v34, v34, v35
	v_exp_f32_e32 v34, v34
	v_cvt_i32_f32_e32 v35, v36
	v_mul_u32_u24_e32 v33, 0x10001, v33
	v_sub_f32_e32 v25, v25, v15
	v_pk_mul_f16 v157, v157, v33
	v_pk_mul_f16 v158, v158, v33
	v_ldexp_f32 v33, v34, v35
	v_mul_f32_e32 v34, 0x3fb8aa3b, v25
	v_fma_f32 v35, v25, s5, -v34
	v_rndne_f32_e32 v36, v34
	v_fmac_f32_e32 v35, 0x32a5705f, v25
	v_sub_f32_e32 v34, v34, v36
	v_add_f32_e32 v34, v34, v35
	v_exp_f32_e32 v34, v34
	v_cvt_i32_f32_e32 v35, v36
	v_cmp_ngt_f32_e32 vcc, s2, v7
	s_nop 1
	v_cndmask_b32_e32 v33, 0, v33, vcc
	v_cmp_nlt_f32_e32 vcc, s4, v7
	s_nop 1
	v_cndmask_b32_e32 v7, v32, v33, vcc
	v_ldexp_f32 v33, v34, v35
	v_cvt_f16_f32_e32 v34, v7
	v_cmp_ngt_f32_e32 vcc, s2, v25
	s_nop 1
	v_cndmask_b32_e32 v33, 0, v33, vcc
	v_cmp_nlt_f32_e32 vcc, s4, v25
	s_nop 1
	v_cndmask_b32_e32 v25, v32, v33, vcc
	v_mul_u32_u24_e32 v32, 0x10001, v34
	v_pk_fma_f32 v[16:17], v[16:17], v[6:7], v[24:25]
	v_mov_b64_e32 v[0:1], v[8:9]
	v_pk_mul_f16 v155, v155, v32
	v_pk_mul_f16 v156, v156, v32
	v_mov_b64_e32 v[2:3], v[10:11]
	v_mov_b64_e32 v[4:5], v[12:13]
	;; [unrolled: 1-line block ×3, first 2 shown]
.LBB33_52:
	scratch_load_dword v29, off, off offset:4 ; 4-byte Folded Reload
	scratch_load_dword v13, off, off offset:8 ; 4-byte Folded Reload
	v_lshlrev_b32_e32 v28, 2, v152
	s_waitcnt vmcnt(0)
	v_add_u32_e32 v8, s33, v13
	v_cmp_gt_i32_e32 vcc, s66, v8
	s_and_saveexec_b64 s[4:5], vcc
	s_cbranch_execz .LBB33_107
; %bb.53:
	s_load_dword s2, s[0:1], 0xd4
	v_mov_b32_e32 v8, 1.0
	s_waitcnt lgkmcnt(0)
	s_cmp_lg_u32 s2, 1
	s_cselect_b64 s[0:1], -1, 0
	s_cmp_eq_u32 s2, 1
	s_cselect_b64 s[6:7], -1, 0
	s_and_b64 vcc, exec, s[0:1]
	s_cbranch_vccnz .LBB33_55
; %bb.54:
	v_div_scale_f32 v8, s[4:5], v22, v22, 1.0
	v_rcp_f32_e32 v9, v8
	v_div_scale_f32 v10, vcc, 1.0, v22, 1.0
	v_fma_f32 v11, -v8, v9, 1.0
	v_fmac_f32_e32 v9, v11, v9
	v_mul_f32_e32 v11, v10, v9
	v_fma_f32 v12, -v8, v11, v10
	v_fmac_f32_e32 v11, v12, v9
	v_fma_f32 v8, -v8, v11, v10
	v_div_fmas_f32 v8, v8, v9, v11
	v_div_fixup_f32 v8, v8, v22, 1.0
.LBB33_55:
	s_mul_i32 s8, s74, s66
	s_add_i32 s8, s8, s33
	v_add_u32_e32 v9, s8, v13
	v_mul_lo_u32 v9, v9, s67
	v_add_u32_e32 v10, s68, v9
	v_mul_lo_u32 v10, s2, v10
	v_add_u32_e32 v10, s3, v10
	s_and_saveexec_b64 s[4:5], s[48:49]
	s_cbranch_execz .LBB33_57
; %bb.56:
	v_cvt_f32_f16_sdwa v15, v181 dst_sel:DWORD dst_unused:UNUSED_PAD src0_sel:WORD_1
	v_cvt_f32_f16_e32 v14, v181
	v_cvt_f32_f16_sdwa v25, v184 dst_sel:DWORD dst_unused:UNUSED_PAD src0_sel:WORD_1
	v_cvt_f32_f16_e32 v24, v184
	s_movk_i32 s9, 0x70
	v_mad_u64_u32 v[12:13], s[10:11], v10, s9, v[28:29]
	v_mov_b32_e32 v13, 0
	v_lshl_add_u64 v[26:27], v[12:13], 2, s[60:61]
	v_pk_mul_f32 v[12:13], v[8:9], v[14:15] op_sel_hi:[0,1]
	v_pk_mul_f32 v[14:15], v[8:9], v[24:25] op_sel_hi:[0,1]
	global_store_dwordx4 v[26:27], v[12:15], off
.LBB33_57:
	s_or_b64 exec, exec, s[4:5]
	v_cmp_eq_u32_e32 vcc, 0, v152
	s_and_b64 s[4:5], vcc, s[0:1]
	s_and_saveexec_b64 s[0:1], s[4:5]
	s_cbranch_execz .LBB33_59
; %bb.58:
	v_ashrrev_i32_e32 v11, 31, v10
	v_lshl_add_u64 v[10:11], v[10:11], 3, s[62:63]
	v_mov_b32_e32 v12, v0
	v_mov_b32_e32 v13, v22
	global_store_dwordx2 v[10:11], v[12:13], off
.LBB33_59:
	s_or_b64 exec, exec, s[0:1]
	v_cndmask_b32_e64 v0, 0, 1, s[6:7]
	v_cmp_ne_u32_e64 s[0:1], 1, v0
	s_andn2_b64 vcc, exec, s[6:7]
	v_mov_b32_e32 v0, 1.0
	s_cbranch_vccnz .LBB33_61
; %bb.60:
	v_div_scale_f32 v0, s[6:7], v23, v23, 1.0
	v_rcp_f32_e32 v8, v0
	v_div_scale_f32 v10, vcc, 1.0, v23, 1.0
	v_fma_f32 v11, -v0, v8, 1.0
	v_fmac_f32_e32 v8, v11, v8
	v_mul_f32_e32 v11, v10, v8
	v_fma_f32 v12, -v0, v11, v10
	v_fmac_f32_e32 v11, v12, v8
	v_fma_f32 v0, -v0, v11, v10
	v_div_fmas_f32 v0, v0, v8, v11
	v_div_fixup_f32 v0, v0, v23, 1.0
.LBB33_61:
	s_add_i32 s9, s68, 1
	v_add_u32_e32 v8, s9, v9
	v_mul_lo_u32 v8, s2, v8
	v_add_u32_e32 v8, s3, v8
	s_and_saveexec_b64 s[6:7], s[48:49]
	s_cbranch_execz .LBB33_63
; %bb.62:
	v_cvt_f32_f16_sdwa v13, v168 dst_sel:DWORD dst_unused:UNUSED_PAD src0_sel:WORD_1
	v_cvt_f32_f16_e32 v12, v168
	v_cvt_f32_f16_sdwa v15, v169 dst_sel:DWORD dst_unused:UNUSED_PAD src0_sel:WORD_1
	v_cvt_f32_f16_e32 v14, v169
	s_movk_i32 s10, 0x70
	v_mad_u64_u32 v[10:11], s[10:11], v8, s10, v[28:29]
	v_mov_b32_e32 v11, 0
	v_lshl_add_u64 v[24:25], v[10:11], 2, s[60:61]
	v_pk_mul_f32 v[10:11], v[0:1], v[12:13] op_sel_hi:[0,1]
	v_pk_mul_f32 v[12:13], v[0:1], v[14:15] op_sel_hi:[0,1]
	global_store_dwordx4 v[24:25], v[10:13], off
.LBB33_63:
	s_or_b64 exec, exec, s[6:7]
	s_and_saveexec_b64 s[6:7], s[4:5]
	s_cbranch_execz .LBB33_65
; %bb.64:
	v_ashrrev_i32_e32 v9, 31, v8
	v_lshl_add_u64 v[8:9], v[8:9], 3, s[62:63]
	v_mov_b32_e32 v22, v1
	global_store_dwordx2 v[8:9], v[22:23], off
.LBB33_65:
	s_or_b64 exec, exec, s[6:7]
	v_add_u32_e32 v0, s33, v29
	v_cmp_gt_i32_e32 vcc, s66, v0
	s_and_b64 exec, exec, vcc
	s_cbranch_execz .LBB33_107
; %bb.66:
	s_and_b64 vcc, exec, s[0:1]
	v_mov_b32_e32 v8, 1.0
	s_cbranch_vccnz .LBB33_68
; %bb.67:
	v_div_scale_f32 v0, s[6:7], v20, v20, 1.0
	v_rcp_f32_e32 v1, v0
	v_div_scale_f32 v8, vcc, 1.0, v20, 1.0
	v_fma_f32 v9, -v0, v1, 1.0
	v_fmac_f32_e32 v1, v9, v1
	v_mul_f32_e32 v9, v8, v1
	v_fma_f32 v10, -v0, v9, v8
	v_fmac_f32_e32 v9, v10, v1
	v_fma_f32 v0, -v0, v9, v8
	v_div_fmas_f32 v0, v0, v1, v9
	v_div_fixup_f32 v8, v0, v20, 1.0
.LBB33_68:
	v_add_u32_e32 v0, s8, v29
	v_mul_lo_u32 v0, v0, s67
	v_add_u32_e32 v0, s68, v0
	v_mul_lo_u32 v0, s2, v0
	v_add_u32_e32 v0, s3, v0
	s_and_saveexec_b64 s[6:7], s[48:49]
	s_cbranch_execz .LBB33_70
; %bb.69:
	v_cvt_f32_f16_sdwa v13, v166 dst_sel:DWORD dst_unused:UNUSED_PAD src0_sel:WORD_1
	v_cvt_f32_f16_e32 v12, v166
	v_cvt_f32_f16_sdwa v15, v167 dst_sel:DWORD dst_unused:UNUSED_PAD src0_sel:WORD_1
	v_cvt_f32_f16_e32 v14, v167
	s_movk_i32 s10, 0x70
	v_mad_u64_u32 v[10:11], s[10:11], v0, s10, v[28:29]
	v_mov_b32_e32 v11, 0
	v_lshl_add_u64 v[22:23], v[10:11], 2, s[60:61]
	v_pk_mul_f32 v[10:11], v[8:9], v[12:13] op_sel_hi:[0,1]
	v_pk_mul_f32 v[12:13], v[8:9], v[14:15] op_sel_hi:[0,1]
	global_store_dwordx4 v[22:23], v[10:13], off
.LBB33_70:
	s_or_b64 exec, exec, s[6:7]
	s_and_saveexec_b64 s[6:7], s[4:5]
	s_cbranch_execz .LBB33_72
; %bb.71:
	v_ashrrev_i32_e32 v1, 31, v0
	v_lshl_add_u64 v[0:1], v[0:1], 3, s[62:63]
	v_mov_b32_e32 v8, v2
	v_mov_b32_e32 v9, v20
	global_store_dwordx2 v[0:1], v[8:9], off
.LBB33_72:
	s_or_b64 exec, exec, s[6:7]
	scratch_load_dword v0, off, off offset:12 ; 4-byte Folded Reload
	s_waitcnt vmcnt(0)
	v_lshrrev_b32_e32 v0, 1, v0
	v_add_u32_e32 v1, s33, v0
	v_cmp_gt_i32_e32 vcc, s66, v1
	s_and_b64 exec, exec, vcc
	s_cbranch_execz .LBB33_107
; %bb.73:
	s_and_b64 vcc, exec, s[0:1]
	v_mov_b32_e32 v2, 1.0
	s_cbranch_vccnz .LBB33_75
; %bb.74:
	v_div_scale_f32 v1, s[6:7], v21, v21, 1.0
	v_rcp_f32_e32 v2, v1
	v_div_scale_f32 v8, vcc, 1.0, v21, 1.0
	v_fma_f32 v9, -v1, v2, 1.0
	v_fmac_f32_e32 v2, v9, v2
	v_mul_f32_e32 v9, v8, v2
	v_fma_f32 v10, -v1, v9, v8
	v_fmac_f32_e32 v9, v10, v2
	v_fma_f32 v1, -v1, v9, v8
	v_div_fmas_f32 v1, v1, v2, v9
	v_div_fixup_f32 v2, v1, v21, 1.0
.LBB33_75:
	v_add_u32_e32 v0, s8, v0
	v_mul_lo_u32 v0, v0, s67
	v_add_u32_e32 v0, s9, v0
	v_mul_lo_u32 v0, s2, v0
	v_add_u32_e32 v0, s3, v0
	s_and_saveexec_b64 s[6:7], s[48:49]
	s_cbranch_execz .LBB33_77
; %bb.76:
	v_cvt_f32_f16_sdwa v11, v163 dst_sel:DWORD dst_unused:UNUSED_PAD src0_sel:WORD_1
	v_cvt_f32_f16_e32 v10, v163
	v_cvt_f32_f16_sdwa v13, v164 dst_sel:DWORD dst_unused:UNUSED_PAD src0_sel:WORD_1
	v_cvt_f32_f16_e32 v12, v164
	s_movk_i32 s10, 0x70
	v_mad_u64_u32 v[8:9], s[10:11], v0, s10, v[28:29]
	v_mov_b32_e32 v9, 0
	v_lshl_add_u64 v[14:15], v[8:9], 2, s[60:61]
	v_pk_mul_f32 v[8:9], v[2:3], v[10:11] op_sel_hi:[0,1]
	v_pk_mul_f32 v[10:11], v[2:3], v[12:13] op_sel_hi:[0,1]
	global_store_dwordx4 v[14:15], v[8:11], off
.LBB33_77:
	s_or_b64 exec, exec, s[6:7]
	s_and_saveexec_b64 s[6:7], s[4:5]
	s_cbranch_execz .LBB33_79
; %bb.78:
	v_ashrrev_i32_e32 v1, 31, v0
	v_lshl_add_u64 v[0:1], v[0:1], 3, s[62:63]
	v_mov_b32_e32 v20, v3
	global_store_dwordx2 v[0:1], v[20:21], off
.LBB33_79:
	s_or_b64 exec, exec, s[6:7]
	scratch_load_dword v0, off, off offset:16 ; 4-byte Folded Reload
	s_waitcnt vmcnt(0)
	v_lshrrev_b32_e32 v0, 1, v0
	v_add_u32_e32 v1, s33, v0
	v_cmp_gt_i32_e32 vcc, s66, v1
	s_and_b64 exec, exec, vcc
	s_cbranch_execz .LBB33_107
; %bb.80:
	s_and_b64 vcc, exec, s[0:1]
	v_mov_b32_e32 v2, 1.0
	s_cbranch_vccnz .LBB33_82
; %bb.81:
	v_div_scale_f32 v1, s[6:7], v18, v18, 1.0
	v_rcp_f32_e32 v2, v1
	v_div_scale_f32 v3, vcc, 1.0, v18, 1.0
	v_fma_f32 v8, -v1, v2, 1.0
	v_fmac_f32_e32 v2, v8, v2
	v_mul_f32_e32 v8, v3, v2
	v_fma_f32 v9, -v1, v8, v3
	v_fmac_f32_e32 v8, v9, v2
	v_fma_f32 v1, -v1, v8, v3
	v_div_fmas_f32 v1, v1, v2, v8
	v_div_fixup_f32 v2, v1, v18, 1.0
.LBB33_82:
	v_add_u32_e32 v0, s8, v0
	v_mul_lo_u32 v0, v0, s67
	v_add_u32_e32 v0, s68, v0
	v_mul_lo_u32 v0, s2, v0
	v_add_u32_e32 v0, s3, v0
	s_and_saveexec_b64 s[6:7], s[48:49]
	s_cbranch_execz .LBB33_84
; %bb.83:
	v_cvt_f32_f16_sdwa v11, v161 dst_sel:DWORD dst_unused:UNUSED_PAD src0_sel:WORD_1
	v_cvt_f32_f16_e32 v10, v161
	v_cvt_f32_f16_sdwa v13, v162 dst_sel:DWORD dst_unused:UNUSED_PAD src0_sel:WORD_1
	v_cvt_f32_f16_e32 v12, v162
	s_movk_i32 s10, 0x70
	v_mad_u64_u32 v[8:9], s[10:11], v0, s10, v[28:29]
	v_mov_b32_e32 v9, 0
	v_lshl_add_u64 v[14:15], v[8:9], 2, s[60:61]
	v_pk_mul_f32 v[8:9], v[2:3], v[10:11] op_sel_hi:[0,1]
	v_pk_mul_f32 v[10:11], v[2:3], v[12:13] op_sel_hi:[0,1]
	global_store_dwordx4 v[14:15], v[8:11], off
.LBB33_84:
	s_or_b64 exec, exec, s[6:7]
	s_and_saveexec_b64 s[6:7], s[4:5]
	s_cbranch_execz .LBB33_86
; %bb.85:
	v_ashrrev_i32_e32 v1, 31, v0
	v_lshl_add_u64 v[0:1], v[0:1], 3, s[62:63]
	v_mov_b32_e32 v2, v4
	v_mov_b32_e32 v3, v18
	global_store_dwordx2 v[0:1], v[2:3], off
.LBB33_86:
	s_or_b64 exec, exec, s[6:7]
	scratch_load_dword v0, off, off offset:20 ; 4-byte Folded Reload
	s_waitcnt vmcnt(0)
	v_lshrrev_b32_e32 v0, 1, v0
	v_add_u32_e32 v1, s33, v0
	v_cmp_gt_i32_e32 vcc, s66, v1
	s_and_b64 exec, exec, vcc
	s_cbranch_execz .LBB33_107
; %bb.87:
	s_and_b64 vcc, exec, s[0:1]
	v_mov_b32_e32 v2, 1.0
	s_cbranch_vccnz .LBB33_89
; %bb.88:
	v_div_scale_f32 v1, s[6:7], v19, v19, 1.0
	v_rcp_f32_e32 v2, v1
	v_div_scale_f32 v3, vcc, 1.0, v19, 1.0
	v_fma_f32 v4, -v1, v2, 1.0
	v_fmac_f32_e32 v2, v4, v2
	v_mul_f32_e32 v4, v3, v2
	v_fma_f32 v8, -v1, v4, v3
	v_fmac_f32_e32 v4, v8, v2
	v_fma_f32 v1, -v1, v4, v3
	v_div_fmas_f32 v1, v1, v2, v4
	v_div_fixup_f32 v2, v1, v19, 1.0
.LBB33_89:
	v_add_u32_e32 v0, s8, v0
	v_mul_lo_u32 v0, v0, s67
	v_add_u32_e32 v0, s9, v0
	v_mul_lo_u32 v0, s2, v0
	v_add_u32_e32 v0, s3, v0
	s_and_saveexec_b64 s[6:7], s[48:49]
	s_cbranch_execz .LBB33_91
; %bb.90:
	v_cvt_f32_f16_sdwa v11, v159 dst_sel:DWORD dst_unused:UNUSED_PAD src0_sel:WORD_1
	v_cvt_f32_f16_e32 v10, v159
	v_cvt_f32_f16_sdwa v13, v160 dst_sel:DWORD dst_unused:UNUSED_PAD src0_sel:WORD_1
	v_cvt_f32_f16_e32 v12, v160
	s_movk_i32 s10, 0x70
	v_mad_u64_u32 v[8:9], s[10:11], v0, s10, v[28:29]
	v_mov_b32_e32 v9, 0
	v_lshl_add_u64 v[14:15], v[8:9], 2, s[60:61]
	v_pk_mul_f32 v[8:9], v[2:3], v[10:11] op_sel_hi:[0,1]
	v_pk_mul_f32 v[10:11], v[2:3], v[12:13] op_sel_hi:[0,1]
	global_store_dwordx4 v[14:15], v[8:11], off
.LBB33_91:
	s_or_b64 exec, exec, s[6:7]
	s_and_saveexec_b64 s[6:7], s[4:5]
	s_cbranch_execz .LBB33_93
; %bb.92:
	v_ashrrev_i32_e32 v1, 31, v0
	v_lshl_add_u64 v[0:1], v[0:1], 3, s[62:63]
	v_mov_b32_e32 v18, v5
	global_store_dwordx2 v[0:1], v[18:19], off
.LBB33_93:
	s_or_b64 exec, exec, s[6:7]
	scratch_load_dword v0, off, off offset:24 ; 4-byte Folded Reload
	s_waitcnt vmcnt(0)
	v_lshrrev_b32_e32 v0, 1, v0
	v_add_u32_e32 v1, s33, v0
	v_cmp_gt_i32_e32 vcc, s66, v1
	s_and_b64 exec, exec, vcc
	s_cbranch_execz .LBB33_107
; %bb.94:
	s_and_b64 vcc, exec, s[0:1]
	v_mov_b32_e32 v2, 1.0
	s_cbranch_vccnz .LBB33_96
; %bb.95:
	v_div_scale_f32 v1, s[6:7], v16, v16, 1.0
	v_rcp_f32_e32 v2, v1
	v_div_scale_f32 v3, vcc, 1.0, v16, 1.0
	v_fma_f32 v4, -v1, v2, 1.0
	v_fmac_f32_e32 v2, v4, v2
	v_mul_f32_e32 v4, v3, v2
	v_fma_f32 v5, -v1, v4, v3
	v_fmac_f32_e32 v4, v5, v2
	v_fma_f32 v1, -v1, v4, v3
	v_div_fmas_f32 v1, v1, v2, v4
	v_div_fixup_f32 v2, v1, v16, 1.0
.LBB33_96:
	v_add_u32_e32 v0, s8, v0
	v_mul_lo_u32 v0, v0, s67
	v_add_u32_e32 v0, s68, v0
	v_mul_lo_u32 v0, s2, v0
	v_add_u32_e32 v0, s3, v0
	s_and_saveexec_b64 s[6:7], s[48:49]
	s_cbranch_execz .LBB33_98
; %bb.97:
	v_cvt_f32_f16_sdwa v9, v157 dst_sel:DWORD dst_unused:UNUSED_PAD src0_sel:WORD_1
	v_cvt_f32_f16_e32 v8, v157
	v_cvt_f32_f16_sdwa v11, v158 dst_sel:DWORD dst_unused:UNUSED_PAD src0_sel:WORD_1
	v_cvt_f32_f16_e32 v10, v158
	s_movk_i32 s10, 0x70
	v_mad_u64_u32 v[4:5], s[10:11], v0, s10, v[28:29]
	v_mov_b32_e32 v5, 0
	v_lshl_add_u64 v[4:5], v[4:5], 2, s[60:61]
	v_pk_mul_f32 v[8:9], v[2:3], v[8:9] op_sel_hi:[0,1]
	v_pk_mul_f32 v[10:11], v[2:3], v[10:11] op_sel_hi:[0,1]
	global_store_dwordx4 v[4:5], v[8:11], off
.LBB33_98:
	s_or_b64 exec, exec, s[6:7]
	s_and_saveexec_b64 s[6:7], s[4:5]
	s_cbranch_execz .LBB33_100
; %bb.99:
	v_ashrrev_i32_e32 v1, 31, v0
	v_lshl_add_u64 v[0:1], v[0:1], 3, s[62:63]
	v_mov_b32_e32 v2, v6
	v_mov_b32_e32 v3, v16
	global_store_dwordx2 v[0:1], v[2:3], off
.LBB33_100:
	s_or_b64 exec, exec, s[6:7]
	scratch_load_dword v0, off, off offset:28 ; 4-byte Folded Reload
	s_waitcnt vmcnt(0)
	v_lshrrev_b32_e32 v0, 1, v0
	v_add_u32_e32 v1, s33, v0
	v_cmp_gt_i32_e32 vcc, s66, v1
	s_and_b64 exec, exec, vcc
	s_cbranch_execz .LBB33_107
; %bb.101:
	s_and_b64 vcc, exec, s[0:1]
	v_mov_b32_e32 v2, 1.0
	s_cbranch_vccnz .LBB33_103
; %bb.102:
	v_div_scale_f32 v1, s[0:1], v17, v17, 1.0
	v_rcp_f32_e32 v2, v1
	v_div_scale_f32 v3, vcc, 1.0, v17, 1.0
	v_fma_f32 v4, -v1, v2, 1.0
	v_fmac_f32_e32 v2, v4, v2
	v_mul_f32_e32 v4, v3, v2
	v_fma_f32 v5, -v1, v4, v3
	v_fmac_f32_e32 v4, v5, v2
	v_fma_f32 v1, -v1, v4, v3
	v_div_fmas_f32 v1, v1, v2, v4
	v_div_fixup_f32 v2, v1, v17, 1.0
.LBB33_103:
	v_add_u32_e32 v0, s8, v0
	v_mul_lo_u32 v0, v0, s67
	v_add_u32_e32 v0, s9, v0
	v_mul_lo_u32 v0, s2, v0
	v_add_u32_e32 v0, s3, v0
	s_and_saveexec_b64 s[0:1], s[48:49]
	s_cbranch_execz .LBB33_105
; %bb.104:
	v_cvt_f32_f16_sdwa v9, v155 dst_sel:DWORD dst_unused:UNUSED_PAD src0_sel:WORD_1
	v_cvt_f32_f16_e32 v8, v155
	v_cvt_f32_f16_sdwa v11, v156 dst_sel:DWORD dst_unused:UNUSED_PAD src0_sel:WORD_1
	v_cvt_f32_f16_e32 v10, v156
	s_movk_i32 s2, 0x70
	v_mad_u64_u32 v[4:5], s[2:3], v0, s2, v[28:29]
	v_mov_b32_e32 v5, 0
	v_lshl_add_u64 v[4:5], v[4:5], 2, s[60:61]
	v_pk_mul_f32 v[8:9], v[2:3], v[8:9] op_sel_hi:[0,1]
	v_pk_mul_f32 v[10:11], v[2:3], v[10:11] op_sel_hi:[0,1]
	global_store_dwordx4 v[4:5], v[8:11], off
.LBB33_105:
	s_or_b64 exec, exec, s[0:1]
	s_and_b64 exec, exec, s[4:5]
	s_cbranch_execz .LBB33_107
; %bb.106:
	v_ashrrev_i32_e32 v1, 31, v0
	v_lshl_add_u64 v[0:1], v[0:1], 3, s[62:63]
	v_mov_b32_e32 v16, v7
	global_store_dwordx2 v[0:1], v[16:17], off
.LBB33_107:
	s_endpgm
	.section	.rodata,"a",@progbits
	.p2align	6, 0x0
	.amdhsa_kernel _ZL15flash_attn_tileILi112ELi112ELi32ELi2ELb0EEvPKcS1_S1_S1_S1_PKiPfP15HIP_vector_typeIfLj2EEffffjfiS5_IjLj3EEiiiiiiiiiiiliiliiiiil
		.amdhsa_group_segment_fixed_size 22592
		.amdhsa_private_segment_fixed_size 36
		.amdhsa_kernarg_size 464
		.amdhsa_user_sgpr_count 2
		.amdhsa_user_sgpr_dispatch_ptr 0
		.amdhsa_user_sgpr_queue_ptr 0
		.amdhsa_user_sgpr_kernarg_segment_ptr 1
		.amdhsa_user_sgpr_dispatch_id 0
		.amdhsa_user_sgpr_kernarg_preload_length 0
		.amdhsa_user_sgpr_kernarg_preload_offset 0
		.amdhsa_user_sgpr_private_segment_size 0
		.amdhsa_uses_dynamic_stack 0
		.amdhsa_enable_private_segment 1
		.amdhsa_system_sgpr_workgroup_id_x 1
		.amdhsa_system_sgpr_workgroup_id_y 1
		.amdhsa_system_sgpr_workgroup_id_z 1
		.amdhsa_system_sgpr_workgroup_info 0
		.amdhsa_system_vgpr_workitem_id 1
		.amdhsa_next_free_vgpr 256
		.amdhsa_next_free_sgpr 79
		.amdhsa_accum_offset 256
		.amdhsa_reserve_vcc 1
		.amdhsa_float_round_mode_32 0
		.amdhsa_float_round_mode_16_64 0
		.amdhsa_float_denorm_mode_32 3
		.amdhsa_float_denorm_mode_16_64 3
		.amdhsa_dx10_clamp 1
		.amdhsa_ieee_mode 1
		.amdhsa_fp16_overflow 0
		.amdhsa_tg_split 0
		.amdhsa_exception_fp_ieee_invalid_op 0
		.amdhsa_exception_fp_denorm_src 0
		.amdhsa_exception_fp_ieee_div_zero 0
		.amdhsa_exception_fp_ieee_overflow 0
		.amdhsa_exception_fp_ieee_underflow 0
		.amdhsa_exception_fp_ieee_inexact 0
		.amdhsa_exception_int_div_zero 0
	.end_amdhsa_kernel
	.section	.text._ZL15flash_attn_tileILi112ELi112ELi32ELi2ELb0EEvPKcS1_S1_S1_S1_PKiPfP15HIP_vector_typeIfLj2EEffffjfiS5_IjLj3EEiiiiiiiiiiiliiliiiiil,"axG",@progbits,_ZL15flash_attn_tileILi112ELi112ELi32ELi2ELb0EEvPKcS1_S1_S1_S1_PKiPfP15HIP_vector_typeIfLj2EEffffjfiS5_IjLj3EEiiiiiiiiiiiliiliiiiil,comdat
.Lfunc_end33:
	.size	_ZL15flash_attn_tileILi112ELi112ELi32ELi2ELb0EEvPKcS1_S1_S1_S1_PKiPfP15HIP_vector_typeIfLj2EEffffjfiS5_IjLj3EEiiiiiiiiiiiliiliiiiil, .Lfunc_end33-_ZL15flash_attn_tileILi112ELi112ELi32ELi2ELb0EEvPKcS1_S1_S1_S1_PKiPfP15HIP_vector_typeIfLj2EEffffjfiS5_IjLj3EEiiiiiiiiiiiliiliiiiil
                                        ; -- End function
	.set _ZL15flash_attn_tileILi112ELi112ELi32ELi2ELb0EEvPKcS1_S1_S1_S1_PKiPfP15HIP_vector_typeIfLj2EEffffjfiS5_IjLj3EEiiiiiiiiiiiliiliiiiil.num_vgpr, 256
	.set _ZL15flash_attn_tileILi112ELi112ELi32ELi2ELb0EEvPKcS1_S1_S1_S1_PKiPfP15HIP_vector_typeIfLj2EEffffjfiS5_IjLj3EEiiiiiiiiiiiliiliiiiil.num_agpr, 0
	.set _ZL15flash_attn_tileILi112ELi112ELi32ELi2ELb0EEvPKcS1_S1_S1_S1_PKiPfP15HIP_vector_typeIfLj2EEffffjfiS5_IjLj3EEiiiiiiiiiiiliiliiiiil.numbered_sgpr, 79
	.set _ZL15flash_attn_tileILi112ELi112ELi32ELi2ELb0EEvPKcS1_S1_S1_S1_PKiPfP15HIP_vector_typeIfLj2EEffffjfiS5_IjLj3EEiiiiiiiiiiiliiliiiiil.num_named_barrier, 0
	.set _ZL15flash_attn_tileILi112ELi112ELi32ELi2ELb0EEvPKcS1_S1_S1_S1_PKiPfP15HIP_vector_typeIfLj2EEffffjfiS5_IjLj3EEiiiiiiiiiiiliiliiiiil.private_seg_size, 36
	.set _ZL15flash_attn_tileILi112ELi112ELi32ELi2ELb0EEvPKcS1_S1_S1_S1_PKiPfP15HIP_vector_typeIfLj2EEffffjfiS5_IjLj3EEiiiiiiiiiiiliiliiiiil.uses_vcc, 1
	.set _ZL15flash_attn_tileILi112ELi112ELi32ELi2ELb0EEvPKcS1_S1_S1_S1_PKiPfP15HIP_vector_typeIfLj2EEffffjfiS5_IjLj3EEiiiiiiiiiiiliiliiiiil.uses_flat_scratch, 0
	.set _ZL15flash_attn_tileILi112ELi112ELi32ELi2ELb0EEvPKcS1_S1_S1_S1_PKiPfP15HIP_vector_typeIfLj2EEffffjfiS5_IjLj3EEiiiiiiiiiiiliiliiiiil.has_dyn_sized_stack, 0
	.set _ZL15flash_attn_tileILi112ELi112ELi32ELi2ELb0EEvPKcS1_S1_S1_S1_PKiPfP15HIP_vector_typeIfLj2EEffffjfiS5_IjLj3EEiiiiiiiiiiiliiliiiiil.has_recursion, 0
	.set _ZL15flash_attn_tileILi112ELi112ELi32ELi2ELb0EEvPKcS1_S1_S1_S1_PKiPfP15HIP_vector_typeIfLj2EEffffjfiS5_IjLj3EEiiiiiiiiiiiliiliiiiil.has_indirect_call, 0
	.section	.AMDGPU.csdata,"",@progbits
; Kernel info:
; codeLenInByte = 28448
; TotalNumSgprs: 85
; NumVgprs: 256
; NumAgprs: 0
; TotalNumVgprs: 256
; ScratchSize: 36
; MemoryBound: 0
; FloatMode: 240
; IeeeMode: 1
; LDSByteSize: 22592 bytes/workgroup (compile time only)
; SGPRBlocks: 10
; VGPRBlocks: 31
; NumSGPRsForWavesPerEU: 85
; NumVGPRsForWavesPerEU: 256
; AccumOffset: 256
; Occupancy: 2
; WaveLimiterHint : 1
; COMPUTE_PGM_RSRC2:SCRATCH_EN: 1
; COMPUTE_PGM_RSRC2:USER_SGPR: 2
; COMPUTE_PGM_RSRC2:TRAP_HANDLER: 0
; COMPUTE_PGM_RSRC2:TGID_X_EN: 1
; COMPUTE_PGM_RSRC2:TGID_Y_EN: 1
; COMPUTE_PGM_RSRC2:TGID_Z_EN: 1
; COMPUTE_PGM_RSRC2:TIDIG_COMP_CNT: 1
; COMPUTE_PGM_RSRC3_GFX90A:ACCUM_OFFSET: 63
; COMPUTE_PGM_RSRC3_GFX90A:TG_SPLIT: 0
	.section	.text._ZL25flash_attn_mask_to_KV_maxILi32EEvPK7__half2Piiii,"axG",@progbits,_ZL25flash_attn_mask_to_KV_maxILi32EEvPK7__half2Piiii,comdat
	.globl	_ZL25flash_attn_mask_to_KV_maxILi32EEvPK7__half2Piiii ; -- Begin function _ZL25flash_attn_mask_to_KV_maxILi32EEvPK7__half2Piiii
	.p2align	8
	.type	_ZL25flash_attn_mask_to_KV_maxILi32EEvPK7__half2Piiii,@function
_ZL25flash_attn_mask_to_KV_maxILi32EEvPK7__half2Piiii: ; @_ZL25flash_attn_mask_to_KV_maxILi32EEvPK7__half2Piiii
; %bb.0:
	s_load_dwordx4 s[4:7], s[0:1], 0x0
	v_cmp_gt_u32_e32 vcc, 32, v0
	s_and_saveexec_b64 s[8:9], vcc
; %bb.1:
	v_lshlrev_b32_e32 v1, 2, v0
	v_mov_b32_e32 v2, 1
	ds_write_b32 v1, v2
; %bb.2:
	s_or_b64 exec, exec, s[8:9]
	s_load_dwordx4 s[8:11], s[0:1], 0x10
	s_load_dword s33, s[0:1], 0x20
	v_and_b32_e32 v2, 31, v0
	v_lshlrev_b32_e32 v6, 2, v2
	v_lshrrev_b32_e32 v1, 3, v0
	s_waitcnt lgkmcnt(0)
	s_mul_i32 s1, s2, s9
	s_mul_i32 s0, s10, s3
	s_lshl_b32 s1, s1, 5
	s_add_i32 s0, s0, s1
	s_ashr_i32 s1, s0, 31
	s_lshl_b64 s[0:1], s[0:1], 2
	s_add_u32 s10, s4, s0
	s_addc_u32 s11, s5, s1
	v_cmp_eq_u32_e64 s[0:1], 0, v2
	v_mbcnt_lo_u32_b32 v2, -1, 0
	s_lshl_b32 s8, s8, 8
	s_mov_b64 s[12:13], 0
	v_mov_b32_e32 v3, 0
	s_movk_i32 s98, 0x204
	v_mbcnt_hi_u32_b32 v7, -1, v2
	s_barrier
                                        ; implicit-def: $sgpr4_sgpr5
	s_branch .LBB34_5
.LBB34_3:                               ;   in Loop: Header=BB34_5 Depth=1
	s_or_b64 exec, exec, s[14:15]
	s_waitcnt lgkmcnt(0)
	s_barrier
	ds_read_b32 v10, v6
	s_waitcnt lgkmcnt(0)
	s_barrier
	ds_bpermute_b32 v2, v2, v10
	v_cmp_ne_u32_e32 vcc, 0, v10
	s_waitcnt lgkmcnt(0)
	v_cmp_ne_u32_e64 s[4:5], 0, v2
	s_and_b64 s[4:5], vcc, s[4:5]
	s_nop 0
	v_cndmask_b32_e64 v2, 0, 1, s[4:5]
	ds_bpermute_b32 v2, v4, v2
	s_waitcnt lgkmcnt(0)
	v_cmp_ne_u32_e32 vcc, 0, v2
	s_and_b64 s[4:5], vcc, s[4:5]
	v_cndmask_b32_e64 v2, 0, 1, s[4:5]
	ds_bpermute_b32 v2, v5, v2
	s_waitcnt lgkmcnt(0)
	v_cmp_ne_u32_e32 vcc, 0, v2
	s_and_b64 s[4:5], vcc, s[4:5]
	;; [unrolled: 5-line block ×3, first 2 shown]
	v_cndmask_b32_e64 v2, 0, 1, s[4:5]
	ds_bpermute_b32 v2, v9, v2
	s_xor_b64 s[4:5], s[4:5], -1
	s_waitcnt lgkmcnt(0)
	v_cmp_eq_u32_e32 vcc, 0, v2
	s_or_b64 s[4:5], vcc, s[4:5]
.LBB34_4:                               ;   in Loop: Header=BB34_5 Depth=1
	s_and_b64 s[14:15], exec, s[4:5]
	s_or_b64 s[12:13], s[14:15], s[12:13]
	v_mov_b32_e32 v2, s8
	s_mov_b32 s8, s99
	s_andn2_b64 exec, exec, s[12:13]
	s_cbranch_execz .LBB34_132
.LBB34_5:                               ; =>This Inner Loop Header: Depth=1
	s_add_i32 s99, s8, 0xffffff00
	s_or_b64 s[4:5], s[4:5], exec
	s_cmp_lt_i32 s99, 0
	s_cbranch_scc1 .LBB34_4
; %bb.6:                                ;   in Loop: Header=BB34_5 Depth=1
	s_lshr_b32 s4, s99, 1
	v_add_u32_e32 v2, s4, v0
	v_lshl_add_u64 v[4:5], v[2:3], 2, s[10:11]
	global_load_dword v4, v[4:5], off
	v_mov_b32_e32 v5, 0
	s_waitcnt vmcnt(0)
	v_cmp_class_f16_e64 s[4:5], v4, s98
	v_cmp_class_f16_sdwa s[14:15], v4, s98 src0_sel:WORD_1 src1_sel:DWORD
	s_and_b64 s[14:15], s[4:5], s[14:15]
	s_and_saveexec_b64 s[4:5], s[14:15]
	s_cbranch_execz .LBB34_130
; %bb.7:                                ;   in Loop: Header=BB34_5 Depth=1
	v_add_u32_e32 v4, s9, v2
	v_ashrrev_i32_e32 v5, 31, v4
	v_lshl_add_u64 v[8:9], v[4:5], 2, s[10:11]
	global_load_dword v2, v[8:9], off
	v_mov_b32_e32 v5, 0
	s_waitcnt vmcnt(0)
	v_cmp_class_f16_e64 s[16:17], v2, s98
	s_and_saveexec_b64 s[14:15], s[16:17]
	s_cbranch_execz .LBB34_129
; %bb.8:                                ;   in Loop: Header=BB34_5 Depth=1
	v_cmp_class_f16_sdwa s[18:19], v2, s98 src0_sel:WORD_1 src1_sel:DWORD
	v_mov_b32_e32 v5, 0
	s_and_saveexec_b64 s[16:17], s[18:19]
	s_cbranch_execz .LBB34_128
; %bb.9:                                ;   in Loop: Header=BB34_5 Depth=1
	v_add_u32_e32 v4, s9, v4
	v_ashrrev_i32_e32 v5, 31, v4
	v_lshl_add_u64 v[8:9], v[4:5], 2, s[10:11]
	global_load_dword v2, v[8:9], off
	v_mov_b32_e32 v5, 0
	s_waitcnt vmcnt(0)
	v_cmp_class_f16_e64 s[20:21], v2, s98
	s_and_saveexec_b64 s[18:19], s[20:21]
	s_cbranch_execz .LBB34_127
; %bb.10:                               ;   in Loop: Header=BB34_5 Depth=1
	v_cmp_class_f16_sdwa s[22:23], v2, s98 src0_sel:WORD_1 src1_sel:DWORD
	v_mov_b32_e32 v5, 0
	s_and_saveexec_b64 s[20:21], s[22:23]
	s_cbranch_execz .LBB34_126
; %bb.11:                               ;   in Loop: Header=BB34_5 Depth=1
	v_add_u32_e32 v4, s9, v4
	v_ashrrev_i32_e32 v5, 31, v4
	v_lshl_add_u64 v[8:9], v[4:5], 2, s[10:11]
	global_load_dword v2, v[8:9], off
	v_mov_b32_e32 v5, 0
	s_waitcnt vmcnt(0)
	v_cmp_class_f16_e64 s[24:25], v2, s98
	s_and_saveexec_b64 s[22:23], s[24:25]
	s_cbranch_execz .LBB34_125
; %bb.12:                               ;   in Loop: Header=BB34_5 Depth=1
	v_cmp_class_f16_sdwa s[26:27], v2, s98 src0_sel:WORD_1 src1_sel:DWORD
	v_mov_b32_e32 v5, 0
	s_and_saveexec_b64 s[24:25], s[26:27]
	s_cbranch_execz .LBB34_124
; %bb.13:                               ;   in Loop: Header=BB34_5 Depth=1
	;; [unrolled: 15-line block ×19, first 2 shown]
	v_add_u32_e32 v4, s9, v4
	v_ashrrev_i32_e32 v5, 31, v4
	v_lshl_add_u64 v[8:9], v[4:5], 2, s[10:11]
	global_load_dword v2, v[8:9], off
	v_mov_b32_e32 v5, 0
	s_waitcnt vmcnt(0)
	v_cmp_class_f16_e64 vcc, v2, s98
	s_mov_b64 s[96:97], exec
                                        ; implicit-def: $vgpr12 : SGPR spill to VGPR lane
	v_writelane_b32 v12, s96, 0
	s_and_b64 vcc, s[96:97], vcc
	s_nop 0
	v_writelane_b32 v12, s97, 1
	s_mov_b64 exec, vcc
	s_cbranch_execz .LBB34_89
; %bb.48:                               ;   in Loop: Header=BB34_5 Depth=1
	v_mov_b32_e32 v5, 0
	v_cmp_class_f16_sdwa s[96:97], v2, s98 src0_sel:WORD_1 src1_sel:DWORD
	s_mov_b64 vcc, exec
	s_nop 0
	v_writelane_b32 v12, vcc_lo, 2
	s_and_b64 s[96:97], vcc, s[96:97]
	s_nop 0
	v_writelane_b32 v12, vcc_hi, 3
	s_mov_b64 exec, s[96:97]
	s_cbranch_execz .LBB34_88
; %bb.49:                               ;   in Loop: Header=BB34_5 Depth=1
	v_add_u32_e32 v4, s9, v4
	v_ashrrev_i32_e32 v5, 31, v4
	v_lshl_add_u64 v[8:9], v[4:5], 2, s[10:11]
	global_load_dword v2, v[8:9], off
	v_mov_b32_e32 v5, 0
	s_waitcnt vmcnt(0)
	v_cmp_class_f16_e64 s[96:97], v2, s98
	s_mov_b64 vcc, exec
	v_writelane_b32 v12, vcc_lo, 4
	s_and_b64 s[96:97], vcc, s[96:97]
	s_nop 0
	v_writelane_b32 v12, vcc_hi, 5
	s_mov_b64 exec, s[96:97]
	s_cbranch_execz .LBB34_87
; %bb.50:                               ;   in Loop: Header=BB34_5 Depth=1
	v_mov_b32_e32 v5, 0
	v_cmp_class_f16_sdwa s[96:97], v2, s98 src0_sel:WORD_1 src1_sel:DWORD
	s_mov_b64 vcc, exec
	s_nop 0
	v_writelane_b32 v12, vcc_lo, 6
	s_and_b64 s[96:97], vcc, s[96:97]
	s_nop 0
	v_writelane_b32 v12, vcc_hi, 7
	s_mov_b64 exec, s[96:97]
	s_cbranch_execz .LBB34_86
; %bb.51:                               ;   in Loop: Header=BB34_5 Depth=1
	v_add_u32_e32 v4, s9, v4
	v_ashrrev_i32_e32 v5, 31, v4
	v_lshl_add_u64 v[8:9], v[4:5], 2, s[10:11]
	global_load_dword v2, v[8:9], off
	v_mov_b32_e32 v5, 0
	s_waitcnt vmcnt(0)
	v_cmp_class_f16_e64 s[96:97], v2, s98
	s_mov_b64 vcc, exec
	v_writelane_b32 v12, vcc_lo, 8
	s_and_b64 s[96:97], vcc, s[96:97]
	s_nop 0
	v_writelane_b32 v12, vcc_hi, 9
	s_mov_b64 exec, s[96:97]
	;; [unrolled: 26-line block ×10, first 2 shown]
; %bb.68:                               ;   in Loop: Header=BB34_5 Depth=1
	v_cmp_class_f16_sdwa s[96:97], v2, s98 src0_sel:WORD_1 src1_sel:DWORD
	s_nop 1
	v_cndmask_b32_e64 v5, 0, 1, s[96:97]
; %bb.69:                               ;   in Loop: Header=BB34_5 Depth=1
	v_readlane_b32 s96, v12, 40
	v_readlane_b32 s97, v12, 41
	s_or_b64 exec, exec, s[96:97]
.LBB34_70:                              ;   in Loop: Header=BB34_5 Depth=1
	v_readlane_b32 s96, v12, 38
	v_readlane_b32 s97, v12, 39
	s_or_b64 exec, exec, s[96:97]
.LBB34_71:                              ;   in Loop: Header=BB34_5 Depth=1
	v_readlane_b32 s96, v12, 36
	v_readlane_b32 s97, v12, 37
	s_or_b64 exec, exec, s[96:97]
.LBB34_72:                              ;   in Loop: Header=BB34_5 Depth=1
	v_readlane_b32 s96, v12, 34
	v_readlane_b32 s97, v12, 35
	s_or_b64 exec, exec, s[96:97]
.LBB34_73:                              ;   in Loop: Header=BB34_5 Depth=1
	v_readlane_b32 s96, v12, 32
	v_readlane_b32 s97, v12, 33
	s_or_b64 exec, exec, s[96:97]
.LBB34_74:                              ;   in Loop: Header=BB34_5 Depth=1
	v_readlane_b32 s96, v12, 30
	v_readlane_b32 s97, v12, 31
	s_or_b64 exec, exec, s[96:97]
.LBB34_75:                              ;   in Loop: Header=BB34_5 Depth=1
	v_readlane_b32 s96, v12, 28
	v_readlane_b32 s97, v12, 29
	s_or_b64 exec, exec, s[96:97]
.LBB34_76:                              ;   in Loop: Header=BB34_5 Depth=1
	v_readlane_b32 s96, v12, 26
	v_readlane_b32 s97, v12, 27
	s_or_b64 exec, exec, s[96:97]
.LBB34_77:                              ;   in Loop: Header=BB34_5 Depth=1
	v_readlane_b32 s96, v12, 24
	v_readlane_b32 s97, v12, 25
	s_or_b64 exec, exec, s[96:97]
.LBB34_78:                              ;   in Loop: Header=BB34_5 Depth=1
	v_readlane_b32 s96, v12, 22
	v_readlane_b32 s97, v12, 23
	s_or_b64 exec, exec, s[96:97]
.LBB34_79:                              ;   in Loop: Header=BB34_5 Depth=1
	v_readlane_b32 s96, v12, 20
	v_readlane_b32 s97, v12, 21
	s_or_b64 exec, exec, s[96:97]
.LBB34_80:                              ;   in Loop: Header=BB34_5 Depth=1
	v_readlane_b32 s96, v12, 18
	v_readlane_b32 s97, v12, 19
	s_or_b64 exec, exec, s[96:97]
.LBB34_81:                              ;   in Loop: Header=BB34_5 Depth=1
	v_readlane_b32 s96, v12, 16
	v_readlane_b32 s97, v12, 17
	s_or_b64 exec, exec, s[96:97]
.LBB34_82:                              ;   in Loop: Header=BB34_5 Depth=1
	v_readlane_b32 s96, v12, 14
	v_readlane_b32 s97, v12, 15
	s_or_b64 exec, exec, s[96:97]
.LBB34_83:                              ;   in Loop: Header=BB34_5 Depth=1
	v_readlane_b32 s96, v12, 12
	v_readlane_b32 s97, v12, 13
	s_or_b64 exec, exec, s[96:97]
.LBB34_84:                              ;   in Loop: Header=BB34_5 Depth=1
	v_readlane_b32 s96, v12, 10
	v_readlane_b32 s97, v12, 11
	s_or_b64 exec, exec, s[96:97]
.LBB34_85:                              ;   in Loop: Header=BB34_5 Depth=1
	v_readlane_b32 s96, v12, 8
	v_readlane_b32 s97, v12, 9
	s_or_b64 exec, exec, s[96:97]
.LBB34_86:                              ;   in Loop: Header=BB34_5 Depth=1
	v_readlane_b32 s96, v12, 6
	v_readlane_b32 s97, v12, 7
	s_or_b64 exec, exec, s[96:97]
.LBB34_87:                              ;   in Loop: Header=BB34_5 Depth=1
	v_readlane_b32 s96, v12, 4
	v_readlane_b32 s97, v12, 5
	s_or_b64 exec, exec, s[96:97]
.LBB34_88:                              ;   in Loop: Header=BB34_5 Depth=1
	v_readlane_b32 s96, v12, 2
	v_readlane_b32 s97, v12, 3
	s_or_b64 exec, exec, s[96:97]
.LBB34_89:                              ;   in Loop: Header=BB34_5 Depth=1
	v_readlane_b32 s96, v12, 0
	v_readlane_b32 s97, v12, 1
	s_or_b64 exec, exec, s[96:97]
.LBB34_90:                              ;   in Loop: Header=BB34_5 Depth=1
	s_or_b64 exec, exec, s[94:95]
.LBB34_91:                              ;   in Loop: Header=BB34_5 Depth=1
	s_or_b64 exec, exec, s[92:93]
.LBB34_92:                              ;   in Loop: Header=BB34_5 Depth=1
	s_or_b64 exec, exec, s[90:91]
.LBB34_93:                              ;   in Loop: Header=BB34_5 Depth=1
	s_or_b64 exec, exec, s[88:89]
.LBB34_94:                              ;   in Loop: Header=BB34_5 Depth=1
	s_or_b64 exec, exec, s[86:87]
.LBB34_95:                              ;   in Loop: Header=BB34_5 Depth=1
	s_or_b64 exec, exec, s[84:85]
.LBB34_96:                              ;   in Loop: Header=BB34_5 Depth=1
	s_or_b64 exec, exec, s[82:83]
.LBB34_97:                              ;   in Loop: Header=BB34_5 Depth=1
	s_or_b64 exec, exec, s[80:81]
.LBB34_98:                              ;   in Loop: Header=BB34_5 Depth=1
	s_or_b64 exec, exec, s[78:79]
.LBB34_99:                              ;   in Loop: Header=BB34_5 Depth=1
	s_or_b64 exec, exec, s[76:77]
.LBB34_100:                             ;   in Loop: Header=BB34_5 Depth=1
	s_or_b64 exec, exec, s[74:75]
.LBB34_101:                             ;   in Loop: Header=BB34_5 Depth=1
	s_or_b64 exec, exec, s[72:73]
.LBB34_102:                             ;   in Loop: Header=BB34_5 Depth=1
	s_or_b64 exec, exec, s[70:71]
.LBB34_103:                             ;   in Loop: Header=BB34_5 Depth=1
	s_or_b64 exec, exec, s[68:69]
.LBB34_104:                             ;   in Loop: Header=BB34_5 Depth=1
	s_or_b64 exec, exec, s[66:67]
.LBB34_105:                             ;   in Loop: Header=BB34_5 Depth=1
	s_or_b64 exec, exec, s[64:65]
.LBB34_106:                             ;   in Loop: Header=BB34_5 Depth=1
	s_or_b64 exec, exec, s[62:63]
.LBB34_107:                             ;   in Loop: Header=BB34_5 Depth=1
	s_or_b64 exec, exec, s[60:61]
.LBB34_108:                             ;   in Loop: Header=BB34_5 Depth=1
	s_or_b64 exec, exec, s[58:59]
.LBB34_109:                             ;   in Loop: Header=BB34_5 Depth=1
	s_or_b64 exec, exec, s[56:57]
.LBB34_110:                             ;   in Loop: Header=BB34_5 Depth=1
	s_or_b64 exec, exec, s[54:55]
.LBB34_111:                             ;   in Loop: Header=BB34_5 Depth=1
	s_or_b64 exec, exec, s[52:53]
.LBB34_112:                             ;   in Loop: Header=BB34_5 Depth=1
	s_or_b64 exec, exec, s[50:51]
.LBB34_113:                             ;   in Loop: Header=BB34_5 Depth=1
	s_or_b64 exec, exec, s[48:49]
.LBB34_114:                             ;   in Loop: Header=BB34_5 Depth=1
	s_or_b64 exec, exec, s[46:47]
.LBB34_115:                             ;   in Loop: Header=BB34_5 Depth=1
	s_or_b64 exec, exec, s[44:45]
.LBB34_116:                             ;   in Loop: Header=BB34_5 Depth=1
	s_or_b64 exec, exec, s[42:43]
.LBB34_117:                             ;   in Loop: Header=BB34_5 Depth=1
	s_or_b64 exec, exec, s[40:41]
.LBB34_118:                             ;   in Loop: Header=BB34_5 Depth=1
	s_or_b64 exec, exec, s[38:39]
.LBB34_119:                             ;   in Loop: Header=BB34_5 Depth=1
	s_or_b64 exec, exec, s[36:37]
.LBB34_120:                             ;   in Loop: Header=BB34_5 Depth=1
	s_or_b64 exec, exec, s[34:35]
.LBB34_121:                             ;   in Loop: Header=BB34_5 Depth=1
	s_or_b64 exec, exec, s[30:31]
.LBB34_122:                             ;   in Loop: Header=BB34_5 Depth=1
	s_or_b64 exec, exec, s[28:29]
.LBB34_123:                             ;   in Loop: Header=BB34_5 Depth=1
	s_or_b64 exec, exec, s[26:27]
.LBB34_124:                             ;   in Loop: Header=BB34_5 Depth=1
	s_or_b64 exec, exec, s[24:25]
.LBB34_125:                             ;   in Loop: Header=BB34_5 Depth=1
	s_or_b64 exec, exec, s[22:23]
.LBB34_126:                             ;   in Loop: Header=BB34_5 Depth=1
	s_or_b64 exec, exec, s[20:21]
.LBB34_127:                             ;   in Loop: Header=BB34_5 Depth=1
	s_or_b64 exec, exec, s[18:19]
.LBB34_128:                             ;   in Loop: Header=BB34_5 Depth=1
	s_or_b64 exec, exec, s[16:17]
.LBB34_129:                             ;   in Loop: Header=BB34_5 Depth=1
	s_or_b64 exec, exec, s[14:15]
.LBB34_130:                             ;   in Loop: Header=BB34_5 Depth=1
	s_or_b64 exec, exec, s[4:5]
	v_and_b32_e32 v2, 0x60, v7
	v_add_u32_e32 v9, 32, v2
	v_xor_b32_e32 v2, 16, v7
	v_cmp_lt_i32_e32 vcc, v2, v9
	v_xor_b32_e32 v11, 1, v7
	s_nop 0
	v_cndmask_b32_e32 v2, v7, v2, vcc
	v_lshlrev_b32_e32 v2, 2, v2
	ds_bpermute_b32 v4, v2, v5
	v_cmp_ne_u32_e32 vcc, 0, v5
	s_waitcnt lgkmcnt(0)
	v_cmp_ne_u32_e64 s[4:5], 0, v4
	v_xor_b32_e32 v4, 8, v7
	s_and_b64 s[4:5], vcc, s[4:5]
	v_cmp_lt_i32_e32 vcc, v4, v9
	v_cndmask_b32_e64 v5, 0, 1, s[4:5]
	s_nop 0
	v_cndmask_b32_e32 v4, v7, v4, vcc
	v_lshlrev_b32_e32 v4, 2, v4
	ds_bpermute_b32 v5, v4, v5
	s_waitcnt lgkmcnt(0)
	v_cmp_ne_u32_e32 vcc, 0, v5
	v_xor_b32_e32 v5, 4, v7
	s_and_b64 s[4:5], vcc, s[4:5]
	v_cmp_lt_i32_e32 vcc, v5, v9
	v_cndmask_b32_e64 v8, 0, 1, s[4:5]
	s_nop 0
	v_cndmask_b32_e32 v5, v7, v5, vcc
	v_lshlrev_b32_e32 v5, 2, v5
	ds_bpermute_b32 v8, v5, v8
	s_waitcnt lgkmcnt(0)
	v_cmp_ne_u32_e32 vcc, 0, v8
	;; [unrolled: 10-line block ×3, first 2 shown]
	s_and_b64 s[4:5], vcc, s[4:5]
	v_cmp_lt_i32_e32 vcc, v11, v9
	v_cndmask_b32_e64 v10, 0, 1, s[4:5]
	s_nop 0
	v_cndmask_b32_e32 v9, v7, v11, vcc
	v_lshlrev_b32_e32 v9, 2, v9
	ds_bpermute_b32 v10, v9, v10
	s_and_saveexec_b64 s[14:15], s[0:1]
	s_cbranch_execz .LBB34_3
; %bb.131:                              ;   in Loop: Header=BB34_5 Depth=1
	s_waitcnt lgkmcnt(0)
	v_cmp_ne_u32_e32 vcc, 0, v10
	s_and_b64 s[4:5], vcc, s[4:5]
	v_cndmask_b32_e64 v10, 0, 1, s[4:5]
	ds_write_b32 v1, v10
	s_branch .LBB34_3
.LBB34_132:
	s_or_b64 exec, exec, s[12:13]
	v_cmp_eq_u32_e32 vcc, 0, v0
	s_and_saveexec_b64 s[0:1], vcc
	s_cbranch_execz .LBB34_134
; %bb.133:
	s_mul_i32 s0, s33, s3
	s_add_i32 s0, s0, s2
	s_ashr_i32 s1, s0, 31
	s_lshl_b64 s[0:1], s[0:1], 2
	s_add_u32 s0, s6, s0
	s_addc_u32 s1, s7, s1
	v_mov_b32_e32 v0, 0
	global_store_dword v0, v2, s[0:1]
.LBB34_134:
	s_endpgm
	.section	.rodata,"a",@progbits
	.p2align	6, 0x0
	.amdhsa_kernel _ZL25flash_attn_mask_to_KV_maxILi32EEvPK7__half2Piiii
		.amdhsa_group_segment_fixed_size 128
		.amdhsa_private_segment_fixed_size 0
		.amdhsa_kernarg_size 288
		.amdhsa_user_sgpr_count 2
		.amdhsa_user_sgpr_dispatch_ptr 0
		.amdhsa_user_sgpr_queue_ptr 0
		.amdhsa_user_sgpr_kernarg_segment_ptr 1
		.amdhsa_user_sgpr_dispatch_id 0
		.amdhsa_user_sgpr_kernarg_preload_length 0
		.amdhsa_user_sgpr_kernarg_preload_offset 0
		.amdhsa_user_sgpr_private_segment_size 0
		.amdhsa_uses_dynamic_stack 0
		.amdhsa_enable_private_segment 0
		.amdhsa_system_sgpr_workgroup_id_x 1
		.amdhsa_system_sgpr_workgroup_id_y 1
		.amdhsa_system_sgpr_workgroup_id_z 0
		.amdhsa_system_sgpr_workgroup_info 0
		.amdhsa_system_vgpr_workitem_id 0
		.amdhsa_next_free_vgpr 13
		.amdhsa_next_free_sgpr 100
		.amdhsa_accum_offset 16
		.amdhsa_reserve_vcc 1
		.amdhsa_float_round_mode_32 0
		.amdhsa_float_round_mode_16_64 0
		.amdhsa_float_denorm_mode_32 3
		.amdhsa_float_denorm_mode_16_64 3
		.amdhsa_dx10_clamp 1
		.amdhsa_ieee_mode 1
		.amdhsa_fp16_overflow 0
		.amdhsa_tg_split 0
		.amdhsa_exception_fp_ieee_invalid_op 0
		.amdhsa_exception_fp_denorm_src 0
		.amdhsa_exception_fp_ieee_div_zero 0
		.amdhsa_exception_fp_ieee_overflow 0
		.amdhsa_exception_fp_ieee_underflow 0
		.amdhsa_exception_fp_ieee_inexact 0
		.amdhsa_exception_int_div_zero 0
	.end_amdhsa_kernel
	.section	.text._ZL25flash_attn_mask_to_KV_maxILi32EEvPK7__half2Piiii,"axG",@progbits,_ZL25flash_attn_mask_to_KV_maxILi32EEvPK7__half2Piiii,comdat
.Lfunc_end34:
	.size	_ZL25flash_attn_mask_to_KV_maxILi32EEvPK7__half2Piiii, .Lfunc_end34-_ZL25flash_attn_mask_to_KV_maxILi32EEvPK7__half2Piiii
                                        ; -- End function
	.set _ZL25flash_attn_mask_to_KV_maxILi32EEvPK7__half2Piiii.num_vgpr, 13
	.set _ZL25flash_attn_mask_to_KV_maxILi32EEvPK7__half2Piiii.num_agpr, 0
	.set _ZL25flash_attn_mask_to_KV_maxILi32EEvPK7__half2Piiii.numbered_sgpr, 100
	.set _ZL25flash_attn_mask_to_KV_maxILi32EEvPK7__half2Piiii.num_named_barrier, 0
	.set _ZL25flash_attn_mask_to_KV_maxILi32EEvPK7__half2Piiii.private_seg_size, 0
	.set _ZL25flash_attn_mask_to_KV_maxILi32EEvPK7__half2Piiii.uses_vcc, 1
	.set _ZL25flash_attn_mask_to_KV_maxILi32EEvPK7__half2Piiii.uses_flat_scratch, 0
	.set _ZL25flash_attn_mask_to_KV_maxILi32EEvPK7__half2Piiii.has_dyn_sized_stack, 0
	.set _ZL25flash_attn_mask_to_KV_maxILi32EEvPK7__half2Piiii.has_recursion, 0
	.set _ZL25flash_attn_mask_to_KV_maxILi32EEvPK7__half2Piiii.has_indirect_call, 0
	.section	.AMDGPU.csdata,"",@progbits
; Kernel info:
; codeLenInByte = 4080
; TotalNumSgprs: 106
; NumVgprs: 13
; NumAgprs: 0
; TotalNumVgprs: 13
; ScratchSize: 0
; MemoryBound: 0
; FloatMode: 240
; IeeeMode: 1
; LDSByteSize: 128 bytes/workgroup (compile time only)
; SGPRBlocks: 13
; VGPRBlocks: 1
; NumSGPRsForWavesPerEU: 106
; NumVGPRsForWavesPerEU: 13
; AccumOffset: 16
; Occupancy: 7
; WaveLimiterHint : 0
; COMPUTE_PGM_RSRC2:SCRATCH_EN: 0
; COMPUTE_PGM_RSRC2:USER_SGPR: 2
; COMPUTE_PGM_RSRC2:TRAP_HANDLER: 0
; COMPUTE_PGM_RSRC2:TGID_X_EN: 1
; COMPUTE_PGM_RSRC2:TGID_Y_EN: 1
; COMPUTE_PGM_RSRC2:TGID_Z_EN: 0
; COMPUTE_PGM_RSRC2:TIDIG_COMP_CNT: 0
; COMPUTE_PGM_RSRC3_GFX90A:ACCUM_OFFSET: 3
; COMPUTE_PGM_RSRC3_GFX90A:TG_SPLIT: 0
	.section	.text._ZL33flash_attn_stream_k_fixup_uniformILi112ELi32ELi2EEvPfPK15HIP_vector_typeIfLj2EEiiiiiiS1_IjLj3EES5_S5_,"axG",@progbits,_ZL33flash_attn_stream_k_fixup_uniformILi112ELi32ELi2EEvPfPK15HIP_vector_typeIfLj2EEiiiiiiS1_IjLj3EES5_S5_,comdat
	.globl	_ZL33flash_attn_stream_k_fixup_uniformILi112ELi32ELi2EEvPfPK15HIP_vector_typeIfLj2EEiiiiiiS1_IjLj3EES5_S5_ ; -- Begin function _ZL33flash_attn_stream_k_fixup_uniformILi112ELi32ELi2EEvPfPK15HIP_vector_typeIfLj2EEiiiiiiS1_IjLj3EES5_S5_
	.p2align	8
	.type	_ZL33flash_attn_stream_k_fixup_uniformILi112ELi32ELi2EEvPfPK15HIP_vector_typeIfLj2EEiiiiiiS1_IjLj3EES5_S5_,@function
_ZL33flash_attn_stream_k_fixup_uniformILi112ELi32ELi2EEvPfPK15HIP_vector_typeIfLj2EEiiiiiiS1_IjLj3EES5_S5_: ; @_ZL33flash_attn_stream_k_fixup_uniformILi112ELi32ELi2EEvPfPK15HIP_vector_typeIfLj2EEiiiiiiS1_IjLj3EES5_S5_
; %bb.0:
	s_load_dwordx8 s[8:15], s[0:1], 0x1c
	s_load_dwordx2 s[6:7], s[0:1], 0x10
	s_load_dwordx4 s[16:19], s[0:1], 0x3c
	s_waitcnt lgkmcnt(0)
	s_mul_hi_u32 s5, s11, s2
	s_add_i32 s5, s2, s5
	s_lshr_b32 s5, s5, s12
	s_mul_i32 s11, s5, s13
	s_sub_i32 s12, s2, s11
	s_mul_hi_u32 s11, s12, s14
	s_add_i32 s11, s12, s11
	s_lshr_b32 s11, s11, s15
	s_mul_i32 s13, s11, s16
	s_sub_i32 s12, s12, s13
	s_mul_hi_u32 s13, s12, s17
	s_add_i32 s13, s12, s13
	s_lshr_b32 s13, s13, s18
	s_mul_i32 s14, s13, s19
	s_sub_i32 s16, s12, s14
	s_lshl_b32 s12, s16, 5
	s_lshl_b32 s17, s13, 1
	s_add_i32 s12, s12, s3
	s_cmp_lt_i32 s12, s6
	s_cselect_b64 s[12:13], -1, 0
	s_add_i32 s17, s17, s4
	s_cmp_lt_i32 s17, s9
	s_cselect_b64 s[14:15], -1, 0
	s_and_b64 s[12:13], s[12:13], s[14:15]
	s_andn2_b64 vcc, exec, s[12:13]
	s_cbranch_vccnz .LBB35_6
; %bb.1:
	s_load_dwordx4 s[12:15], s[0:1], 0x0
	s_mul_i32 s0, s5, s6
	s_mul_i32 s11, s11, s9
	s_add_i32 s0, s0, s3
	s_mul_i32 s0, s0, s7
	s_add_i32 s5, s17, s11
	;; [unrolled: 2-line block ×3, first 2 shown]
	s_mulk_i32 s1, 0xe00
	s_mulk_i32 s0, 0x70
	s_add_i32 s0, s0, s1
	v_add_u32_e32 v4, s0, v0
	s_waitcnt lgkmcnt(0)
	v_mov_b32_e32 v2, s12
	v_mov_b32_e32 v3, s13
	v_ashrrev_i32_e32 v5, 31, v4
	v_lshl_add_u64 v[2:3], v[4:5], 2, v[2:3]
	global_load_dword v5, v[2:3], off
	s_mul_i32 s5, s10, s2
	s_lshl_b32 s11, s3, 1
	s_add_i32 s9, s5, s10
	s_add_i32 s0, s11, s4
	s_lshl_b32 s1, s9, 6
	s_add_i32 s0, s0, s1
	s_sub_i32 s0, s0, 64
	s_ashr_i32 s1, s0, 31
	s_lshl_b64 s[0:1], s[0:1], 3
	s_add_u32 s0, s14, s0
	s_addc_u32 s1, s15, s1
	s_load_dword s12, s[0:1], 0x4
	s_add_i32 s6, s9, -2
	s_cmp_lt_i32 s6, s5
	s_cbranch_scc1 .LBB35_4
; %bb.2:
	s_lshl_b32 s6, s8, 8
	s_ashr_i32 s7, s6, 31
	s_lshl_b64 s[6:7], s[6:7], 2
	s_add_u32 s6, s14, s6
	s_addc_u32 s7, s15, s7
	s_add_i32 s2, s2, 1
	s_load_dword s0, s[0:1], 0x0
	s_mul_i32 s1, s10, s2
	s_lshl_b32 s2, s1, 6
	s_add_i32 s2, s4, s2
	s_mulk_i32 s3, 0xe0
	s_mulk_i32 s4, 0x70
	s_lshl_b32 s8, s8, 6
	s_mulk_i32 s1, 0x1c00
	s_add_i32 s3, s4, s3
	s_add_i32 s2, s2, s8
	s_add_i32 s3, s3, s1
	s_add_i32 s2, s2, s11
	v_add_u32_e32 v0, s3, v0
	s_add_i32 s9, s9, -1
	s_addk_i32 s2, 0xff80
	v_add_u32_e32 v0, 0xffffc800, v0
	s_waitcnt lgkmcnt(0)
	v_mov_b32_e32 v7, s0
	v_mov_b32_e32 v4, s12
	s_mov_b32 s4, 0x3fb8aa3b
	s_mov_b32 s8, 0xc2ce8ed0
	;; [unrolled: 1-line block ×3, first 2 shown]
	v_mov_b32_e32 v6, 0x7f800000
	s_mov_b32 s11, 0xc1a00000
.LBB35_3:                               ; =>This Inner Loop Header: Depth=1
	v_ashrrev_i32_e32 v1, 31, v0
	v_lshl_add_u64 v[8:9], v[0:1], 2, s[6:7]
	global_load_dword v9, v[8:9], off
	s_ashr_i32 s3, s2, 31
	s_lshl_b64 s[0:1], s[2:3], 3
	s_add_u32 s0, s14, s0
	s_addc_u32 s1, s15, s1
	s_load_dwordx2 s[0:1], s[0:1], 0x0
	v_max_f32_e32 v1, v7, v7
	s_add_i32 s9, s9, -1
	s_sub_i32 s2, s2, 64
	v_add_u32_e32 v0, 0xffffe400, v0
	s_waitcnt lgkmcnt(0)
	v_max_f32_e64 v10, s0, s0
	v_max_f32_e32 v1, v1, v10
	v_sub_f32_e32 v11, s0, v1
	v_sub_f32_e32 v10, v7, v1
	v_mul_f32_e32 v12, 0x3fb8aa3b, v11
	v_mov_b32_e32 v7, v1
	v_mul_f32_e32 v1, 0x3fb8aa3b, v10
	v_fma_f32 v15, v11, s4, -v12
	v_rndne_f32_e32 v16, v12
	v_fma_f32 v13, v10, s4, -v1
	v_rndne_f32_e32 v14, v1
	v_fmac_f32_e32 v15, 0x32a5705f, v11
	v_sub_f32_e32 v12, v12, v16
	v_fmac_f32_e32 v13, 0x32a5705f, v10
	v_sub_f32_e32 v1, v1, v14
	v_add_f32_e32 v12, v12, v15
	v_cvt_i32_f32_e32 v16, v16
	v_add_f32_e32 v1, v1, v13
	v_exp_f32_e32 v12, v12
	v_cvt_i32_f32_e32 v14, v14
	v_exp_f32_e32 v1, v1
	v_cmp_ngt_f32_e32 vcc, s8, v11
	v_ldexp_f32 v12, v12, v16
	v_mov_b32_e32 v8, s1
	v_ldexp_f32 v1, v1, v14
	v_cmp_ngt_f32_e64 s[0:1], s8, v10
	v_cndmask_b32_e32 v12, 0, v12, vcc
	v_cmp_nlt_f32_e32 vcc, s10, v11
	v_cndmask_b32_e64 v1, 0, v1, s[0:1]
	v_cmp_nlt_f32_e64 s[0:1], s10, v10
	v_cndmask_b32_e32 v12, v6, v12, vcc
	v_cmp_le_f32_e32 vcc, s11, v11
	v_cndmask_b32_e64 v1, v6, v1, s[0:1]
	v_cmp_le_f32_e64 s[0:1], s11, v10
	v_cndmask_b32_e32 v12, 0, v12, vcc
	s_cmp_le_i32 s9, s5
	v_cndmask_b32_e64 v10, 0, v1, s[0:1]
	s_waitcnt vmcnt(0)
	v_pk_mul_f32 v[8:9], v[8:9], v[12:13] op_sel_hi:[1,0]
	s_nop 0
	v_pk_fma_f32 v[4:5], v[4:5], v[10:11], v[8:9] op_sel_hi:[1,0,1]
	s_cbranch_scc0 .LBB35_3
	s_branch .LBB35_5
.LBB35_4:
	s_waitcnt lgkmcnt(0)
	v_mov_b32_e32 v4, s12
.LBB35_5:
	s_waitcnt vmcnt(0)
	v_div_scale_f32 v0, s[0:1], v4, v4, v5
	v_rcp_f32_e32 v1, v0
	v_div_scale_f32 v6, vcc, v5, v4, v5
	v_fma_f32 v7, -v0, v1, 1.0
	v_fmac_f32_e32 v1, v7, v1
	v_mul_f32_e32 v7, v6, v1
	v_fma_f32 v8, -v0, v7, v6
	v_fmac_f32_e32 v7, v8, v1
	v_fma_f32 v0, -v0, v7, v6
	v_div_fmas_f32 v0, v0, v1, v7
	v_div_fixup_f32 v0, v0, v4, v5
	global_store_dword v[2:3], v0, off
.LBB35_6:
	s_endpgm
	.section	.rodata,"a",@progbits
	.p2align	6, 0x0
	.amdhsa_kernel _ZL33flash_attn_stream_k_fixup_uniformILi112ELi32ELi2EEvPfPK15HIP_vector_typeIfLj2EEiiiiiiS1_IjLj3EES5_S5_
		.amdhsa_group_segment_fixed_size 0
		.amdhsa_private_segment_fixed_size 0
		.amdhsa_kernarg_size 76
		.amdhsa_user_sgpr_count 2
		.amdhsa_user_sgpr_dispatch_ptr 0
		.amdhsa_user_sgpr_queue_ptr 0
		.amdhsa_user_sgpr_kernarg_segment_ptr 1
		.amdhsa_user_sgpr_dispatch_id 0
		.amdhsa_user_sgpr_kernarg_preload_length 0
		.amdhsa_user_sgpr_kernarg_preload_offset 0
		.amdhsa_user_sgpr_private_segment_size 0
		.amdhsa_uses_dynamic_stack 0
		.amdhsa_enable_private_segment 0
		.amdhsa_system_sgpr_workgroup_id_x 1
		.amdhsa_system_sgpr_workgroup_id_y 1
		.amdhsa_system_sgpr_workgroup_id_z 1
		.amdhsa_system_sgpr_workgroup_info 0
		.amdhsa_system_vgpr_workitem_id 0
		.amdhsa_next_free_vgpr 17
		.amdhsa_next_free_sgpr 20
		.amdhsa_accum_offset 20
		.amdhsa_reserve_vcc 1
		.amdhsa_float_round_mode_32 0
		.amdhsa_float_round_mode_16_64 0
		.amdhsa_float_denorm_mode_32 3
		.amdhsa_float_denorm_mode_16_64 3
		.amdhsa_dx10_clamp 1
		.amdhsa_ieee_mode 1
		.amdhsa_fp16_overflow 0
		.amdhsa_tg_split 0
		.amdhsa_exception_fp_ieee_invalid_op 0
		.amdhsa_exception_fp_denorm_src 0
		.amdhsa_exception_fp_ieee_div_zero 0
		.amdhsa_exception_fp_ieee_overflow 0
		.amdhsa_exception_fp_ieee_underflow 0
		.amdhsa_exception_fp_ieee_inexact 0
		.amdhsa_exception_int_div_zero 0
	.end_amdhsa_kernel
	.section	.text._ZL33flash_attn_stream_k_fixup_uniformILi112ELi32ELi2EEvPfPK15HIP_vector_typeIfLj2EEiiiiiiS1_IjLj3EES5_S5_,"axG",@progbits,_ZL33flash_attn_stream_k_fixup_uniformILi112ELi32ELi2EEvPfPK15HIP_vector_typeIfLj2EEiiiiiiS1_IjLj3EES5_S5_,comdat
.Lfunc_end35:
	.size	_ZL33flash_attn_stream_k_fixup_uniformILi112ELi32ELi2EEvPfPK15HIP_vector_typeIfLj2EEiiiiiiS1_IjLj3EES5_S5_, .Lfunc_end35-_ZL33flash_attn_stream_k_fixup_uniformILi112ELi32ELi2EEvPfPK15HIP_vector_typeIfLj2EEiiiiiiS1_IjLj3EES5_S5_
                                        ; -- End function
	.set _ZL33flash_attn_stream_k_fixup_uniformILi112ELi32ELi2EEvPfPK15HIP_vector_typeIfLj2EEiiiiiiS1_IjLj3EES5_S5_.num_vgpr, 17
	.set _ZL33flash_attn_stream_k_fixup_uniformILi112ELi32ELi2EEvPfPK15HIP_vector_typeIfLj2EEiiiiiiS1_IjLj3EES5_S5_.num_agpr, 0
	.set _ZL33flash_attn_stream_k_fixup_uniformILi112ELi32ELi2EEvPfPK15HIP_vector_typeIfLj2EEiiiiiiS1_IjLj3EES5_S5_.numbered_sgpr, 20
	.set _ZL33flash_attn_stream_k_fixup_uniformILi112ELi32ELi2EEvPfPK15HIP_vector_typeIfLj2EEiiiiiiS1_IjLj3EES5_S5_.num_named_barrier, 0
	.set _ZL33flash_attn_stream_k_fixup_uniformILi112ELi32ELi2EEvPfPK15HIP_vector_typeIfLj2EEiiiiiiS1_IjLj3EES5_S5_.private_seg_size, 0
	.set _ZL33flash_attn_stream_k_fixup_uniformILi112ELi32ELi2EEvPfPK15HIP_vector_typeIfLj2EEiiiiiiS1_IjLj3EES5_S5_.uses_vcc, 1
	.set _ZL33flash_attn_stream_k_fixup_uniformILi112ELi32ELi2EEvPfPK15HIP_vector_typeIfLj2EEiiiiiiS1_IjLj3EES5_S5_.uses_flat_scratch, 0
	.set _ZL33flash_attn_stream_k_fixup_uniformILi112ELi32ELi2EEvPfPK15HIP_vector_typeIfLj2EEiiiiiiS1_IjLj3EES5_S5_.has_dyn_sized_stack, 0
	.set _ZL33flash_attn_stream_k_fixup_uniformILi112ELi32ELi2EEvPfPK15HIP_vector_typeIfLj2EEiiiiiiS1_IjLj3EES5_S5_.has_recursion, 0
	.set _ZL33flash_attn_stream_k_fixup_uniformILi112ELi32ELi2EEvPfPK15HIP_vector_typeIfLj2EEiiiiiiS1_IjLj3EES5_S5_.has_indirect_call, 0
	.section	.AMDGPU.csdata,"",@progbits
; Kernel info:
; codeLenInByte = 832
; TotalNumSgprs: 26
; NumVgprs: 17
; NumAgprs: 0
; TotalNumVgprs: 17
; ScratchSize: 0
; MemoryBound: 0
; FloatMode: 240
; IeeeMode: 1
; LDSByteSize: 0 bytes/workgroup (compile time only)
; SGPRBlocks: 3
; VGPRBlocks: 2
; NumSGPRsForWavesPerEU: 26
; NumVGPRsForWavesPerEU: 17
; AccumOffset: 20
; Occupancy: 8
; WaveLimiterHint : 0
; COMPUTE_PGM_RSRC2:SCRATCH_EN: 0
; COMPUTE_PGM_RSRC2:USER_SGPR: 2
; COMPUTE_PGM_RSRC2:TRAP_HANDLER: 0
; COMPUTE_PGM_RSRC2:TGID_X_EN: 1
; COMPUTE_PGM_RSRC2:TGID_Y_EN: 1
; COMPUTE_PGM_RSRC2:TGID_Z_EN: 1
; COMPUTE_PGM_RSRC2:TIDIG_COMP_CNT: 0
; COMPUTE_PGM_RSRC3_GFX90A:ACCUM_OFFSET: 4
; COMPUTE_PGM_RSRC3_GFX90A:TG_SPLIT: 0
	.section	.text._ZL33flash_attn_stream_k_fixup_generalILi112ELi32ELi2EEvPfPK15HIP_vector_typeIfLj2EEiiiiS1_IjLj3EES5_S5_S5_,"axG",@progbits,_ZL33flash_attn_stream_k_fixup_generalILi112ELi32ELi2EEvPfPK15HIP_vector_typeIfLj2EEiiiiS1_IjLj3EES5_S5_S5_,comdat
	.globl	_ZL33flash_attn_stream_k_fixup_generalILi112ELi32ELi2EEvPfPK15HIP_vector_typeIfLj2EEiiiiS1_IjLj3EES5_S5_S5_ ; -- Begin function _ZL33flash_attn_stream_k_fixup_generalILi112ELi32ELi2EEvPfPK15HIP_vector_typeIfLj2EEiiiiS1_IjLj3EES5_S5_S5_
	.p2align	8
	.type	_ZL33flash_attn_stream_k_fixup_generalILi112ELi32ELi2EEvPfPK15HIP_vector_typeIfLj2EEiiiiS1_IjLj3EES5_S5_S5_,@function
_ZL33flash_attn_stream_k_fixup_generalILi112ELi32ELi2EEvPfPK15HIP_vector_typeIfLj2EEiiiiS1_IjLj3EES5_S5_S5_: ; @_ZL33flash_attn_stream_k_fixup_generalILi112ELi32ELi2EEvPfPK15HIP_vector_typeIfLj2EEiiiiS1_IjLj3EES5_S5_S5_
; %bb.0:
	s_load_dwordx4 s[8:11], s[0:1], 0x10
	s_load_dword s22, s[0:1], 0x50
	s_mov_b32 s12, 0
	s_waitcnt lgkmcnt(0)
	s_mul_hi_i32 s13, s11, s2
	s_cmp_lg_u64 s[12:13], 0
	s_mul_i32 s5, s11, s2
	s_cbranch_scc0 .LBB36_20
; %bb.1:
	s_add_u32 s6, s22, 0
	s_addc_u32 s7, 0, 0
	s_xor_b64 s[6:7], s[6:7], 0
	v_cvt_f32_u32_e32 v1, s6
	v_cvt_f32_u32_e32 v2, s7
	s_sub_u32 s12, 0, s6
	s_subb_u32 s18, 0, s7
	v_fmamk_f32 v1, v2, 0x4f800000, v1
	v_rcp_f32_e32 v1, v1
	s_nop 0
	v_mul_f32_e32 v1, 0x5f7ffffc, v1
	v_mul_f32_e32 v2, 0x2f800000, v1
	v_trunc_f32_e32 v2, v2
	v_fmamk_f32 v1, v2, 0xcf800000, v1
	v_cvt_u32_f32_e32 v2, v2
	v_cvt_u32_f32_e32 v1, v1
	v_readfirstlane_b32 s19, v2
	v_readfirstlane_b32 s14, v1
	s_mul_i32 s15, s12, s19
	s_mul_hi_u32 s21, s12, s14
	s_mul_i32 s20, s18, s14
	s_add_i32 s15, s21, s15
	s_add_i32 s15, s15, s20
	s_mul_i32 s23, s12, s14
	s_mul_i32 s21, s14, s15
	s_mul_hi_u32 s24, s14, s23
	s_mul_hi_u32 s20, s14, s15
	s_add_u32 s21, s24, s21
	s_addc_u32 s20, 0, s20
	s_mul_hi_u32 s25, s19, s23
	s_mul_i32 s23, s19, s23
	s_add_u32 s21, s21, s23
	s_mul_hi_u32 s24, s19, s15
	s_addc_u32 s20, s20, s25
	s_addc_u32 s21, s24, 0
	s_mul_i32 s15, s19, s15
	s_add_u32 s15, s20, s15
	s_addc_u32 s20, 0, s21
	s_add_u32 s21, s14, s15
	s_cselect_b64 s[14:15], -1, 0
	s_cmp_lg_u64 s[14:15], 0
	s_addc_u32 s19, s19, s20
	s_mul_i32 s14, s12, s19
	s_mul_hi_u32 s15, s12, s21
	s_add_i32 s14, s15, s14
	s_mul_i32 s18, s18, s21
	s_add_i32 s14, s14, s18
	s_mul_i32 s12, s12, s21
	s_mul_hi_u32 s18, s19, s12
	s_mul_i32 s20, s19, s12
	s_mul_i32 s24, s21, s14
	s_mul_hi_u32 s12, s21, s12
	s_mul_hi_u32 s23, s21, s14
	s_add_u32 s12, s12, s24
	s_addc_u32 s23, 0, s23
	s_add_u32 s12, s12, s20
	s_mul_hi_u32 s15, s19, s14
	s_addc_u32 s12, s23, s18
	s_addc_u32 s15, s15, 0
	s_mul_i32 s14, s19, s14
	s_add_u32 s12, s12, s14
	s_addc_u32 s18, 0, s15
	s_add_u32 s20, s21, s12
	s_cselect_b64 s[14:15], -1, 0
	s_cmp_lg_u64 s[14:15], 0
	s_addc_u32 s18, s19, s18
	s_ashr_i32 s14, s13, 31
	s_add_u32 s12, s5, s14
	s_mov_b32 s15, s14
	s_addc_u32 s13, s13, s14
	s_xor_b64 s[12:13], s[12:13], s[14:15]
	s_mul_i32 s21, s12, s18
	s_mul_hi_u32 s23, s12, s20
	s_mul_hi_u32 s19, s12, s18
	s_add_u32 s21, s23, s21
	s_addc_u32 s19, 0, s19
	s_mul_hi_u32 s24, s13, s20
	s_mul_i32 s20, s13, s20
	s_add_u32 s20, s21, s20
	s_mul_hi_u32 s23, s13, s18
	s_addc_u32 s19, s19, s24
	s_addc_u32 s20, s23, 0
	s_mul_i32 s18, s13, s18
	s_add_u32 s23, s19, s18
	s_addc_u32 s24, 0, s20
	s_mul_i32 s18, s6, s24
	s_mul_hi_u32 s19, s6, s23
	s_add_i32 s18, s19, s18
	s_mul_i32 s19, s7, s23
	s_add_i32 s25, s18, s19
	s_sub_i32 s20, s13, s25
	s_mul_i32 s18, s6, s23
	s_sub_u32 s12, s12, s18
	s_cselect_b64 s[18:19], -1, 0
	s_cmp_lg_u64 s[18:19], 0
	s_subb_u32 s26, s20, s7
	s_sub_u32 s27, s12, s6
	s_cselect_b64 s[20:21], -1, 0
	s_cmp_lg_u64 s[20:21], 0
	s_subb_u32 s20, s26, 0
	s_cmp_ge_u32 s20, s7
	s_cselect_b32 s21, -1, 0
	s_cmp_ge_u32 s27, s6
	s_cselect_b32 s26, -1, 0
	s_cmp_eq_u32 s20, s7
	s_cselect_b32 s20, s26, s21
	s_add_u32 s21, s23, 1
	s_addc_u32 s26, s24, 0
	s_add_u32 s27, s23, 2
	s_addc_u32 s28, s24, 0
	s_cmp_lg_u32 s20, 0
	s_cselect_b32 s20, s27, s21
	s_cselect_b32 s21, s28, s26
	s_cmp_lg_u64 s[18:19], 0
	s_subb_u32 s13, s13, s25
	s_cmp_ge_u32 s13, s7
	s_cselect_b32 s18, -1, 0
	s_cmp_ge_u32 s12, s6
	s_cselect_b32 s6, -1, 0
	s_cmp_eq_u32 s13, s7
	s_cselect_b32 s6, s6, s18
	s_cmp_lg_u32 s6, 0
	s_cselect_b32 s7, s21, s24
	s_cselect_b32 s6, s20, s23
	s_xor_b64 s[12:13], s[14:15], 0
	s_xor_b64 s[6:7], s[6:7], s[12:13]
	s_sub_u32 s6, s6, s12
	s_load_dwordx4 s[12:15], s[0:1], 0x44
	s_cbranch_execnz .LBB36_3
.LBB36_2:
	v_cvt_f32_u32_e32 v1, s22
	s_sub_i32 s6, 0, s22
	v_rcp_iflag_f32_e32 v1, v1
	s_nop 0
	v_mul_f32_e32 v1, 0x4f7ffffe, v1
	v_cvt_u32_f32_e32 v1, v1
	s_nop 0
	v_readfirstlane_b32 s7, v1
	s_mul_i32 s6, s6, s7
	s_mul_hi_u32 s6, s7, s6
	s_add_i32 s7, s7, s6
	s_mul_hi_u32 s6, s5, s7
	s_waitcnt lgkmcnt(0)
	s_mul_i32 s15, s6, s22
	s_sub_i32 s5, s5, s15
	s_add_i32 s7, s6, 1
	s_sub_i32 s15, s5, s22
	s_cmp_ge_u32 s5, s22
	s_cselect_b32 s6, s7, s6
	s_cselect_b32 s5, s15, s5
	s_add_i32 s7, s6, 1
	s_cmp_ge_u32 s5, s22
	s_cselect_b32 s6, s7, s6
.LBB36_3:
	s_add_i32 s5, s2, 1
	s_mul_hi_i32 s21, s11, s5
	s_mov_b32 s20, 0
	s_cmp_lg_u64 s[20:21], 0
	s_mul_i32 s5, s11, s5
	s_cbranch_scc0 .LBB36_21
; %bb.4:
	s_add_u32 s16, s22, 0
	s_addc_u32 s17, 0, 0
	s_xor_b64 s[18:19], s[16:17], 0
	v_cvt_f32_u32_e32 v1, s18
	v_cvt_f32_u32_e32 v2, s19
	s_sub_u32 s7, 0, s18
	s_waitcnt lgkmcnt(0)
	s_subb_u32 s15, 0, s19
	v_fmamk_f32 v1, v2, 0x4f800000, v1
	v_rcp_f32_e32 v1, v1
	s_nop 0
	v_mul_f32_e32 v1, 0x5f7ffffc, v1
	v_mul_f32_e32 v2, 0x2f800000, v1
	v_trunc_f32_e32 v2, v2
	v_fmamk_f32 v1, v2, 0xcf800000, v1
	v_cvt_u32_f32_e32 v2, v2
	v_cvt_u32_f32_e32 v1, v1
	v_readfirstlane_b32 s20, v2
	v_readfirstlane_b32 s23, v1
	s_mul_i32 s24, s7, s20
	s_mul_hi_u32 s26, s7, s23
	s_mul_i32 s25, s15, s23
	s_add_i32 s24, s26, s24
	s_add_i32 s24, s24, s25
	s_mul_i32 s27, s7, s23
	s_mul_i32 s26, s23, s24
	s_mul_hi_u32 s28, s23, s27
	s_mul_hi_u32 s25, s23, s24
	s_add_u32 s26, s28, s26
	s_addc_u32 s25, 0, s25
	s_mul_hi_u32 s29, s20, s27
	s_mul_i32 s27, s20, s27
	s_add_u32 s26, s26, s27
	s_mul_hi_u32 s28, s20, s24
	s_addc_u32 s25, s25, s29
	s_addc_u32 s26, s28, 0
	s_mul_i32 s24, s20, s24
	s_add_u32 s24, s25, s24
	s_addc_u32 s26, 0, s26
	s_add_u32 s23, s23, s24
	s_cselect_b64 s[24:25], -1, 0
	s_cmp_lg_u64 s[24:25], 0
	s_addc_u32 s20, s20, s26
	s_mul_i32 s24, s7, s20
	s_mul_hi_u32 s25, s7, s23
	s_add_i32 s24, s25, s24
	s_mul_i32 s15, s15, s23
	s_add_i32 s24, s24, s15
	s_mul_i32 s7, s7, s23
	s_mul_hi_u32 s25, s20, s7
	s_mul_i32 s26, s20, s7
	s_mul_i32 s28, s23, s24
	s_mul_hi_u32 s7, s23, s7
	s_mul_hi_u32 s27, s23, s24
	s_add_u32 s7, s7, s28
	s_addc_u32 s27, 0, s27
	s_add_u32 s7, s7, s26
	s_mul_hi_u32 s15, s20, s24
	s_addc_u32 s7, s27, s25
	s_addc_u32 s15, s15, 0
	s_mul_i32 s24, s20, s24
	s_add_u32 s7, s7, s24
	s_addc_u32 s15, 0, s15
	s_add_u32 s7, s23, s7
	s_cselect_b64 s[24:25], -1, 0
	s_cmp_lg_u64 s[24:25], 0
	s_addc_u32 s15, s20, s15
	s_ashr_i32 s24, s21, 31
	s_add_u32 s20, s5, s24
	s_mov_b32 s25, s24
	s_addc_u32 s21, s21, s24
	s_xor_b64 s[20:21], s[20:21], s[24:25]
	s_mul_i32 s26, s20, s15
	s_mul_hi_u32 s27, s20, s7
	s_mul_hi_u32 s23, s20, s15
	s_add_u32 s26, s27, s26
	s_addc_u32 s23, 0, s23
	s_mul_hi_u32 s28, s21, s7
	s_mul_i32 s7, s21, s7
	s_add_u32 s7, s26, s7
	s_mul_hi_u32 s27, s21, s15
	s_addc_u32 s7, s23, s28
	s_addc_u32 s23, s27, 0
	s_mul_i32 s15, s21, s15
	s_add_u32 s7, s7, s15
	s_addc_u32 s15, 0, s23
	s_mul_i32 s23, s18, s15
	s_mul_hi_u32 s26, s18, s7
	s_add_i32 s23, s26, s23
	s_mul_i32 s26, s19, s7
	s_add_i32 s23, s23, s26
	s_sub_i32 s28, s21, s23
	s_mul_i32 s26, s18, s7
	s_sub_u32 s20, s20, s26
	s_cselect_b64 s[26:27], -1, 0
	s_cmp_lg_u64 s[26:27], 0
	s_subb_u32 s30, s28, s19
	s_sub_u32 s31, s20, s18
	s_cselect_b64 s[28:29], -1, 0
	s_cmp_lg_u64 s[28:29], 0
	s_subb_u32 s28, s30, 0
	s_cmp_ge_u32 s28, s19
	s_cselect_b32 s29, -1, 0
	s_cmp_ge_u32 s31, s18
	s_cselect_b32 s30, -1, 0
	s_cmp_eq_u32 s28, s19
	s_cselect_b32 s28, s30, s29
	s_add_u32 s29, s7, 1
	s_addc_u32 s30, s15, 0
	s_add_u32 s31, s7, 2
	s_addc_u32 s33, s15, 0
	s_cmp_lg_u32 s28, 0
	s_cselect_b32 s28, s31, s29
	s_cselect_b32 s29, s33, s30
	s_cmp_lg_u64 s[26:27], 0
	s_subb_u32 s21, s21, s23
	s_cmp_ge_u32 s21, s19
	s_cselect_b32 s23, -1, 0
	s_cmp_ge_u32 s20, s18
	s_cselect_b32 s18, -1, 0
	s_cmp_eq_u32 s21, s19
	s_cselect_b32 s18, s18, s23
	s_cmp_lg_u32 s18, 0
	s_cselect_b32 s19, s29, s15
	s_cselect_b32 s18, s28, s7
	s_xor_b64 s[20:21], s[24:25], 0
	s_xor_b64 s[18:19], s[18:19], s[20:21]
	s_sub_u32 s18, s18, s20
	s_cbranch_execnz .LBB36_6
.LBB36_5:
	v_cvt_f32_u32_e32 v1, s22
	s_sub_i32 s7, 0, s22
	v_rcp_iflag_f32_e32 v1, v1
	s_nop 0
	v_mul_f32_e32 v1, 0x4f7ffffe, v1
	v_cvt_u32_f32_e32 v1, v1
	s_waitcnt lgkmcnt(0)
	v_readfirstlane_b32 s15, v1
	s_mul_i32 s7, s7, s15
	s_mul_hi_u32 s7, s15, s7
	s_add_i32 s15, s15, s7
	s_mul_hi_u32 s7, s5, s15
	s_mul_i32 s16, s7, s22
	s_sub_i32 s5, s5, s16
	s_add_i32 s15, s7, 1
	s_sub_i32 s16, s5, s22
	s_cmp_ge_u32 s5, s22
	s_cselect_b32 s7, s15, s7
	s_cselect_b32 s5, s16, s5
	s_add_i32 s15, s7, 1
	s_cmp_ge_u32 s5, s22
	s_cselect_b32 s18, s15, s7
.LBB36_6:
	s_cmp_eq_u32 s6, s18
	s_waitcnt lgkmcnt(0)
	s_mul_hi_u32 s5, s6, s12
	s_cselect_b64 s[16:17], -1, 0
	s_add_i32 s5, s5, s6
	s_lshr_b32 s7, s5, s13
	s_mul_i32 s5, s7, s14
	s_cmp_eq_u32 s5, s6
	s_mul_hi_u32 s5, s18, s12
	s_cselect_b64 s[20:21], -1, 0
	s_add_i32 s5, s5, s18
	s_lshr_b32 s5, s5, s13
	s_cmp_eq_u32 s7, s5
	s_mul_i32 s5, s5, s14
	s_cselect_b64 s[24:25], -1, 0
	s_cmp_lg_u32 s5, s18
	s_cselect_b64 s[18:19], -1, 0
	s_and_b64 s[18:19], s[24:25], s[18:19]
	s_or_b64 s[16:17], s[16:17], s[20:21]
	s_or_b64 s[16:17], s[16:17], s[18:19]
	s_and_b64 vcc, exec, s[16:17]
	s_cbranch_vccnz .LBB36_23
; %bb.7:
	s_load_dwordx8 s[24:31], s[0:1], 0x20
	s_load_dword s5, s[0:1], 0x40
	s_waitcnt lgkmcnt(0)
	s_mul_hi_u32 s15, s6, s24
	s_add_i32 s15, s15, s6
	s_lshr_b32 s20, s15, s25
	s_mul_i32 s15, s20, s26
	s_sub_i32 s15, s6, s15
	s_mul_hi_u32 s16, s15, s27
	s_add_i32 s16, s15, s16
	s_lshr_b32 s21, s16, s28
	s_mul_i32 s16, s21, s29
	s_sub_i32 s15, s15, s16
	;; [unrolled: 5-line block ×3, first 2 shown]
	s_mul_hi_u32 s15, s5, s12
	s_add_i32 s5, s5, s15
	s_lshr_b32 s23, s5, s13
	s_lshl_b32 s5, s23, 5
	s_lshl_b32 s24, s16, 1
	s_add_i32 s5, s5, s3
	s_cmp_lt_i32 s5, s8
	s_cselect_b64 s[16:17], -1, 0
	s_add_i32 s24, s24, s4
	s_cmp_lt_i32 s24, s10
	s_cselect_b64 s[18:19], -1, 0
	s_and_b64 s[16:17], s[16:17], s[18:19]
	s_andn2_b64 vcc, exec, s[16:17]
	s_cbranch_vccnz .LBB36_23
; %bb.8:
	s_load_dwordx4 s[16:19], s[0:1], 0x0
	s_mov_b32 s0, 0
	s_lshl_b32 s15, s3, 1
	s_lshl_b32 s26, s22, 8
	s_mov_b32 s27, s0
	s_add_i32 s15, s15, s4
	s_lshl_b64 s[4:5], s[26:27], 2
	s_waitcnt lgkmcnt(0)
	s_add_u32 s4, s18, s4
	s_mul_i32 s1, s20, s8
	s_addc_u32 s5, s19, s5
	s_mul_i32 s21, s21, s10
	s_add_i32 s1, s1, s3
	s_mul_i32 s1, s1, s9
	s_add_i32 s3, s24, s21
	;; [unrolled: 2-line block ×3, first 2 shown]
	s_mulk_i32 s8, 0xe00
	s_mulk_i32 s1, 0x70
	s_add_i32 s8, s8, s1
	v_add_u32_e32 v4, s8, v0
	v_mov_b32_e32 v2, s16
	v_mov_b32_e32 v3, s17
	v_ashrrev_i32_e32 v5, 31, v4
	v_lshl_add_u64 v[2:3], v[4:5], 2, v[2:3]
	global_load_dword v1, v[2:3], off
	v_cvt_f32_u32_e32 v4, s22
	s_lshl_b32 s1, s2, 6
	s_add_i32 s8, s15, s1
	s_ashr_i32 s9, s8, 31
	s_lshl_b64 s[8:9], s[8:9], 3
	v_rcp_iflag_f32_e32 v4, v4
	s_add_u32 s8, s18, s8
	s_addc_u32 s9, s19, s9
	s_load_dwordx2 s[8:9], s[8:9], 0x0
	v_mul_f32_e32 v4, 0x4f7ffffe, v4
	v_cvt_u32_f32_e32 v7, v4
	s_mul_i32 s1, s15, 0x70
	s_add_i32 s21, s2, -1
	v_add_u32_e32 v6, s1, v0
	s_waitcnt lgkmcnt(0)
	v_mov_b32_e32 v0, s9
	v_mov_b32_e32 v9, s8
	s_mov_b32 s10, 0x3fb8aa3b
	s_mov_b32 s20, 0xc2ce8ed0
	;; [unrolled: 1-line block ×4, first 2 shown]
	v_mov_b32_e32 v8, 0x7f800000
	s_mul_hi_i32 s1, s21, s11
	s_cmp_lg_u64 s[0:1], 0
	s_mul_i32 s16, s21, s11
	s_cbranch_scc0 .LBB36_19
.LBB36_9:
	s_add_u32 s2, s22, 0
	s_addc_u32 s3, 0, 0
	s_xor_b64 s[2:3], s[2:3], 0
	v_cvt_f32_u32_e32 v4, s2
	v_cvt_f32_u32_e32 v5, s3
	s_sub_u32 s17, 0, s2
	s_subb_u32 s25, 0, s3
	v_fmac_f32_e32 v4, 0x4f800000, v5
	v_rcp_f32_e32 v4, v4
	s_nop 0
	v_mul_f32_e32 v4, 0x5f7ffffc, v4
	v_mul_f32_e32 v5, 0x2f800000, v4
	v_trunc_f32_e32 v5, v5
	v_fmac_f32_e32 v4, 0xcf800000, v5
	v_cvt_u32_f32_e32 v5, v5
	v_cvt_u32_f32_e32 v4, v4
	v_readfirstlane_b32 s26, v5
	v_readfirstlane_b32 s8, v4
	s_mul_i32 s9, s17, s26
	s_mul_hi_u32 s28, s17, s8
	s_mul_i32 s27, s25, s8
	s_add_i32 s9, s28, s9
	s_mul_i32 s29, s17, s8
	s_add_i32 s9, s9, s27
	s_mul_i32 s28, s8, s9
	s_mul_hi_u32 s30, s8, s29
	s_mul_hi_u32 s27, s8, s9
	s_add_u32 s28, s30, s28
	s_addc_u32 s27, 0, s27
	s_mul_hi_u32 s31, s26, s29
	s_mul_i32 s29, s26, s29
	s_add_u32 s28, s28, s29
	s_mul_hi_u32 s30, s26, s9
	s_addc_u32 s27, s27, s31
	s_addc_u32 s28, s30, 0
	s_mul_i32 s9, s26, s9
	s_add_u32 s9, s27, s9
	s_addc_u32 s27, 0, s28
	s_add_u32 s28, s8, s9
	s_cselect_b64 s[8:9], -1, 0
	s_cmp_lg_u64 s[8:9], 0
	s_addc_u32 s26, s26, s27
	s_mul_i32 s8, s17, s26
	s_mul_hi_u32 s9, s17, s28
	s_add_i32 s8, s9, s8
	s_mul_i32 s25, s25, s28
	s_add_i32 s8, s8, s25
	s_mul_i32 s17, s17, s28
	s_mul_hi_u32 s25, s26, s17
	s_mul_i32 s27, s26, s17
	s_mul_i32 s30, s28, s8
	s_mul_hi_u32 s17, s28, s17
	s_mul_hi_u32 s29, s28, s8
	s_add_u32 s17, s17, s30
	s_addc_u32 s29, 0, s29
	s_add_u32 s17, s17, s27
	s_mul_hi_u32 s9, s26, s8
	s_addc_u32 s17, s29, s25
	s_addc_u32 s9, s9, 0
	s_mul_i32 s8, s26, s8
	s_add_u32 s8, s17, s8
	s_addc_u32 s17, 0, s9
	s_add_u32 s25, s28, s8
	s_cselect_b64 s[8:9], -1, 0
	s_cmp_lg_u64 s[8:9], 0
	s_addc_u32 s17, s26, s17
	s_ashr_i32 s8, s1, 31
	s_add_u32 s26, s16, s8
	s_mov_b32 s9, s8
	s_addc_u32 s27, s1, s8
	s_xor_b64 s[26:27], s[26:27], s[8:9]
	s_mul_i32 s28, s26, s17
	s_mul_hi_u32 s29, s26, s25
	s_mul_hi_u32 s1, s26, s17
	s_add_u32 s28, s29, s28
	s_addc_u32 s1, 0, s1
	s_mul_hi_u32 s30, s27, s25
	s_mul_i32 s25, s27, s25
	s_add_u32 s25, s28, s25
	s_mul_hi_u32 s29, s27, s17
	s_addc_u32 s1, s1, s30
	s_addc_u32 s25, s29, 0
	s_mul_i32 s17, s27, s17
	s_add_u32 s1, s1, s17
	s_addc_u32 s17, 0, s25
	s_mul_i32 s25, s2, s17
	s_mul_hi_u32 s28, s2, s1
	s_add_i32 s25, s28, s25
	s_mul_i32 s28, s3, s1
	s_add_i32 s25, s25, s28
	s_sub_i32 s30, s27, s25
	s_mul_i32 s28, s2, s1
	s_sub_u32 s26, s26, s28
	s_cselect_b64 s[28:29], -1, 0
	s_cmp_lg_u64 s[28:29], 0
	s_subb_u32 s33, s30, s3
	s_sub_u32 s34, s26, s2
	s_cselect_b64 s[30:31], -1, 0
	s_cmp_lg_u64 s[30:31], 0
	s_subb_u32 s30, s33, 0
	s_cmp_ge_u32 s30, s3
	s_cselect_b32 s31, -1, 0
	s_cmp_ge_u32 s34, s2
	s_cselect_b32 s33, -1, 0
	s_cmp_eq_u32 s30, s3
	s_cselect_b32 s30, s33, s31
	s_add_u32 s31, s1, 1
	s_addc_u32 s33, s17, 0
	s_add_u32 s34, s1, 2
	s_addc_u32 s35, s17, 0
	s_cmp_lg_u32 s30, 0
	s_cselect_b32 s30, s34, s31
	s_cselect_b32 s31, s35, s33
	s_cmp_lg_u64 s[28:29], 0
	s_subb_u32 s25, s27, s25
	s_cmp_ge_u32 s25, s3
	s_cselect_b32 s27, -1, 0
	s_cmp_ge_u32 s26, s2
	s_cselect_b32 s2, -1, 0
	s_cmp_eq_u32 s25, s3
	s_cselect_b32 s2, s2, s27
	s_cmp_lg_u32 s2, 0
	s_cselect_b32 s3, s31, s17
	s_cselect_b32 s2, s30, s1
	s_xor_b64 s[8:9], s[8:9], 0
	s_xor_b64 s[2:3], s[2:3], s[8:9]
	s_sub_u32 s8, s2, s8
	s_cbranch_execnz .LBB36_11
.LBB36_10:
	s_sub_i32 s1, 0, s22
	v_readfirstlane_b32 s2, v7
	s_mul_i32 s1, s1, s2
	s_mul_hi_u32 s1, s2, s1
	s_add_i32 s2, s2, s1
	s_mul_hi_u32 s1, s16, s2
	s_mul_i32 s3, s1, s22
	s_sub_i32 s3, s16, s3
	s_add_i32 s2, s1, 1
	s_sub_i32 s8, s3, s22
	s_cmp_ge_u32 s3, s22
	s_cselect_b32 s1, s2, s1
	s_cselect_b32 s3, s8, s3
	s_add_i32 s2, s1, 1
	s_cmp_ge_u32 s3, s22
	s_cselect_b32 s8, s2, s1
.LBB36_11:
	s_cmp_lg_u32 s6, s8
	s_cbranch_scc0 .LBB36_15
; %bb.12:
	s_add_i32 s1, s21, s22
	s_lshl_b32 s1, s1, 6
	s_add_i32 s2, s1, s15
	s_mov_b32 s3, s0
	s_lshl_b64 s[2:3], s[2:3], 3
	s_add_u32 s16, s18, s2
	s_mul_hi_u32 s1, s8, s12
	s_addc_u32 s17, s19, s3
	s_add_i32 s1, s1, s8
	s_lshr_b32 s1, s1, s13
	s_mul_i32 s2, s1, s14
	s_cmp_eq_u32 s2, s8
	s_cselect_b64 s[2:3], -1, 0
	s_cmp_lt_u32 s1, s7
	s_cselect_b64 s[26:27], -1, 0
	s_or_b64 s[26:27], s[26:27], s[2:3]
	s_mov_b64 s[2:3], -1
	s_and_b64 vcc, exec, s[26:27]
	s_mov_b32 s1, s21
	s_mov_b32 s25, s6
	s_cbranch_vccnz .LBB36_14
; %bb.13:
	s_add_i32 s1, s21, -1
	s_mov_b64 s[2:3], 0
	s_mov_b32 s25, s8
.LBB36_14:
	s_mul_i32 s8, s21, 0x1c00
	v_add_u32_e32 v4, s8, v6
	v_ashrrev_i32_e32 v5, 31, v4
	v_lshl_add_u64 v[4:5], v[4:5], 2, s[4:5]
	global_load_dword v5, v[4:5], off
	s_load_dwordx2 s[8:9], s[16:17], 0x0
	v_max_f32_e32 v4, v9, v9
	s_waitcnt lgkmcnt(0)
	v_max_f32_e64 v10, s8, s8
	v_max_f32_e32 v10, v4, v10
	v_sub_f32_e32 v11, v9, v10
	v_sub_f32_e32 v13, s8, v10
	v_mul_f32_e32 v4, 0x3fb8aa3b, v11
	v_mul_f32_e32 v12, 0x3fb8aa3b, v13
	v_fma_f32 v14, v11, s10, -v4
	v_rndne_f32_e32 v15, v4
	v_fma_f32 v16, v13, s10, -v12
	v_rndne_f32_e32 v17, v12
	v_fmac_f32_e32 v14, 0x32a5705f, v11
	v_sub_f32_e32 v4, v4, v15
	v_fmac_f32_e32 v16, 0x32a5705f, v13
	v_sub_f32_e32 v12, v12, v17
	v_add_f32_e32 v4, v4, v14
	v_cvt_i32_f32_e32 v15, v15
	v_add_f32_e32 v12, v12, v16
	v_exp_f32_e32 v14, v4
	v_cvt_i32_f32_e32 v17, v17
	v_exp_f32_e32 v12, v12
	v_cmp_ngt_f32_e32 vcc, s20, v11
	v_ldexp_f32 v14, v14, v15
	v_mov_b32_e32 v4, s9
	v_ldexp_f32 v12, v12, v17
	v_cndmask_b32_e32 v14, 0, v14, vcc
	v_cmp_ngt_f32_e32 vcc, s20, v13
	s_nop 1
	v_cndmask_b32_e32 v12, 0, v12, vcc
	v_cmp_nlt_f32_e32 vcc, s23, v11
	s_nop 1
	v_cndmask_b32_e32 v14, v8, v14, vcc
	v_cmp_nlt_f32_e32 vcc, s23, v13
	s_nop 1
	v_cndmask_b32_e32 v15, v8, v12, vcc
	v_cmp_le_f32_e32 vcc, s24, v11
	s_nop 1
	v_cndmask_b32_e32 v12, 0, v14, vcc
	v_cmp_le_f32_e32 vcc, s24, v13
	s_nop 1
	v_cndmask_b32_e32 v14, 0, v15, vcc
	s_waitcnt vmcnt(0)
	v_pk_mul_f32 v[4:5], v[4:5], v[14:15] op_sel_hi:[1,0]
	s_nop 0
	v_pk_fma_f32 v[4:5], v[0:1], v[12:13], v[4:5] op_sel_hi:[1,0,1]
	s_cbranch_execz .LBB36_16
	s_branch .LBB36_17
.LBB36_15:
                                        ; implicit-def: $vgpr4_vgpr5
                                        ; implicit-def: $sgpr2_sgpr3
                                        ; implicit-def: $vgpr10
                                        ; implicit-def: $sgpr1
                                        ; implicit-def: $sgpr25
.LBB36_16:
	s_add_i32 s1, s21, -1
	s_mov_b64 s[2:3], 0
	s_mov_b32 s25, s6
	v_mov_b32_e32 v10, v9
	s_waitcnt vmcnt(0)
	v_mov_b64_e32 v[4:5], v[0:1]
.LBB36_17:
	s_andn2_b64 vcc, exec, s[2:3]
	s_cbranch_vccz .LBB36_22
; %bb.18:
	s_mov_b32 s6, s25
	s_mov_b32 s21, s1
	v_mov_b32_e32 v9, v10
	s_waitcnt vmcnt(0)
	v_mov_b64_e32 v[0:1], v[4:5]
	s_mul_hi_i32 s1, s21, s11
	s_cmp_lg_u64 s[0:1], 0
	s_mul_i32 s16, s21, s11
	s_cbranch_scc1 .LBB36_9
.LBB36_19:
                                        ; implicit-def: $sgpr8_sgpr9
	s_branch .LBB36_10
.LBB36_20:
                                        ; implicit-def: $sgpr6_sgpr7
	s_load_dwordx4 s[12:15], s[0:1], 0x44
	s_branch .LBB36_2
.LBB36_21:
                                        ; implicit-def: $sgpr18_sgpr19
	s_branch .LBB36_5
.LBB36_22:
	v_div_scale_f32 v0, s[0:1], v4, v4, v5
	s_waitcnt vmcnt(0)
	v_rcp_f32_e32 v1, v0
	v_div_scale_f32 v6, vcc, v5, v4, v5
	v_fma_f32 v7, -v0, v1, 1.0
	v_fmac_f32_e32 v1, v7, v1
	v_mul_f32_e32 v7, v6, v1
	v_fma_f32 v8, -v0, v7, v6
	v_fmac_f32_e32 v7, v8, v1
	v_fma_f32 v0, -v0, v7, v6
	v_div_fmas_f32 v0, v0, v1, v7
	v_div_fixup_f32 v0, v0, v4, v5
	global_store_dword v[2:3], v0, off
.LBB36_23:
	s_endpgm
	.section	.rodata,"a",@progbits
	.p2align	6, 0x0
	.amdhsa_kernel _ZL33flash_attn_stream_k_fixup_generalILi112ELi32ELi2EEvPfPK15HIP_vector_typeIfLj2EEiiiiS1_IjLj3EES5_S5_S5_
		.amdhsa_group_segment_fixed_size 0
		.amdhsa_private_segment_fixed_size 0
		.amdhsa_kernarg_size 336
		.amdhsa_user_sgpr_count 2
		.amdhsa_user_sgpr_dispatch_ptr 0
		.amdhsa_user_sgpr_queue_ptr 0
		.amdhsa_user_sgpr_kernarg_segment_ptr 1
		.amdhsa_user_sgpr_dispatch_id 0
		.amdhsa_user_sgpr_kernarg_preload_length 0
		.amdhsa_user_sgpr_kernarg_preload_offset 0
		.amdhsa_user_sgpr_private_segment_size 0
		.amdhsa_uses_dynamic_stack 0
		.amdhsa_enable_private_segment 0
		.amdhsa_system_sgpr_workgroup_id_x 1
		.amdhsa_system_sgpr_workgroup_id_y 1
		.amdhsa_system_sgpr_workgroup_id_z 1
		.amdhsa_system_sgpr_workgroup_info 0
		.amdhsa_system_vgpr_workitem_id 0
		.amdhsa_next_free_vgpr 18
		.amdhsa_next_free_sgpr 36
		.amdhsa_accum_offset 20
		.amdhsa_reserve_vcc 1
		.amdhsa_float_round_mode_32 0
		.amdhsa_float_round_mode_16_64 0
		.amdhsa_float_denorm_mode_32 3
		.amdhsa_float_denorm_mode_16_64 3
		.amdhsa_dx10_clamp 1
		.amdhsa_ieee_mode 1
		.amdhsa_fp16_overflow 0
		.amdhsa_tg_split 0
		.amdhsa_exception_fp_ieee_invalid_op 0
		.amdhsa_exception_fp_denorm_src 0
		.amdhsa_exception_fp_ieee_div_zero 0
		.amdhsa_exception_fp_ieee_overflow 0
		.amdhsa_exception_fp_ieee_underflow 0
		.amdhsa_exception_fp_ieee_inexact 0
		.amdhsa_exception_int_div_zero 0
	.end_amdhsa_kernel
	.section	.text._ZL33flash_attn_stream_k_fixup_generalILi112ELi32ELi2EEvPfPK15HIP_vector_typeIfLj2EEiiiiS1_IjLj3EES5_S5_S5_,"axG",@progbits,_ZL33flash_attn_stream_k_fixup_generalILi112ELi32ELi2EEvPfPK15HIP_vector_typeIfLj2EEiiiiS1_IjLj3EES5_S5_S5_,comdat
.Lfunc_end36:
	.size	_ZL33flash_attn_stream_k_fixup_generalILi112ELi32ELi2EEvPfPK15HIP_vector_typeIfLj2EEiiiiS1_IjLj3EES5_S5_S5_, .Lfunc_end36-_ZL33flash_attn_stream_k_fixup_generalILi112ELi32ELi2EEvPfPK15HIP_vector_typeIfLj2EEiiiiS1_IjLj3EES5_S5_S5_
                                        ; -- End function
	.set _ZL33flash_attn_stream_k_fixup_generalILi112ELi32ELi2EEvPfPK15HIP_vector_typeIfLj2EEiiiiS1_IjLj3EES5_S5_S5_.num_vgpr, 18
	.set _ZL33flash_attn_stream_k_fixup_generalILi112ELi32ELi2EEvPfPK15HIP_vector_typeIfLj2EEiiiiS1_IjLj3EES5_S5_S5_.num_agpr, 0
	.set _ZL33flash_attn_stream_k_fixup_generalILi112ELi32ELi2EEvPfPK15HIP_vector_typeIfLj2EEiiiiS1_IjLj3EES5_S5_S5_.numbered_sgpr, 36
	.set _ZL33flash_attn_stream_k_fixup_generalILi112ELi32ELi2EEvPfPK15HIP_vector_typeIfLj2EEiiiiS1_IjLj3EES5_S5_S5_.num_named_barrier, 0
	.set _ZL33flash_attn_stream_k_fixup_generalILi112ELi32ELi2EEvPfPK15HIP_vector_typeIfLj2EEiiiiS1_IjLj3EES5_S5_S5_.private_seg_size, 0
	.set _ZL33flash_attn_stream_k_fixup_generalILi112ELi32ELi2EEvPfPK15HIP_vector_typeIfLj2EEiiiiS1_IjLj3EES5_S5_S5_.uses_vcc, 1
	.set _ZL33flash_attn_stream_k_fixup_generalILi112ELi32ELi2EEvPfPK15HIP_vector_typeIfLj2EEiiiiS1_IjLj3EES5_S5_S5_.uses_flat_scratch, 0
	.set _ZL33flash_attn_stream_k_fixup_generalILi112ELi32ELi2EEvPfPK15HIP_vector_typeIfLj2EEiiiiS1_IjLj3EES5_S5_S5_.has_dyn_sized_stack, 0
	.set _ZL33flash_attn_stream_k_fixup_generalILi112ELi32ELi2EEvPfPK15HIP_vector_typeIfLj2EEiiiiS1_IjLj3EES5_S5_S5_.has_recursion, 0
	.set _ZL33flash_attn_stream_k_fixup_generalILi112ELi32ELi2EEvPfPK15HIP_vector_typeIfLj2EEiiiiS1_IjLj3EES5_S5_S5_.has_indirect_call, 0
	.section	.AMDGPU.csdata,"",@progbits
; Kernel info:
; codeLenInByte = 2944
; TotalNumSgprs: 42
; NumVgprs: 18
; NumAgprs: 0
; TotalNumVgprs: 18
; ScratchSize: 0
; MemoryBound: 0
; FloatMode: 240
; IeeeMode: 1
; LDSByteSize: 0 bytes/workgroup (compile time only)
; SGPRBlocks: 5
; VGPRBlocks: 2
; NumSGPRsForWavesPerEU: 42
; NumVGPRsForWavesPerEU: 18
; AccumOffset: 20
; Occupancy: 8
; WaveLimiterHint : 0
; COMPUTE_PGM_RSRC2:SCRATCH_EN: 0
; COMPUTE_PGM_RSRC2:USER_SGPR: 2
; COMPUTE_PGM_RSRC2:TRAP_HANDLER: 0
; COMPUTE_PGM_RSRC2:TGID_X_EN: 1
; COMPUTE_PGM_RSRC2:TGID_Y_EN: 1
; COMPUTE_PGM_RSRC2:TGID_Z_EN: 1
; COMPUTE_PGM_RSRC2:TIDIG_COMP_CNT: 0
; COMPUTE_PGM_RSRC3_GFX90A:ACCUM_OFFSET: 4
; COMPUTE_PGM_RSRC3_GFX90A:TG_SPLIT: 0
	.section	.text._ZL15flash_attn_tileILi112ELi112ELi16ELi2ELb0EEvPKcS1_S1_S1_S1_PKiPfP15HIP_vector_typeIfLj2EEffffjfiS5_IjLj3EEiiiiiiiiiiiliiliiiiil,"axG",@progbits,_ZL15flash_attn_tileILi112ELi112ELi16ELi2ELb0EEvPKcS1_S1_S1_S1_PKiPfP15HIP_vector_typeIfLj2EEffffjfiS5_IjLj3EEiiiiiiiiiiiliiliiiiil,comdat
	.globl	_ZL15flash_attn_tileILi112ELi112ELi16ELi2ELb0EEvPKcS1_S1_S1_S1_PKiPfP15HIP_vector_typeIfLj2EEffffjfiS5_IjLj3EEiiiiiiiiiiiliiliiiiil ; -- Begin function _ZL15flash_attn_tileILi112ELi112ELi16ELi2ELb0EEvPKcS1_S1_S1_S1_PKiPfP15HIP_vector_typeIfLj2EEffffjfiS5_IjLj3EEiiiiiiiiiiiliiliiiiil
	.p2align	8
	.type	_ZL15flash_attn_tileILi112ELi112ELi16ELi2ELb0EEvPKcS1_S1_S1_S1_PKiPfP15HIP_vector_typeIfLj2EEffffjfiS5_IjLj3EEiiiiiiiiiiiliiliiiiil,@function
_ZL15flash_attn_tileILi112ELi112ELi16ELi2ELb0EEvPKcS1_S1_S1_S1_PKiPfP15HIP_vector_typeIfLj2EEffffjfiS5_IjLj3EEiiiiiiiiiiiliiliiiiil: ; @_ZL15flash_attn_tileILi112ELi112ELi16ELi2ELb0EEvPKcS1_S1_S1_S1_PKiPfP15HIP_vector_typeIfLj2EEffffjfiS5_IjLj3EEiiiiiiiiiiiliiliiiiil
; %bb.0:
	s_load_dwordx4 s[52:55], s[0:1], 0x5c
	s_load_dwordx2 s[56:57], s[0:1], 0x80
	s_load_dwordx16 s[36:51], s[0:1], 0x0
	s_mov_b64 s[58:59], 0
	s_waitcnt lgkmcnt(0)
	s_lshr_b32 s5, s55, 31
	s_add_i32 s5, s55, s5
	s_ashr_i32 s5, s5, 1
	v_cvt_f32_u32_e32 v1, s5
	s_sub_i32 s6, 0, s5
	v_rcp_iflag_f32_e32 v1, v1
	s_nop 0
	v_mul_f32_e32 v1, 0x4f7ffffe, v1
	v_cvt_u32_f32_e32 v1, v1
	s_nop 0
	v_readfirstlane_b32 s7, v1
	s_mul_i32 s6, s6, s7
	s_mul_hi_u32 s6, s7, s6
	s_add_i32 s7, s7, s6
	s_mul_hi_u32 s6, s4, s7
	s_mul_i32 s7, s6, s5
	s_sub_i32 s7, s4, s7
	s_add_i32 s8, s6, 1
	s_sub_i32 s9, s7, s5
	s_cmp_ge_u32 s7, s5
	s_cselect_b32 s6, s8, s6
	s_cselect_b32 s7, s9, s7
	s_add_i32 s8, s6, 1
	s_cmp_ge_u32 s7, s5
	s_cselect_b32 s60, s8, s6
	s_abs_i32 s5, s57
	v_cvt_f32_u32_e32 v1, s5
	s_lshl_b32 s4, s4, 1
	s_mul_i32 s8, s60, s55
	s_sub_i32 s9, 0, s5
	v_rcp_iflag_f32_e32 v1, v1
	s_sub_i32 s34, s4, s8
	s_abs_i32 s7, s55
	s_xor_b32 s6, s55, s57
	v_mul_f32_e32 v1, 0x4f7ffffe, v1
	v_cvt_u32_f32_e32 v1, v1
	s_ashr_i32 s6, s6, 31
	v_readfirstlane_b32 s4, v1
	s_mul_i32 s9, s9, s4
	s_mul_hi_u32 s8, s4, s9
	s_add_i32 s4, s4, s8
	s_mul_hi_u32 s4, s7, s4
	s_mul_i32 s8, s4, s5
	s_sub_i32 s7, s7, s8
	s_add_i32 s9, s4, 1
	s_sub_i32 s8, s7, s5
	s_cmp_ge_u32 s7, s5
	s_cselect_b32 s4, s9, s4
	s_cselect_b32 s7, s8, s7
	s_add_i32 s8, s4, 1
	s_cmp_ge_u32 s7, s5
	s_cselect_b32 s4, s8, s4
	s_xor_b32 s4, s4, s6
	s_sub_i32 s15, s4, s6
	s_abs_i32 s14, s15
	v_cvt_f32_u32_e32 v1, s14
	s_load_dwordx2 s[4:5], s[0:1], 0xb8
	s_cmp_eq_u64 s[42:43], 0
	v_rcp_iflag_f32_e32 v1, v1
	s_nop 0
	v_mul_f32_e32 v1, 0x4f7ffffe, v1
	v_cvt_u32_f32_e32 v1, v1
	s_nop 0
	v_readfirstlane_b32 s16, v1
	s_cbranch_scc1 .LBB37_2
; %bb.1:
	s_waitcnt lgkmcnt(0)
	s_abs_i32 s4, s4
	v_cvt_f32_u32_e32 v1, s4
	s_sub_i32 s10, 0, s4
	s_abs_i32 s9, s60
	s_ashr_i32 s8, s60, 31
	v_rcp_iflag_f32_e32 v1, v1
	s_load_dwordx2 s[6:7], s[0:1], 0xc8
	v_mul_f32_e32 v1, 0x4f7ffffe, v1
	v_cvt_u32_f32_e32 v1, v1
	s_nop 0
	v_readfirstlane_b32 s11, v1
	s_mul_i32 s10, s10, s11
	s_mul_hi_u32 s10, s11, s10
	s_add_i32 s11, s11, s10
	s_mul_hi_u32 s10, s9, s11
	s_mul_i32 s10, s10, s4
	s_sub_i32 s9, s9, s10
	s_sub_i32 s10, s9, s4
	s_cmp_ge_u32 s9, s4
	s_cselect_b32 s9, s10, s9
	s_sub_i32 s10, s9, s4
	s_cmp_ge_u32 s9, s4
	s_cselect_b32 s4, s10, s9
	s_xor_b32 s4, s4, s8
	s_sub_i32 s4, s4, s8
	s_ashr_i32 s8, s4, 31
	s_waitcnt lgkmcnt(0)
	s_mul_hi_u32 s9, s6, s4
	s_mul_i32 s8, s6, s8
	s_mul_i32 s7, s7, s4
	s_add_i32 s8, s9, s8
	s_add_i32 s8, s8, s7
	s_mul_i32 s4, s6, s4
	s_add_u32 s58, s42, s4
	s_addc_u32 s59, s43, s8
.LBB37_2:
	s_load_dwordx4 s[8:11], s[0:1], 0x70
	s_waitcnt lgkmcnt(0)
	s_load_dword s4, s[0:1], 0x40
	s_lshl_b32 s33, s2, 4
	v_and_b32_e32 v98, 0x3ff, v0
	v_bfe_u32 v99, v0, 10, 10
	s_mul_i32 s6, s60, s10
	s_ashr_i32 s10, s6, 31
	s_mul_i32 s7, s34, s9
	s_add_u32 s6, s36, s6
	s_addc_u32 s10, s37, s10
	s_ashr_i32 s11, s7, 31
	s_add_u32 s6, s6, s7
	s_addc_u32 s7, s10, s11
	s_ashr_i32 s11, s9, 31
	s_mov_b32 s10, s9
	s_ashr_i32 s9, s8, 31
	v_lshlrev_b32_e32 v68, 2, v98
	v_cmp_gt_u32_e64 s[30:31], 28, v98
	s_lshr_b64 s[10:11], s[10:11], 2
	s_lshr_b64 s[8:9], s[8:9], 2
	v_mov_b32_e32 v1, 0
	v_lshlrev_b32_e32 v100, 3, v98
	v_lshl_add_u32 v2, v99, 1, s33
	v_lshlrev_b32_e32 v0, 2, v68
	s_and_saveexec_b64 s[12:13], s[30:31]
	s_cbranch_execz .LBB37_4
; %bb.3:
	v_mul_hi_u32 v3, v2, s52
	v_add_u32_e32 v3, v2, v3
	v_lshrrev_b32_e32 v3, s53, v3
	v_mul_lo_u32 v3, v3, s54
	v_sub_u32_e32 v3, v2, v3
	v_mad_u64_u32 v[4:5], s[18:19], s8, v3, 0
	v_mov_b32_e32 v6, v5
	v_mad_u64_u32 v[6:7], s[18:19], s9, v3, v[6:7]
	s_lshl_b64 s[18:19], s[10:11], 2
	v_mov_b32_e32 v5, v6
	s_add_u32 s18, s6, s18
	v_lshlrev_b64 v[8:9], 2, v[4:5]
	s_addc_u32 s19, s7, s19
	v_lshl_add_u64 v[4:5], s[6:7], 0, v[8:9]
	v_lshl_add_u64 v[8:9], s[18:19], 0, v[8:9]
	;; [unrolled: 1-line block ×4, first 2 shown]
	global_load_dwordx4 v[4:7], v[4:5], off
	s_movk_i32 s17, 0x380
	global_load_dwordx4 v[8:11], v[8:9], off
	v_mad_u32_u24 v1, v99, s17, v100
	s_waitcnt vmcnt(1) lgkmcnt(0)
	v_fma_mixlo_f16 v3, s4, v4, 0
	v_fma_mixlo_f16 v4, s4, v5, 0
	;; [unrolled: 1-line block ×4, first 2 shown]
	s_waitcnt vmcnt(0)
	v_fma_mixlo_f16 v7, s4, v8, 0
	v_fma_mixlo_f16 v8, s4, v9, 0
	;; [unrolled: 1-line block ×4, first 2 shown]
	v_lshlrev_b32_e32 v4, 16, v4
	v_and_b32_e32 v3, 0xffff, v3
	v_lshlrev_b32_e32 v6, 16, v6
	v_and_b32_e32 v5, 0xffff, v5
	;; [unrolled: 2-line block ×4, first 2 shown]
	v_or_b32_e32 v3, v4, v3
	v_or3_b32 v5, v6, v5, 0
	v_or_b32_e32 v6, v8, v7
	v_or3_b32 v7, v10, v9, 0
	v_or3_b32 v4, 0, 0, v3
	;; [unrolled: 1-line block ×3, first 2 shown]
	ds_write2_b64 v1, v[4:5], v[6:7] offset1:28
.LBB37_4:
	s_or_b64 exec, exec, s[12:13]
	v_lshlrev_b32_e32 v3, 2, v99
	v_or_b32_e32 v4, 2, v3
	v_lshrrev_b32_e32 v87, 1, v4
	s_and_saveexec_b64 s[12:13], s[30:31]
	s_cbranch_execz .LBB37_6
; %bb.5:
	v_add_u32_e32 v1, s33, v87
	v_mul_hi_u32 v5, v1, s52
	v_add_u32_e32 v5, v1, v5
	v_lshrrev_b32_e32 v5, s53, v5
	v_mul_lo_u32 v5, v5, s54
	v_sub_u32_e32 v1, v1, v5
	v_mad_u64_u32 v[6:7], s[18:19], s8, v1, 0
	v_mov_b32_e32 v8, v7
	v_mad_u64_u32 v[8:9], s[18:19], s9, v1, v[8:9]
	v_mov_b32_e32 v7, v8
	v_lshl_add_u64 v[6:7], v[6:7], 2, s[6:7]
	v_mov_b32_e32 v1, 0
	v_lshl_add_u64 v[6:7], v[6:7], 0, v[0:1]
	global_load_dwordx4 v[6:9], v[6:7], off
	s_movk_i32 s17, 0xe0
	v_mad_u32_u24 v1, v4, s17, v100
	s_waitcnt vmcnt(0) lgkmcnt(0)
	v_fma_mixlo_f16 v4, s4, v6, 0
	v_fma_mixlo_f16 v5, s4, v8, 0
	v_mov_b32_e32 v6, v9
	v_and_b32_e32 v8, 0xffff, v4
	v_and_b32_e32 v9, 0xffff, v5
	v_pk_mul_f32 v[4:5], s[4:5], v[6:7] op_sel_hi:[0,1]
	v_cvt_pk_f16_f32 v4, v4, v5
	v_lshlrev_b32_e32 v5, 16, v4
	v_and_b32_e32 v4, 0xffff0000, v4
	v_or_b32_e32 v4, v4, v8
	v_or3_b32 v5, v5, v9, 0
	v_or3_b32 v4, 0, 0, v4
	ds_write_b64 v1, v[4:5]
.LBB37_6:
	s_or_b64 exec, exec, s[12:13]
	v_or_b32_e32 v69, 3, v3
	s_and_saveexec_b64 s[12:13], s[30:31]
	s_cbranch_execz .LBB37_8
; %bb.7:
	v_lshrrev_b32_e32 v1, 1, v69
	v_add_u32_e32 v1, s33, v1
	v_mul_hi_u32 v4, v1, s52
	v_add_u32_e32 v4, v1, v4
	v_lshrrev_b32_e32 v4, s53, v4
	s_lshl_b64 s[10:11], s[10:11], 2
	v_mul_lo_u32 v4, v4, s54
	s_add_u32 s6, s6, s10
	v_sub_u32_e32 v1, v1, v4
	s_addc_u32 s7, s7, s11
	v_mad_u64_u32 v[4:5], s[10:11], s8, v1, 0
	v_mov_b32_e32 v6, v5
	v_mad_u64_u32 v[6:7], s[8:9], s9, v1, v[6:7]
	v_mov_b32_e32 v5, v6
	v_lshl_add_u64 v[4:5], v[4:5], 2, s[6:7]
	v_mov_b32_e32 v1, 0
	v_lshl_add_u64 v[0:1], v[4:5], 0, v[0:1]
	global_load_dwordx4 v[4:7], v[0:1], off
	s_movk_i32 s6, 0xe0
	v_mad_u32_u24 v8, v69, s6, v100
	s_waitcnt vmcnt(0) lgkmcnt(0)
	v_fma_mixlo_f16 v0, s4, v4, 0
	v_fma_mixlo_f16 v1, s4, v6, 0
	v_mov_b32_e32 v4, v7
	v_and_b32_e32 v6, 0xffff, v0
	v_and_b32_e32 v7, 0xffff, v1
	v_pk_mul_f32 v[0:1], s[4:5], v[4:5] op_sel_hi:[0,1]
	v_cvt_pk_f16_f32 v0, v0, v1
	v_lshlrev_b32_e32 v1, 16, v0
	v_and_b32_e32 v0, 0xffff0000, v0
	v_or_b32_e32 v0, v0, v6
	v_or3_b32 v1, v1, v7, 0
	v_or3_b32 v0, 0, 0, v0
	ds_write_b64 v8, v[0:1]
.LBB37_8:
	s_or_b64 exec, exec, s[12:13]
	s_cmp_eq_u64 s[46:47], 0
	s_waitcnt lgkmcnt(0)
	s_barrier
	s_cbranch_scc1 .LBB37_10
; %bb.9:
	s_load_dword s4, s[0:1], 0xd0
	s_mov_b32 s7, 0
	s_waitcnt lgkmcnt(0)
	s_mul_i32 s4, s4, s60
	s_add_i32 s6, s4, s2
	s_lshl_b64 s[6:7], s[6:7], 2
	s_add_u32 s6, s46, s6
	s_addc_u32 s7, s47, s7
	s_load_dword s56, s[6:7], 0x0
.LBB37_10:
	s_lshl_b32 s2, s3, 5
	s_waitcnt lgkmcnt(0)
	s_cmp_lt_i32 s2, s56
	v_mbcnt_lo_u32_b32 v0, -1, 0
	s_cbranch_scc1 .LBB37_43
; %bb.11:
	v_mbcnt_hi_u32_b32 v107, -1, v0
	v_and_b32_e32 v1, 0x60, v107
	v_add_u32_e32 v123, 32, v1
	v_xor_b32_e32 v125, 16, v107
	v_xor_b32_e32 v126, 8, v107
	;; [unrolled: 1-line block ×5, first 2 shown]
	s_cbranch_execz .LBB37_44
; %bb.12:
	v_mov_b32_e32 v71, 0
	v_mov_b32_e32 v108, 0
	;; [unrolled: 1-line block ×16, first 2 shown]
.LBB37_13:
	v_cmp_lt_i32_e32 vcc, v125, v123
	s_cmp_lg_u64 s[44:45], 0
	s_cselect_b64 s[4:5], -1, 0
	v_cndmask_b32_e32 v4, v107, v125, vcc
	v_cmp_lt_i32_e32 vcc, v126, v123
	v_lshlrev_b32_e32 v7, 2, v4
	ds_bpermute_b32 v5, v7, v73
	v_cndmask_b32_e32 v4, v107, v126, vcc
	v_cmp_lt_i32_e32 vcc, v127, v123
	v_lshlrev_b32_e32 v11, 2, v4
	ds_bpermute_b32 v6, v7, v70
	v_cndmask_b32_e32 v4, v107, v127, vcc
	v_lshlrev_b32_e32 v12, 2, v4
	ds_bpermute_b32 v4, v7, v72
	ds_bpermute_b32 v7, v7, v71
	v_cmp_lt_i32_e32 vcc, v124, v123
	s_cmp_eq_u32 s3, 0
	s_cselect_b64 s[6:7], -1, 0
	s_waitcnt lgkmcnt(1)
	v_pk_add_f32 v[4:5], v[72:73], v[4:5]
	s_waitcnt lgkmcnt(0)
	v_pk_add_f32 v[6:7], v[70:71], v[6:7]
	ds_bpermute_b32 v8, v11, v4
	ds_bpermute_b32 v9, v11, v5
	;; [unrolled: 1-line block ×4, first 2 shown]
	v_cndmask_b32_e32 v13, v107, v124, vcc
	v_lshlrev_b32_e32 v13, 2, v13
	s_waitcnt lgkmcnt(2)
	v_pk_add_f32 v[4:5], v[4:5], v[8:9]
	ds_bpermute_b32 v8, v12, v4
	s_waitcnt lgkmcnt(1)
	v_pk_add_f32 v[6:7], v[6:7], v[10:11]
	ds_bpermute_b32 v9, v12, v5
	ds_bpermute_b32 v10, v12, v6
	;; [unrolled: 1-line block ×3, first 2 shown]
	v_cmp_lt_i32_e32 vcc, v122, v123
	s_and_b64 s[4:5], s[6:7], s[4:5]
	s_waitcnt lgkmcnt(2)
	v_pk_add_f32 v[4:5], v[4:5], v[8:9]
	ds_bpermute_b32 v8, v13, v4
	s_waitcnt lgkmcnt(1)
	v_pk_add_f32 v[6:7], v[6:7], v[10:11]
	ds_bpermute_b32 v9, v13, v5
	ds_bpermute_b32 v10, v13, v6
	;; [unrolled: 1-line block ×3, first 2 shown]
	v_cndmask_b32_e32 v12, v107, v122, vcc
	v_lshlrev_b32_e32 v13, 2, v12
	s_waitcnt lgkmcnt(2)
	v_pk_add_f32 v[4:5], v[4:5], v[8:9]
	ds_bpermute_b32 v8, v13, v4
	s_waitcnt lgkmcnt(1)
	v_pk_add_f32 v[10:11], v[6:7], v[10:11]
	ds_bpermute_b32 v9, v13, v5
	ds_bpermute_b32 v12, v13, v10
	;; [unrolled: 1-line block ×3, first 2 shown]
	s_and_b64 vcc, exec, s[4:5]
	s_waitcnt lgkmcnt(2)
	v_pk_add_f32 v[6:7], v[4:5], v[8:9]
	s_waitcnt lgkmcnt(0)
	v_pk_add_f32 v[4:5], v[10:11], v[12:13]
	s_cbranch_vccz .LBB37_15
; %bb.14:
	s_ashr_i32 s35, s34, 31
	s_lshl_b64 s[4:5], s[34:35], 2
	s_add_u32 s4, s44, s4
	s_addc_u32 s5, s45, s5
	v_mov_b32_e32 v8, 0
	global_load_dwordx2 v[12:13], v8, s[4:5]
	v_max_f32_e32 v8, v0, v0
	v_max_f32_e32 v9, v1, v1
	;; [unrolled: 1-line block ×3, first 2 shown]
	s_mov_b32 s5, 0x3fb8aa3b
	s_mov_b32 s2, 0xc2ce8ed0
	;; [unrolled: 1-line block ×3, first 2 shown]
	v_mov_b32_e32 v16, 0x7f800000
	s_waitcnt vmcnt(0)
	v_max_f32_e32 v11, v12, v12
	v_max_f32_e32 v8, v8, v11
	;; [unrolled: 1-line block ×3, first 2 shown]
	v_sub_f32_e32 v0, v0, v8
	v_max_f32_e32 v9, v9, v17
	v_max_f32_e32 v10, v10, v11
	v_sub_f32_e32 v11, v12, v8
	v_mul_f32_e32 v14, 0x3fb8aa3b, v0
	v_sub_f32_e32 v1, v1, v9
	v_mul_f32_e32 v18, 0x3fb8aa3b, v11
	v_fma_f32 v23, v0, s5, -v14
	v_rndne_f32_e32 v24, v14
	v_sub_f32_e32 v15, v13, v9
	v_mul_f32_e32 v19, 0x3fb8aa3b, v1
	v_fma_f32 v25, v11, s5, -v18
	v_rndne_f32_e32 v26, v18
	v_fmac_f32_e32 v23, 0x32a5705f, v0
	v_sub_f32_e32 v14, v14, v24
	v_sub_f32_e32 v2, v2, v10
	v_mul_f32_e32 v20, 0x3fb8aa3b, v15
	v_fma_f32 v27, v1, s5, -v19
	v_rndne_f32_e32 v28, v19
	v_fmac_f32_e32 v25, 0x32a5705f, v11
	v_sub_f32_e32 v18, v18, v26
	v_add_f32_e32 v14, v14, v23
	v_mul_f32_e32 v21, 0x3fb8aa3b, v2
	v_fma_f32 v29, v15, s5, -v20
	v_rndne_f32_e32 v30, v20
	v_cvt_i32_f32_e32 v24, v24
	v_fmac_f32_e32 v27, 0x32a5705f, v1
	v_sub_f32_e32 v19, v19, v28
	v_add_f32_e32 v18, v18, v25
	v_exp_f32_e32 v14, v14
	v_fma_f32 v31, v2, s5, -v21
	v_rndne_f32_e32 v32, v21
	v_cvt_i32_f32_e32 v26, v26
	v_fmac_f32_e32 v29, 0x32a5705f, v15
	v_sub_f32_e32 v20, v20, v30
	v_add_f32_e32 v19, v19, v27
	v_exp_f32_e32 v18, v18
	v_cvt_i32_f32_e32 v28, v28
	v_fmac_f32_e32 v31, 0x32a5705f, v2
	v_sub_f32_e32 v21, v21, v32
	v_add_f32_e32 v20, v20, v29
	v_exp_f32_e32 v19, v19
	v_cvt_i32_f32_e32 v30, v30
	v_add_f32_e32 v21, v21, v31
	v_exp_f32_e32 v20, v20
	v_cvt_i32_f32_e32 v32, v32
	v_exp_f32_e32 v21, v21
	v_ldexp_f32 v14, v14, v24
	v_cmp_ngt_f32_e32 vcc, s2, v0
	v_ldexp_f32 v18, v18, v26
	v_ldexp_f32 v19, v19, v28
	v_cndmask_b32_e32 v14, 0, v14, vcc
	v_cmp_ngt_f32_e32 vcc, s2, v11
	v_sub_f32_e32 v12, v12, v10
	v_ldexp_f32 v20, v20, v30
	v_cndmask_b32_e32 v18, 0, v18, vcc
	v_cmp_ngt_f32_e32 vcc, s2, v1
	v_mul_f32_e32 v22, 0x3fb8aa3b, v12
	v_ldexp_f32 v21, v21, v32
	v_cndmask_b32_e32 v19, 0, v19, vcc
	v_cmp_ngt_f32_e32 vcc, s2, v15
	v_fma_f32 v33, v12, s5, -v22
	v_rndne_f32_e32 v34, v22
	v_cndmask_b32_e32 v20, 0, v20, vcc
	v_cmp_ngt_f32_e32 vcc, s2, v2
	v_fmac_f32_e32 v33, 0x32a5705f, v12
	v_sub_f32_e32 v22, v22, v34
	v_cndmask_b32_e32 v21, 0, v21, vcc
	v_cmp_nlt_f32_e32 vcc, s4, v0
	v_add_f32_e32 v22, v22, v33
	v_cvt_i32_f32_e32 v34, v34
	v_cndmask_b32_e32 v0, v16, v14, vcc
	v_cmp_nlt_f32_e32 vcc, s4, v11
	v_cvt_f16_f32_e32 v11, v0
	v_exp_f32_e32 v22, v22
	v_cndmask_b32_e32 v14, v16, v18, vcc
	v_cmp_nlt_f32_e32 vcc, s4, v1
	v_mul_u32_u24_e32 v11, 0x10001, v11
	v_pk_mul_f16 v108, v108, v11
	v_cndmask_b32_e32 v1, v16, v19, vcc
	v_cmp_nlt_f32_e32 vcc, s4, v15
	v_pk_mul_f16 v109, v109, v11
	v_ldexp_f32 v11, v22, v34
	v_cndmask_b32_e32 v15, v16, v20, vcc
	v_cmp_nlt_f32_e32 vcc, s4, v2
	v_cvt_f16_f32_e32 v18, v1
	v_pk_fma_f32 v[6:7], v[6:7], v[0:1], v[14:15]
	v_cndmask_b32_e32 v2, v16, v21, vcc
	v_cmp_ngt_f32_e32 vcc, s2, v12
	v_mul_u32_u24_e32 v18, 0x10001, v18
	v_pk_mul_f16 v105, v105, v18
	v_cndmask_b32_e32 v11, 0, v11, vcc
	v_cmp_nlt_f32_e32 vcc, s4, v12
	v_pk_mul_f16 v106, v106, v18
	v_cvt_f16_f32_e32 v18, v2
	v_cndmask_b32_e32 v12, v16, v11, vcc
	v_max_f32_e32 v11, v3, v3
	v_max_f32_e32 v11, v11, v17
	v_sub_f32_e32 v3, v3, v11
	v_mul_f32_e32 v17, 0x3fb8aa3b, v3
	v_fma_f32 v19, v3, s5, -v17
	v_rndne_f32_e32 v20, v17
	v_fmac_f32_e32 v19, 0x32a5705f, v3
	v_sub_f32_e32 v17, v17, v20
	v_add_f32_e32 v17, v17, v19
	v_exp_f32_e32 v17, v17
	v_cvt_i32_f32_e32 v19, v20
	v_mul_u32_u24_e32 v18, 0x10001, v18
	v_sub_f32_e32 v13, v13, v11
	v_pk_mul_f16 v103, v103, v18
	v_pk_mul_f16 v104, v104, v18
	v_mul_f32_e32 v18, 0x3fb8aa3b, v13
	v_ldexp_f32 v17, v17, v19
	v_fma_f32 v19, v13, s5, -v18
	v_rndne_f32_e32 v20, v18
	v_fmac_f32_e32 v19, 0x32a5705f, v13
	v_sub_f32_e32 v18, v18, v20
	v_add_f32_e32 v18, v18, v19
	v_exp_f32_e32 v18, v18
	v_cvt_i32_f32_e32 v19, v20
	v_cmp_ngt_f32_e32 vcc, s2, v3
	s_nop 1
	v_cndmask_b32_e32 v17, 0, v17, vcc
	v_cmp_nlt_f32_e32 vcc, s4, v3
	s_nop 1
	v_cndmask_b32_e32 v3, v16, v17, vcc
	v_ldexp_f32 v17, v18, v19
	v_cvt_f16_f32_e32 v18, v3
	v_cmp_ngt_f32_e32 vcc, s2, v13
	s_nop 1
	v_cndmask_b32_e32 v17, 0, v17, vcc
	v_cmp_nlt_f32_e32 vcc, s4, v13
	s_nop 1
	v_cndmask_b32_e32 v13, v16, v17, vcc
	v_mul_u32_u24_e32 v16, 0x10001, v18
	v_pk_fma_f32 v[4:5], v[4:5], v[2:3], v[12:13]
	v_mov_b64_e32 v[0:1], v[8:9]
	v_pk_mul_f16 v101, v101, v16
	v_pk_mul_f16 v102, v102, v16
	v_mov_b64_e32 v[2:3], v[10:11]
.LBB37_15:
	v_lshlrev_b32_e32 v9, 1, v99
	v_add_u32_e32 v8, s33, v9
	v_cmp_gt_i32_e32 vcc, s54, v8
	s_and_saveexec_b64 s[4:5], vcc
	s_cbranch_execz .LBB37_42
; %bb.16:
	s_load_dword s2, s[0:1], 0xd4
	v_mov_b32_e32 v8, 1.0
	s_waitcnt lgkmcnt(0)
	s_cmp_lg_u32 s2, 1
	s_cselect_b64 s[0:1], -1, 0
	s_cmp_eq_u32 s2, 1
	s_cselect_b64 s[6:7], -1, 0
	s_and_b64 vcc, exec, s[0:1]
	s_cbranch_vccnz .LBB37_18
; %bb.17:
	v_div_scale_f32 v8, s[4:5], v6, v6, 1.0
	v_rcp_f32_e32 v10, v8
	v_div_scale_f32 v11, vcc, 1.0, v6, 1.0
	v_fma_f32 v12, -v8, v10, 1.0
	v_fmac_f32_e32 v10, v12, v10
	v_mul_f32_e32 v12, v11, v10
	v_fma_f32 v13, -v8, v12, v11
	v_fmac_f32_e32 v12, v13, v10
	v_fma_f32 v8, -v8, v12, v11
	v_div_fmas_f32 v8, v8, v10, v12
	v_div_fixup_f32 v8, v8, v6, 1.0
.LBB37_18:
	s_mul_i32 s8, s60, s54
	s_add_i32 s8, s8, s33
	v_add_u32_e32 v9, s8, v9
	v_mul_lo_u32 v9, v9, s55
	v_add_u32_e32 v10, s34, v9
	v_mul_lo_u32 v10, s2, v10
	v_add_u32_e32 v10, s3, v10
	s_and_saveexec_b64 s[4:5], s[30:31]
	s_cbranch_execz .LBB37_20
; %bb.19:
	v_cvt_f32_f16_sdwa v15, v108 dst_sel:DWORD dst_unused:UNUSED_PAD src0_sel:WORD_1
	v_cvt_f32_f16_e32 v14, v108
	v_cvt_f32_f16_sdwa v17, v109 dst_sel:DWORD dst_unused:UNUSED_PAD src0_sel:WORD_1
	v_cvt_f32_f16_e32 v16, v109
	s_movk_i32 s9, 0x70
	v_mad_u64_u32 v[12:13], s[10:11], v10, s9, v[68:69]
	v_mov_b32_e32 v13, 0
	v_lshl_add_u64 v[18:19], v[12:13], 2, s[48:49]
	v_pk_mul_f32 v[12:13], v[8:9], v[14:15] op_sel_hi:[0,1]
	v_pk_mul_f32 v[14:15], v[8:9], v[16:17] op_sel_hi:[0,1]
	global_store_dwordx4 v[18:19], v[12:15], off
.LBB37_20:
	s_or_b64 exec, exec, s[4:5]
	v_cmp_eq_u32_e32 vcc, 0, v98
	s_and_b64 s[4:5], vcc, s[0:1]
	s_and_saveexec_b64 s[0:1], s[4:5]
	s_cbranch_execz .LBB37_22
; %bb.21:
	v_ashrrev_i32_e32 v11, 31, v10
	v_lshl_add_u64 v[10:11], v[10:11], 3, s[50:51]
	v_mov_b32_e32 v12, v0
	v_mov_b32_e32 v13, v6
	global_store_dwordx2 v[10:11], v[12:13], off
.LBB37_22:
	s_or_b64 exec, exec, s[0:1]
	v_cndmask_b32_e64 v0, 0, 1, s[6:7]
	v_cmp_ne_u32_e64 s[0:1], 1, v0
	s_andn2_b64 vcc, exec, s[6:7]
	v_mov_b32_e32 v0, 1.0
	s_cbranch_vccnz .LBB37_24
; %bb.23:
	v_div_scale_f32 v0, s[6:7], v7, v7, 1.0
	v_rcp_f32_e32 v6, v0
	v_div_scale_f32 v8, vcc, 1.0, v7, 1.0
	v_fma_f32 v10, -v0, v6, 1.0
	v_fmac_f32_e32 v6, v10, v6
	v_mul_f32_e32 v10, v8, v6
	v_fma_f32 v11, -v0, v10, v8
	v_fmac_f32_e32 v10, v11, v6
	v_fma_f32 v0, -v0, v10, v8
	v_div_fmas_f32 v0, v0, v6, v10
	v_div_fixup_f32 v0, v0, v7, 1.0
.LBB37_24:
	s_add_i32 s9, s34, 1
	v_add_u32_e32 v6, s9, v9
	v_mul_lo_u32 v6, s2, v6
	v_add_u32_e32 v8, s3, v6
	s_and_saveexec_b64 s[6:7], s[30:31]
	s_cbranch_execz .LBB37_26
; %bb.25:
	v_cvt_f32_f16_sdwa v13, v105 dst_sel:DWORD dst_unused:UNUSED_PAD src0_sel:WORD_1
	v_cvt_f32_f16_e32 v12, v105
	v_cvt_f32_f16_sdwa v15, v106 dst_sel:DWORD dst_unused:UNUSED_PAD src0_sel:WORD_1
	v_cvt_f32_f16_e32 v14, v106
	s_movk_i32 s10, 0x70
	v_mad_u64_u32 v[10:11], s[10:11], v8, s10, v[68:69]
	v_mov_b32_e32 v11, 0
	v_lshl_add_u64 v[16:17], v[10:11], 2, s[48:49]
	v_pk_mul_f32 v[10:11], v[0:1], v[12:13] op_sel_hi:[0,1]
	v_pk_mul_f32 v[12:13], v[0:1], v[14:15] op_sel_hi:[0,1]
	global_store_dwordx4 v[16:17], v[10:13], off
.LBB37_26:
	s_or_b64 exec, exec, s[6:7]
	s_and_saveexec_b64 s[6:7], s[4:5]
	s_cbranch_execz .LBB37_28
; %bb.27:
	v_ashrrev_i32_e32 v9, 31, v8
	v_lshl_add_u64 v[8:9], v[8:9], 3, s[50:51]
	v_mov_b32_e32 v6, v1
	global_store_dwordx2 v[8:9], v[6:7], off
.LBB37_28:
	s_or_b64 exec, exec, s[6:7]
	v_add_u32_e32 v0, s33, v87
	v_cmp_gt_i32_e32 vcc, s54, v0
	s_and_b64 exec, exec, vcc
	s_cbranch_execz .LBB37_42
; %bb.29:
	s_and_b64 vcc, exec, s[0:1]
	v_mov_b32_e32 v6, 1.0
	s_cbranch_vccnz .LBB37_31
; %bb.30:
	v_div_scale_f32 v0, s[6:7], v4, v4, 1.0
	v_rcp_f32_e32 v1, v0
	v_div_scale_f32 v6, vcc, 1.0, v4, 1.0
	v_fma_f32 v7, -v0, v1, 1.0
	v_fmac_f32_e32 v1, v7, v1
	v_mul_f32_e32 v7, v6, v1
	v_fma_f32 v8, -v0, v7, v6
	v_fmac_f32_e32 v7, v8, v1
	v_fma_f32 v0, -v0, v7, v6
	v_div_fmas_f32 v0, v0, v1, v7
	v_div_fixup_f32 v6, v0, v4, 1.0
.LBB37_31:
	v_add_u32_e32 v0, s8, v87
	v_mul_lo_u32 v0, v0, s55
	v_add_u32_e32 v0, s34, v0
	v_mul_lo_u32 v0, s2, v0
	v_add_u32_e32 v0, s3, v0
	s_and_saveexec_b64 s[6:7], s[30:31]
	s_cbranch_execz .LBB37_33
; %bb.32:
	v_cvt_f32_f16_sdwa v11, v103 dst_sel:DWORD dst_unused:UNUSED_PAD src0_sel:WORD_1
	v_cvt_f32_f16_e32 v10, v103
	v_cvt_f32_f16_sdwa v13, v104 dst_sel:DWORD dst_unused:UNUSED_PAD src0_sel:WORD_1
	v_cvt_f32_f16_e32 v12, v104
	s_movk_i32 s10, 0x70
	v_mad_u64_u32 v[8:9], s[10:11], v0, s10, v[68:69]
	v_mov_b32_e32 v9, 0
	v_lshl_add_u64 v[14:15], v[8:9], 2, s[48:49]
	v_pk_mul_f32 v[8:9], v[6:7], v[10:11] op_sel_hi:[0,1]
	v_pk_mul_f32 v[10:11], v[6:7], v[12:13] op_sel_hi:[0,1]
	global_store_dwordx4 v[14:15], v[8:11], off
.LBB37_33:
	s_or_b64 exec, exec, s[6:7]
	s_and_saveexec_b64 s[6:7], s[4:5]
	s_cbranch_execz .LBB37_35
; %bb.34:
	v_ashrrev_i32_e32 v1, 31, v0
	v_lshl_add_u64 v[0:1], v[0:1], 3, s[50:51]
	v_mov_b32_e32 v6, v2
	v_mov_b32_e32 v7, v4
	global_store_dwordx2 v[0:1], v[6:7], off
.LBB37_35:
	s_or_b64 exec, exec, s[6:7]
	v_lshrrev_b32_e32 v0, 1, v69
	v_add_u32_e32 v1, s33, v0
	v_cmp_gt_i32_e32 vcc, s54, v1
	s_and_b64 exec, exec, vcc
	s_cbranch_execz .LBB37_42
; %bb.36:
	s_and_b64 vcc, exec, s[0:1]
	v_mov_b32_e32 v2, 1.0
	s_cbranch_vccnz .LBB37_38
; %bb.37:
	v_div_scale_f32 v1, s[0:1], v5, v5, 1.0
	v_rcp_f32_e32 v2, v1
	v_div_scale_f32 v4, vcc, 1.0, v5, 1.0
	v_fma_f32 v6, -v1, v2, 1.0
	v_fmac_f32_e32 v2, v6, v2
	v_mul_f32_e32 v6, v4, v2
	v_fma_f32 v7, -v1, v6, v4
	v_fmac_f32_e32 v6, v7, v2
	v_fma_f32 v1, -v1, v6, v4
	v_div_fmas_f32 v1, v1, v2, v6
	v_div_fixup_f32 v2, v1, v5, 1.0
.LBB37_38:
	v_add_u32_e32 v0, s8, v0
	v_mul_lo_u32 v0, v0, s55
	v_add_u32_e32 v0, s9, v0
	v_mul_lo_u32 v0, s2, v0
	v_add_u32_e32 v0, s3, v0
	s_and_saveexec_b64 s[0:1], s[30:31]
	s_cbranch_execz .LBB37_40
; %bb.39:
	v_cvt_f32_f16_sdwa v9, v101 dst_sel:DWORD dst_unused:UNUSED_PAD src0_sel:WORD_1
	v_cvt_f32_f16_e32 v8, v101
	v_cvt_f32_f16_sdwa v11, v102 dst_sel:DWORD dst_unused:UNUSED_PAD src0_sel:WORD_1
	v_cvt_f32_f16_e32 v10, v102
	s_movk_i32 s2, 0x70
	v_mad_u64_u32 v[6:7], s[2:3], v0, s2, v[68:69]
	v_mov_b32_e32 v7, 0
	v_lshl_add_u64 v[12:13], v[6:7], 2, s[48:49]
	v_pk_mul_f32 v[6:7], v[2:3], v[8:9] op_sel_hi:[0,1]
	v_pk_mul_f32 v[8:9], v[2:3], v[10:11] op_sel_hi:[0,1]
	global_store_dwordx4 v[12:13], v[6:9], off
.LBB37_40:
	s_or_b64 exec, exec, s[0:1]
	s_and_b64 exec, exec, s[4:5]
	s_cbranch_execz .LBB37_42
; %bb.41:
	v_ashrrev_i32_e32 v1, 31, v0
	v_lshl_add_u64 v[0:1], v[0:1], 3, s[50:51]
	v_mov_b32_e32 v4, v3
	global_store_dwordx2 v[0:1], v[4:5], off
.LBB37_42:
	s_endpgm
.LBB37_43:
                                        ; implicit-def: $vgpr107
                                        ; implicit-def: $vgpr123
                                        ; implicit-def: $vgpr125
                                        ; implicit-def: $vgpr126
                                        ; implicit-def: $vgpr127
                                        ; implicit-def: $vgpr124
                                        ; implicit-def: $vgpr122
.LBB37_44:
	s_load_dwordx2 s[6:7], s[0:1], 0x8c
	s_load_dwordx4 s[8:11], s[0:1], 0x98
	s_sub_i32 s4, 0, s14
	s_mul_i32 s4, s4, s16
	s_mul_hi_u32 s4, s16, s4
	s_waitcnt lgkmcnt(0)
	s_ashr_i32 s42, s6, 2
	s_ashr_i32 s35, s10, 2
	;; [unrolled: 1-line block ×4, first 2 shown]
	s_mul_hi_u32 s6, s8, s60
	s_mul_i32 s18, s8, s5
	s_abs_i32 s17, s34
	s_add_i32 s16, s16, s4
	s_add_i32 s6, s6, s18
	s_mul_i32 s9, s9, s60
	v_lshrrev_b32_e32 v4, 1, v98
	s_mul_hi_u32 s4, s17, s16
	s_ashr_i32 s16, s34, 31
	s_ashr_i32 s15, s15, 31
	s_add_i32 s6, s6, s9
	s_mul_i32 s8, s8, s60
	v_lshl_add_u32 v5, v99, 4, v4
	v_lshrrev_b32_e32 v4, 2, v98
	s_add_u32 s8, s38, s8
	v_lshl_add_u32 v6, v99, 3, v4
	v_lshlrev_b32_e32 v4, 7, v98
	s_addc_u32 s6, s39, s6
	s_xor_b32 s9, s16, s15
	s_mul_i32 s15, s4, s14
	v_lshl_add_u32 v1, v99, 5, v98
	v_add_u32_e32 v110, 0x1c00, v4
	v_add_u32_e32 v112, 0x1c60, v4
	v_and_b32_e32 v4, 4, v68
	s_sub_i32 s15, s17, s15
	v_cmp_gt_u32_e32 vcc, 32, v1
	v_mul_lo_u32 v74, s42, v1
	v_lshlrev_b32_e32 v1, 2, v4
	s_add_i32 s16, s4, 1
	s_sub_i32 s17, s15, s14
	v_lshl_or_b32 v7, v5, 7, v1
	v_and_b32_e32 v8, 12, v68
	s_cmp_ge_u32 s15, s14
	v_add_u32_e32 v113, 0x1c40, v7
	v_lshlrev_b32_e32 v7, 2, v8
	s_cselect_b32 s4, s16, s4
	v_lshl_or_b32 v9, v6, 7, v7
	s_cselect_b32 s15, s17, s15
	s_add_i32 s16, s4, 1
	v_add_u32_e32 v114, 0x1c00, v9
	v_mul_hi_u32 v9, s52, v2
	s_cmp_ge_u32 s15, s14
	v_add_u32_e32 v9, v2, v9
	s_cselect_b32 s4, s16, s4
	v_lshrrev_b32_e32 v9, s53, v9
	s_load_dwordx2 s[12:13], s[0:1], 0xa8
	s_xor_b32 s4, s4, s9
	v_mul_lo_u32 v9, v9, s54
	s_sub_i32 s4, s4, s9
	v_sub_u32_e32 v9, v2, v9
	v_add_u32_e32 v2, 1, v2
	s_mul_i32 s7, s4, s7
	v_mul_lo_u32 v115, v9, s10
	v_mul_hi_u32 v9, s52, v2
	s_ashr_i32 s9, s7, 31
	v_add_u32_e32 v9, v2, v9
	s_add_u32 s43, s8, s7
	v_lshrrev_b32_e32 v9, s53, v9
	s_addc_u32 s46, s6, s9
	s_waitcnt lgkmcnt(0)
	s_mul_hi_u32 s6, s12, s60
	s_mul_i32 s5, s12, s5
	v_mul_lo_u32 v9, v9, s54
	s_add_i32 s5, s6, s5
	s_mul_i32 s6, s13, s60
	v_sub_u32_e32 v2, v2, v9
	s_add_i32 s5, s5, s6
	s_mul_i32 s6, s12, s60
	v_mul_lo_u32 v116, v2, s10
	v_mov_b32_e32 v2, 0x2c40
	s_add_u32 s6, s40, s6
	s_mul_i32 s4, s4, s11
	v_lshl_add_u32 v117, v99, 8, v2
	v_lshrrev_b32_e32 v2, 3, v98
	s_addc_u32 s5, s41, s5
	s_ashr_i32 s7, s4, 31
	v_add_u32_e32 v2, v2, v3
	v_mul_u32_u24_e32 v3, 0xe0, v5
	s_add_u32 s47, s6, s4
	v_or_b32_e32 v1, v3, v1
	s_addc_u32 s57, s5, s7
	v_add_u32_e32 v118, 0x1cc0, v1
	v_mul_u32_u24_e32 v1, 0xe0, v6
	s_movk_i32 s15, 0x1c80
	v_and_b32_e32 v86, 28, v68
	s_movk_i32 s14, 0x1c00
	v_mul_lo_u32 v76, s42, v5
	v_mov_b32_e32 v79, 0
	v_mul_lo_u32 v80, s42, v6
	v_mul_lo_u32 v82, s35, v5
	v_add3_u32 v119, v1, v7, s15
	v_mul_lo_u32 v84, s35, v6
	v_mul_u32_u24_e32 v1, 0xe0, v2
	v_lshlrev_b32_e32 v3, 2, v86
	v_mul_lo_u32 v88, s35, v2
	s_add_u32 s36, s0, 0xd0
	v_cmp_gt_u32_e64 s[4:5], 32, v5
	v_cmp_gt_u32_e64 s[6:7], 32, v6
	v_mul_u32_u24_e32 v111, 0x380, v99
	v_ashrrev_i32_e32 v75, 31, v74
	v_ashrrev_i32_e32 v77, 31, v76
	v_ashrrev_i32_e32 v81, 31, v80
	v_cmp_gt_u32_e64 s[8:9], 16, v5
	v_cmp_gt_u32_e64 s[10:11], 16, v6
	;; [unrolled: 1-line block ×3, first 2 shown]
	v_ashrrev_i32_e32 v83, 31, v82
	v_ashrrev_i32_e32 v85, 31, v84
	v_add3_u32 v120, v1, v3, s14
	v_ashrrev_i32_e32 v89, 31, v88
	s_addc_u32 s37, s1, 0
	v_mov_b32_e32 v6, 0xfeffffff
	s_mov_b32 s52, 0x3fb8aa3b
	s_mov_b32 s53, 0xc2ce8ed0
	;; [unrolled: 1-line block ×4, first 2 shown]
	v_lshlrev_b32_e32 v78, 2, v4
	v_lshlrev_b32_e32 v90, 2, v8
	v_mbcnt_hi_u32_b32 v107, -1, v0
	v_mov_b32_e32 v121, 0x7f800000
	v_mov_b32_e32 v102, v79
	;; [unrolled: 1-line block ×16, first 2 shown]
.LBB37_45:                              ; =>This Inner Loop Header: Depth=1
	s_mul_hi_i32 s15, s2, s42
	s_mul_i32 s14, s2, s42
	s_lshl_b64 s[14:15], s[14:15], 2
	s_add_u32 s14, s43, s14
	s_addc_u32 s15, s46, s15
	v_lshl_add_u64 v[4:5], v[74:75], 2, s[14:15]
	s_and_saveexec_b64 s[16:17], vcc
	s_cbranch_execnz .LBB37_63
; %bb.46:                               ;   in Loop: Header=BB37_45 Depth=1
	s_or_b64 exec, exec, s[16:17]
	v_lshl_add_u64 v[0:1], v[76:77], 2, s[14:15]
	s_and_saveexec_b64 s[16:17], s[4:5]
	s_cbranch_execnz .LBB37_64
.LBB37_47:                              ;   in Loop: Header=BB37_45 Depth=1
	s_or_b64 exec, exec, s[16:17]
	v_lshl_add_u64 v[2:3], v[80:81], 2, s[14:15]
	s_and_saveexec_b64 s[14:15], s[6:7]
	s_cbranch_execz .LBB37_49
.LBB37_48:                              ;   in Loop: Header=BB37_45 Depth=1
	v_mov_b32_e32 v91, v79
	v_lshl_add_u64 v[10:11], v[2:3], 0, v[90:91]
	global_load_dwordx4 v[10:13], v[10:11], off
	s_waitcnt vmcnt(0)
	ds_write_b128 v114, v[10:13]
.LBB37_49:                              ;   in Loop: Header=BB37_45 Depth=1
	s_or_b64 exec, exec, s[14:15]
	s_waitcnt lgkmcnt(0)
	s_barrier
	ds_read_b128 v[14:17], v110
	ds_read_b128 v[18:21], v111
	ds_read_b128 v[22:25], v111 offset:224
	ds_read_b128 v[26:29], v111 offset:448
	;; [unrolled: 1-line block ×3, first 2 shown]
	v_mov_b32_e32 v10, 0
	s_waitcnt lgkmcnt(3)
	;;#ASMSTART
	v_dot2_f32_f16 v10, v14, v18, v10
	;;#ASMEND
	v_mov_b32_e32 v11, 0
	;;#ASMSTART
	v_dot2_f32_f16 v10, v15, v19, v10
	;;#ASMEND
	v_mov_b32_e32 v12, 0
	;; [unrolled: 4-line block ×3, first 2 shown]
	;;#ASMSTART
	v_dot2_f32_f16 v10, v17, v21, v10
	;;#ASMEND
	s_waitcnt lgkmcnt(2)
	;;#ASMSTART
	v_dot2_f32_f16 v11, v14, v22, v11
	;;#ASMEND
	s_nop 0
	;;#ASMSTART
	v_dot2_f32_f16 v11, v15, v23, v11
	;;#ASMEND
	s_nop 0
	;;#ASMSTART
	v_dot2_f32_f16 v11, v16, v24, v11
	;;#ASMEND
	s_nop 0
	;;#ASMSTART
	v_dot2_f32_f16 v11, v17, v25, v11
	;;#ASMEND
	s_waitcnt lgkmcnt(1)
	;;#ASMSTART
	v_dot2_f32_f16 v12, v14, v26, v12
	;;#ASMEND
	s_nop 0
	;;#ASMSTART
	v_dot2_f32_f16 v12, v15, v27, v12
	;;#ASMEND
	s_nop 0
	;;#ASMSTART
	v_dot2_f32_f16 v12, v16, v28, v12
	;;#ASMEND
	s_nop 0
	;; [unrolled: 16-line block ×3, first 2 shown]
	;;#ASMSTART
	v_dot2_f32_f16 v13, v17, v33, v13
	;;#ASMEND
	ds_read_b128 v[14:17], v110 offset:16
	ds_read_b128 v[18:21], v111 offset:16
	;; [unrolled: 1-line block ×5, first 2 shown]
	s_waitcnt lgkmcnt(3)
	;;#ASMSTART
	v_dot2_f32_f16 v10, v14, v18, v10
	;;#ASMEND
	s_nop 0
	;;#ASMSTART
	v_dot2_f32_f16 v10, v15, v19, v10
	;;#ASMEND
	s_nop 0
	;;#ASMSTART
	v_dot2_f32_f16 v10, v16, v20, v10
	;;#ASMEND
	s_nop 0
	;;#ASMSTART
	v_dot2_f32_f16 v10, v17, v21, v10
	;;#ASMEND
	s_waitcnt lgkmcnt(2)
	;;#ASMSTART
	v_dot2_f32_f16 v11, v14, v22, v11
	;;#ASMEND
	s_nop 0
	;;#ASMSTART
	v_dot2_f32_f16 v11, v15, v23, v11
	;;#ASMEND
	s_nop 0
	;;#ASMSTART
	v_dot2_f32_f16 v11, v16, v24, v11
	;;#ASMEND
	s_nop 0
	;;#ASMSTART
	v_dot2_f32_f16 v11, v17, v25, v11
	;;#ASMEND
	;; [unrolled: 16-line block ×4, first 2 shown]
	ds_read_b128 v[14:17], v110 offset:32
	ds_read_b128 v[18:21], v111 offset:32
	;; [unrolled: 1-line block ×5, first 2 shown]
	s_waitcnt lgkmcnt(3)
	;;#ASMSTART
	v_dot2_f32_f16 v10, v14, v18, v10
	;;#ASMEND
	s_nop 0
	;;#ASMSTART
	v_dot2_f32_f16 v10, v15, v19, v10
	;;#ASMEND
	s_nop 0
	;;#ASMSTART
	v_dot2_f32_f16 v10, v16, v20, v10
	;;#ASMEND
	s_nop 0
	;;#ASMSTART
	v_dot2_f32_f16 v10, v17, v21, v10
	;;#ASMEND
	s_waitcnt lgkmcnt(2)
	;;#ASMSTART
	v_dot2_f32_f16 v11, v14, v22, v11
	;;#ASMEND
	s_nop 0
	;;#ASMSTART
	v_dot2_f32_f16 v11, v15, v23, v11
	;;#ASMEND
	s_nop 0
	;;#ASMSTART
	v_dot2_f32_f16 v11, v16, v24, v11
	;;#ASMEND
	s_nop 0
	;;#ASMSTART
	v_dot2_f32_f16 v11, v17, v25, v11
	;;#ASMEND
	;; [unrolled: 16-line block ×4, first 2 shown]
	ds_read_b128 v[14:17], v110 offset:48
	ds_read_b128 v[18:21], v111 offset:48
	;; [unrolled: 1-line block ×5, first 2 shown]
	s_waitcnt lgkmcnt(3)
	;;#ASMSTART
	v_dot2_f32_f16 v10, v14, v18, v10
	;;#ASMEND
	s_nop 0
	;;#ASMSTART
	v_dot2_f32_f16 v10, v15, v19, v10
	;;#ASMEND
	s_nop 0
	;;#ASMSTART
	v_dot2_f32_f16 v10, v16, v20, v10
	;;#ASMEND
	s_nop 0
	;;#ASMSTART
	v_dot2_f32_f16 v10, v17, v21, v10
	;;#ASMEND
	s_waitcnt lgkmcnt(2)
	;;#ASMSTART
	v_dot2_f32_f16 v11, v14, v22, v11
	;;#ASMEND
	s_nop 0
	;;#ASMSTART
	v_dot2_f32_f16 v11, v15, v23, v11
	;;#ASMEND
	s_nop 0
	;;#ASMSTART
	v_dot2_f32_f16 v11, v16, v24, v11
	;;#ASMEND
	s_nop 0
	;;#ASMSTART
	v_dot2_f32_f16 v11, v17, v25, v11
	;;#ASMEND
	;; [unrolled: 16-line block ×4, first 2 shown]
	ds_read_b128 v[14:17], v110 offset:64
	ds_read_b128 v[18:21], v111 offset:64
	;; [unrolled: 1-line block ×5, first 2 shown]
	s_waitcnt lgkmcnt(3)
	;;#ASMSTART
	v_dot2_f32_f16 v10, v14, v18, v10
	;;#ASMEND
	s_nop 0
	;;#ASMSTART
	v_dot2_f32_f16 v10, v15, v19, v10
	;;#ASMEND
	s_nop 0
	;;#ASMSTART
	v_dot2_f32_f16 v10, v16, v20, v10
	;;#ASMEND
	s_nop 0
	;;#ASMSTART
	v_dot2_f32_f16 v10, v17, v21, v10
	;;#ASMEND
	s_waitcnt lgkmcnt(2)
	;;#ASMSTART
	v_dot2_f32_f16 v11, v14, v22, v11
	;;#ASMEND
	s_nop 0
	;;#ASMSTART
	v_dot2_f32_f16 v11, v15, v23, v11
	;;#ASMEND
	s_nop 0
	;;#ASMSTART
	v_dot2_f32_f16 v11, v16, v24, v11
	;;#ASMEND
	s_nop 0
	;;#ASMSTART
	v_dot2_f32_f16 v11, v17, v25, v11
	;;#ASMEND
	s_waitcnt lgkmcnt(1)
	;;#ASMSTART
	v_dot2_f32_f16 v12, v14, v26, v12
	;;#ASMEND
	s_nop 0
	;;#ASMSTART
	v_dot2_f32_f16 v12, v15, v27, v12
	;;#ASMEND
	s_nop 0
	;;#ASMSTART
	v_dot2_f32_f16 v12, v16, v28, v12
	;;#ASMEND
	s_nop 0
	;;#ASMSTART
	v_dot2_f32_f16 v12, v17, v29, v12
	;;#ASMEND
	s_waitcnt lgkmcnt(0)
	;;#ASMSTART
	v_dot2_f32_f16 v13, v14, v30, v13
	;;#ASMEND
	s_nop 0
	;;#ASMSTART
	v_dot2_f32_f16 v13, v15, v31, v13
	;;#ASMEND
	s_nop 0
	;;#ASMSTART
	v_dot2_f32_f16 v13, v16, v32, v13
	;;#ASMEND
	s_nop 0
	;;#ASMSTART
	v_dot2_f32_f16 v13, v17, v33, v13
	;;#ASMEND
	ds_read_b128 v[14:17], v110 offset:80
	ds_read_b128 v[18:21], v111 offset:80
	;; [unrolled: 1-line block ×5, first 2 shown]
	s_waitcnt lgkmcnt(3)
	;;#ASMSTART
	v_dot2_f32_f16 v10, v14, v18, v10
	;;#ASMEND
	s_nop 0
	;;#ASMSTART
	v_dot2_f32_f16 v10, v15, v19, v10
	;;#ASMEND
	s_nop 0
	;;#ASMSTART
	v_dot2_f32_f16 v10, v16, v20, v10
	;;#ASMEND
	s_nop 0
	;;#ASMSTART
	v_dot2_f32_f16 v10, v17, v21, v10
	;;#ASMEND
	s_waitcnt lgkmcnt(2)
	;;#ASMSTART
	v_dot2_f32_f16 v11, v14, v22, v11
	;;#ASMEND
	s_nop 0
	;;#ASMSTART
	v_dot2_f32_f16 v11, v15, v23, v11
	;;#ASMEND
	s_nop 0
	;;#ASMSTART
	v_dot2_f32_f16 v11, v16, v24, v11
	;;#ASMEND
	s_nop 0
	;;#ASMSTART
	v_dot2_f32_f16 v11, v17, v25, v11
	;;#ASMEND
	;; [unrolled: 16-line block ×4, first 2 shown]
	ds_read_b128 v[14:17], v110 offset:96
	ds_read_b128 v[18:21], v111 offset:96
	ds_read_b128 v[22:25], v111 offset:320
	ds_read_b128 v[26:29], v111 offset:544
	ds_read_b128 v[30:33], v111 offset:768
	s_waitcnt lgkmcnt(3)
	;;#ASMSTART
	v_dot2_f32_f16 v10, v14, v18, v10
	;;#ASMEND
	s_nop 0
	;;#ASMSTART
	v_dot2_f32_f16 v10, v15, v19, v10
	;;#ASMEND
	s_nop 0
	;;#ASMSTART
	v_dot2_f32_f16 v10, v16, v20, v10
	;;#ASMEND
	s_nop 0
	;;#ASMSTART
	v_dot2_f32_f16 v10, v17, v21, v10
	;;#ASMEND
	s_waitcnt lgkmcnt(2)
	;;#ASMSTART
	v_dot2_f32_f16 v11, v14, v22, v11
	;;#ASMEND
	s_nop 0
	;;#ASMSTART
	v_dot2_f32_f16 v11, v15, v23, v11
	;;#ASMEND
	s_nop 0
	;;#ASMSTART
	v_dot2_f32_f16 v11, v16, v24, v11
	;;#ASMEND
	s_nop 0
	;;#ASMSTART
	v_dot2_f32_f16 v11, v17, v25, v11
	;;#ASMEND
	;; [unrolled: 16-line block ×4, first 2 shown]
	s_barrier
	s_and_saveexec_b64 s[14:15], vcc
	s_cbranch_execnz .LBB37_65
; %bb.50:                               ;   in Loop: Header=BB37_45 Depth=1
	s_or_b64 exec, exec, s[14:15]
	s_and_saveexec_b64 s[14:15], s[4:5]
	s_cbranch_execnz .LBB37_66
.LBB37_51:                              ;   in Loop: Header=BB37_45 Depth=1
	s_or_b64 exec, exec, s[14:15]
	s_and_saveexec_b64 s[14:15], s[6:7]
	s_cbranch_execz .LBB37_53
.LBB37_52:                              ;   in Loop: Header=BB37_45 Depth=1
	v_mov_b32_e32 v91, v79
	v_lshl_add_u64 v[0:1], v[2:3], 0, v[90:91]
	global_load_dwordx4 v[0:3], v[0:1], off offset:112
	s_waitcnt vmcnt(0)
	ds_write_b128 v114, v[0:3]
.LBB37_53:                              ;   in Loop: Header=BB37_45 Depth=1
	s_or_b64 exec, exec, s[14:15]
	s_waitcnt lgkmcnt(0)
	s_barrier
	ds_read_b128 v[0:3], v110
	ds_read_b128 v[14:17], v111 offset:112
	ds_read_b128 v[18:21], v111 offset:336
	;; [unrolled: 1-line block ×4, first 2 shown]
	s_waitcnt lgkmcnt(3)
	;;#ASMSTART
	v_dot2_f32_f16 v10, v0, v14, v10
	;;#ASMEND
	s_nop 0
	;;#ASMSTART
	v_dot2_f32_f16 v10, v1, v15, v10
	;;#ASMEND
	v_xor_b32_e32 v125, 16, v107
	;;#ASMSTART
	v_dot2_f32_f16 v10, v2, v16, v10
	;;#ASMEND
	v_max_f32_e32 v4, v9, v9
	;;#ASMSTART
	v_dot2_f32_f16 v10, v3, v17, v10
	;;#ASMEND
	s_waitcnt lgkmcnt(2)
	;;#ASMSTART
	v_dot2_f32_f16 v11, v0, v18, v11
	;;#ASMEND
	v_max_f32_e32 v5, v8, v8
	;;#ASMSTART
	v_dot2_f32_f16 v11, v1, v19, v11
	;;#ASMEND
	v_xor_b32_e32 v126, 8, v107
	;;#ASMSTART
	v_dot2_f32_f16 v11, v2, v20, v11
	;;#ASMEND
	v_xor_b32_e32 v127, 4, v107
	;;#ASMSTART
	v_dot2_f32_f16 v11, v3, v21, v11
	;;#ASMEND
	s_waitcnt lgkmcnt(1)
	;;#ASMSTART
	v_dot2_f32_f16 v12, v0, v22, v12
	;;#ASMEND
	v_xor_b32_e32 v124, 2, v107
	;;#ASMSTART
	v_dot2_f32_f16 v12, v1, v23, v12
	;;#ASMEND
	v_xor_b32_e32 v122, 1, v107
	;;#ASMSTART
	v_dot2_f32_f16 v12, v2, v24, v12
	;;#ASMEND
	s_nop 0
	;;#ASMSTART
	v_dot2_f32_f16 v12, v3, v25, v12
	;;#ASMEND
	s_waitcnt lgkmcnt(0)
	;;#ASMSTART
	v_dot2_f32_f16 v13, v0, v26, v13
	;;#ASMEND
	s_nop 0
	;;#ASMSTART
	v_dot2_f32_f16 v13, v1, v27, v13
	;;#ASMEND
	s_nop 0
	;; [unrolled: 4-line block ×3, first 2 shown]
	;;#ASMSTART
	v_dot2_f32_f16 v13, v3, v29, v13
	;;#ASMEND
	ds_read_b128 v[0:3], v110 offset:16
	ds_read_b128 v[14:17], v111 offset:128
	;; [unrolled: 1-line block ×5, first 2 shown]
	s_waitcnt lgkmcnt(3)
	;;#ASMSTART
	v_dot2_f32_f16 v10, v0, v14, v10
	;;#ASMEND
	s_nop 0
	;;#ASMSTART
	v_dot2_f32_f16 v10, v1, v15, v10
	;;#ASMEND
	s_nop 0
	;;#ASMSTART
	v_dot2_f32_f16 v10, v2, v16, v10
	;;#ASMEND
	s_nop 0
	;;#ASMSTART
	v_dot2_f32_f16 v10, v3, v17, v10
	;;#ASMEND
	s_waitcnt lgkmcnt(2)
	;;#ASMSTART
	v_dot2_f32_f16 v11, v0, v18, v11
	;;#ASMEND
	s_nop 0
	;;#ASMSTART
	v_dot2_f32_f16 v11, v1, v19, v11
	;;#ASMEND
	s_nop 0
	;;#ASMSTART
	v_dot2_f32_f16 v11, v2, v20, v11
	;;#ASMEND
	s_nop 0
	;;#ASMSTART
	v_dot2_f32_f16 v11, v3, v21, v11
	;;#ASMEND
	s_waitcnt lgkmcnt(1)
	;;#ASMSTART
	v_dot2_f32_f16 v12, v0, v22, v12
	;;#ASMEND
	s_nop 0
	;;#ASMSTART
	v_dot2_f32_f16 v12, v1, v23, v12
	;;#ASMEND
	s_nop 0
	;;#ASMSTART
	v_dot2_f32_f16 v12, v2, v24, v12
	;;#ASMEND
	s_nop 0
	;;#ASMSTART
	v_dot2_f32_f16 v12, v3, v25, v12
	;;#ASMEND
	s_waitcnt lgkmcnt(0)
	;;#ASMSTART
	v_dot2_f32_f16 v13, v0, v26, v13
	;;#ASMEND
	s_nop 0
	;;#ASMSTART
	v_dot2_f32_f16 v13, v1, v27, v13
	;;#ASMEND
	s_nop 0
	;;#ASMSTART
	v_dot2_f32_f16 v13, v2, v28, v13
	;;#ASMEND
	s_nop 0
	;;#ASMSTART
	v_dot2_f32_f16 v13, v3, v29, v13
	;;#ASMEND
	ds_read_b128 v[0:3], v110 offset:32
	ds_read_b128 v[14:17], v111 offset:144
	;; [unrolled: 1-line block ×5, first 2 shown]
	s_waitcnt lgkmcnt(3)
	;;#ASMSTART
	v_dot2_f32_f16 v10, v0, v14, v10
	;;#ASMEND
	s_nop 0
	;;#ASMSTART
	v_dot2_f32_f16 v10, v1, v15, v10
	;;#ASMEND
	s_nop 0
	;;#ASMSTART
	v_dot2_f32_f16 v10, v2, v16, v10
	;;#ASMEND
	s_nop 0
	;;#ASMSTART
	v_dot2_f32_f16 v10, v3, v17, v10
	;;#ASMEND
	s_waitcnt lgkmcnt(2)
	;;#ASMSTART
	v_dot2_f32_f16 v11, v0, v18, v11
	;;#ASMEND
	s_nop 0
	;;#ASMSTART
	v_dot2_f32_f16 v11, v1, v19, v11
	;;#ASMEND
	s_nop 0
	;;#ASMSTART
	v_dot2_f32_f16 v11, v2, v20, v11
	;;#ASMEND
	s_nop 0
	;;#ASMSTART
	v_dot2_f32_f16 v11, v3, v21, v11
	;;#ASMEND
	s_waitcnt lgkmcnt(1)
	;;#ASMSTART
	v_dot2_f32_f16 v12, v0, v22, v12
	;;#ASMEND
	s_nop 0
	;;#ASMSTART
	v_dot2_f32_f16 v12, v1, v23, v12
	;;#ASMEND
	s_nop 0
	;;#ASMSTART
	v_dot2_f32_f16 v12, v2, v24, v12
	;;#ASMEND
	s_nop 0
	;;#ASMSTART
	v_dot2_f32_f16 v12, v3, v25, v12
	;;#ASMEND
	s_waitcnt lgkmcnt(0)
	;;#ASMSTART
	v_dot2_f32_f16 v13, v0, v26, v13
	;;#ASMEND
	s_nop 0
	;;#ASMSTART
	v_dot2_f32_f16 v13, v1, v27, v13
	;;#ASMEND
	s_nop 0
	;;#ASMSTART
	v_dot2_f32_f16 v13, v2, v28, v13
	;;#ASMEND
	s_nop 0
	;;#ASMSTART
	v_dot2_f32_f16 v13, v3, v29, v13
	;;#ASMEND
	ds_read_b128 v[0:3], v110 offset:48
	ds_read_b128 v[14:17], v111 offset:160
	;; [unrolled: 1-line block ×5, first 2 shown]
	s_waitcnt lgkmcnt(3)
	;;#ASMSTART
	v_dot2_f32_f16 v10, v0, v14, v10
	;;#ASMEND
	s_nop 0
	;;#ASMSTART
	v_dot2_f32_f16 v10, v1, v15, v10
	;;#ASMEND
	s_nop 0
	;;#ASMSTART
	v_dot2_f32_f16 v10, v2, v16, v10
	;;#ASMEND
	s_nop 0
	;;#ASMSTART
	v_dot2_f32_f16 v10, v3, v17, v10
	;;#ASMEND
	s_waitcnt lgkmcnt(2)
	;;#ASMSTART
	v_dot2_f32_f16 v11, v0, v18, v11
	;;#ASMEND
	s_nop 0
	;;#ASMSTART
	v_dot2_f32_f16 v11, v1, v19, v11
	;;#ASMEND
	s_nop 0
	;;#ASMSTART
	v_dot2_f32_f16 v11, v2, v20, v11
	;;#ASMEND
	s_nop 0
	;;#ASMSTART
	v_dot2_f32_f16 v11, v3, v21, v11
	;;#ASMEND
	;; [unrolled: 16-line block ×4, first 2 shown]
	ds_read_b128 v[0:3], v110 offset:64
	ds_read_b128 v[14:17], v111 offset:176
	;; [unrolled: 1-line block ×5, first 2 shown]
	s_waitcnt lgkmcnt(3)
	;;#ASMSTART
	v_dot2_f32_f16 v10, v0, v14, v10
	;;#ASMEND
	s_nop 0
	;;#ASMSTART
	v_dot2_f32_f16 v10, v1, v15, v10
	;;#ASMEND
	s_nop 0
	;;#ASMSTART
	v_dot2_f32_f16 v10, v2, v16, v10
	;;#ASMEND
	s_nop 0
	;;#ASMSTART
	v_dot2_f32_f16 v10, v3, v17, v10
	;;#ASMEND
	s_waitcnt lgkmcnt(2)
	;;#ASMSTART
	v_dot2_f32_f16 v11, v0, v18, v11
	;;#ASMEND
	s_nop 0
	;;#ASMSTART
	v_dot2_f32_f16 v11, v1, v19, v11
	;;#ASMEND
	s_nop 0
	;;#ASMSTART
	v_dot2_f32_f16 v11, v2, v20, v11
	;;#ASMEND
	s_nop 0
	;;#ASMSTART
	v_dot2_f32_f16 v11, v3, v21, v11
	;;#ASMEND
	;; [unrolled: 16-line block ×4, first 2 shown]
	ds_read_b128 v[0:3], v110 offset:80
	ds_read_b128 v[14:17], v111 offset:192
	;; [unrolled: 1-line block ×5, first 2 shown]
	s_waitcnt lgkmcnt(3)
	;;#ASMSTART
	v_dot2_f32_f16 v10, v0, v14, v10
	;;#ASMEND
	s_nop 0
	;;#ASMSTART
	v_dot2_f32_f16 v10, v1, v15, v10
	;;#ASMEND
	s_nop 0
	;;#ASMSTART
	v_dot2_f32_f16 v10, v2, v16, v10
	;;#ASMEND
	s_nop 0
	;;#ASMSTART
	v_dot2_f32_f16 v10, v3, v17, v10
	;;#ASMEND
	s_waitcnt lgkmcnt(2)
	;;#ASMSTART
	v_dot2_f32_f16 v11, v0, v18, v11
	;;#ASMEND
	s_nop 0
	;;#ASMSTART
	v_dot2_f32_f16 v11, v1, v19, v11
	;;#ASMEND
	s_nop 0
	;;#ASMSTART
	v_dot2_f32_f16 v11, v2, v20, v11
	;;#ASMEND
	s_nop 0
	;;#ASMSTART
	v_dot2_f32_f16 v11, v3, v21, v11
	;;#ASMEND
	;; [unrolled: 16-line block ×4, first 2 shown]
	ds_read_b128 v[0:3], v110 offset:96
	ds_read_b128 v[14:17], v111 offset:208
	;; [unrolled: 1-line block ×5, first 2 shown]
	s_waitcnt lgkmcnt(3)
	;;#ASMSTART
	v_dot2_f32_f16 v10, v0, v14, v10
	;;#ASMEND
	s_nop 0
	;;#ASMSTART
	v_dot2_f32_f16 v10, v1, v15, v10
	;;#ASMEND
	v_max_f32_e32 v14, v7, v7
	;;#ASMSTART
	v_dot2_f32_f16 v10, v2, v16, v10
	;;#ASMEND
	s_nop 0
	;;#ASMSTART
	v_dot2_f32_f16 v10, v3, v17, v10
	;;#ASMEND
	s_waitcnt lgkmcnt(2)
	;;#ASMSTART
	v_dot2_f32_f16 v11, v0, v18, v11
	;;#ASMEND
	s_nop 0
	;;#ASMSTART
	v_dot2_f32_f16 v11, v1, v19, v11
	;;#ASMEND
	s_nop 0
	;;#ASMSTART
	v_dot2_f32_f16 v11, v2, v20, v11
	;;#ASMEND
	s_nop 0
	;;#ASMSTART
	v_dot2_f32_f16 v11, v3, v21, v11
	;;#ASMEND
	s_waitcnt lgkmcnt(1)
	;;#ASMSTART
	v_dot2_f32_f16 v12, v0, v22, v12
	;;#ASMEND
	s_nop 0
	;;#ASMSTART
	v_dot2_f32_f16 v12, v1, v23, v12
	;;#ASMEND
	s_nop 0
	;; [unrolled: 16-line block ×3, first 2 shown]
	;;#ASMSTART
	v_dot2_f32_f16 v13, v2, v28, v13
	;;#ASMEND
	v_add_u32_e32 v2, s2, v98
	v_add_u32_e32 v0, v2, v115
	v_ashrrev_i32_e32 v1, 31, v0
	v_lshl_add_u64 v[0:1], v[0:1], 1, s[58:59]
	;;#ASMSTART
	v_dot2_f32_f16 v13, v3, v29, v13
	;;#ASMEND
	global_load_ushort v3, v[0:1], off
	v_add_u32_e32 v0, v2, v116
	v_ashrrev_i32_e32 v1, 31, v0
	v_lshl_add_u64 v[0:1], v[0:1], 1, s[58:59]
	global_load_ushort v0, v[0:1], off
	v_and_b32_e32 v1, 0x60, v107
	v_add_u32_e32 v123, 32, v1
	v_cmp_lt_i32_e64 s[14:15], v125, v123
	v_max_f32_e32 v2, v6, v6
	s_nop 0
	v_cndmask_b32_e64 v1, v107, v125, s[14:15]
	v_lshlrev_b32_e32 v1, 2, v1
	v_cmp_lt_i32_e64 s[14:15], v126, v123
	s_barrier
	s_nop 0
	v_cndmask_b32_e64 v15, v107, v126, s[14:15]
	v_lshlrev_b32_e32 v15, 2, v15
	v_cmp_lt_i32_e64 s[14:15], v127, v123
	s_waitcnt vmcnt(1)
	v_cvt_f32_f16_e32 v3, v3
	v_cndmask_b32_e64 v16, v107, v127, s[14:15]
	v_lshlrev_b32_e32 v16, 2, v16
	v_cmp_lt_i32_e64 s[14:15], v124, v123
	s_waitcnt vmcnt(0)
	v_cvt_f32_f16_e32 v0, v0
	v_add_f32_e32 v10, v10, v3
	v_add_f32_e32 v11, v11, v3
	;; [unrolled: 1-line block ×8, first 2 shown]
	v_max_f32_e32 v0, v2, v0
	v_max_f32_e32 v2, v4, v3
	;; [unrolled: 1-line block ×4, first 2 shown]
	ds_bpermute_b32 v5, v1, v0
	ds_bpermute_b32 v14, v1, v2
	;; [unrolled: 1-line block ×4, first 2 shown]
	v_cndmask_b32_e64 v17, v107, v124, s[14:15]
	s_waitcnt lgkmcnt(3)
	v_max_f32_e32 v5, v5, v5
	v_max_f32_e32 v0, v0, v5
	s_waitcnt lgkmcnt(2)
	v_max_f32_e32 v14, v14, v14
	s_waitcnt lgkmcnt(0)
	v_max_f32_e32 v1, v1, v1
	v_max_f32_e32 v1, v4, v1
	ds_bpermute_b32 v4, v15, v0
	v_max_f32_e32 v2, v2, v14
	ds_bpermute_b32 v5, v15, v2
	v_max_f32_e32 v19, v19, v19
	v_max_f32_e32 v3, v3, v19
	s_waitcnt lgkmcnt(1)
	v_max_f32_e32 v4, v4, v4
	v_max_f32_e32 v0, v0, v4
	ds_bpermute_b32 v4, v16, v0
	s_waitcnt lgkmcnt(1)
	v_max_f32_e32 v5, v5, v5
	v_max_f32_e32 v2, v2, v5
	v_lshlrev_b32_e32 v17, 2, v17
	ds_bpermute_b32 v14, v15, v3
	s_waitcnt lgkmcnt(1)
	v_max_f32_e32 v4, v4, v4
	ds_bpermute_b32 v5, v16, v2
	v_max_f32_e32 v0, v0, v4
	ds_bpermute_b32 v15, v15, v1
	ds_bpermute_b32 v4, v17, v0
	v_cmp_lt_i32_e64 s[14:15], v122, v123
	s_waitcnt lgkmcnt(3)
	v_max_f32_e32 v14, v14, v14
	s_waitcnt lgkmcnt(2)
	v_max_f32_e32 v5, v5, v5
	v_cndmask_b32_e64 v18, v107, v122, s[14:15]
	s_waitcnt lgkmcnt(1)
	v_max_f32_e32 v15, v15, v15
	v_max_f32_e32 v3, v3, v14
	v_max_f32_e32 v2, v2, v5
	s_waitcnt lgkmcnt(0)
	v_max_f32_e32 v4, v4, v4
	v_lshlrev_b32_e32 v18, 2, v18
	v_max_f32_e32 v1, v1, v15
	ds_bpermute_b32 v14, v16, v3
	ds_bpermute_b32 v5, v17, v2
	v_max_f32_e32 v0, v0, v4
	ds_bpermute_b32 v4, v18, v0
	ds_bpermute_b32 v15, v16, v1
	s_waitcnt lgkmcnt(3)
	v_max_f32_e32 v14, v14, v14
	s_waitcnt lgkmcnt(2)
	v_max_f32_e32 v5, v5, v5
	v_max_f32_e32 v2, v2, v5
	s_waitcnt lgkmcnt(1)
	v_max_f32_e32 v4, v4, v4
	;; [unrolled: 3-line block ×3, first 2 shown]
	v_max_f32_e32 v0, v0, v4
	ds_bpermute_b32 v4, v17, v3
	v_max_f32_e32 v1, v1, v5
	ds_bpermute_b32 v5, v17, v1
	ds_bpermute_b32 v14, v18, v2
	s_waitcnt lgkmcnt(2)
	v_max_f32_e32 v4, v4, v4
	v_max_f32_e32 v3, v3, v4
	s_waitcnt lgkmcnt(1)
	v_max_f32_e32 v5, v5, v5
	ds_bpermute_b32 v4, v18, v3
	v_max_f32_e32 v5, v1, v5
	ds_bpermute_b32 v15, v18, v5
	s_waitcnt lgkmcnt(2)
	v_max_f32_e32 v1, v14, v14
	v_max_f32_e32 v1, v2, v1
	s_waitcnt lgkmcnt(1)
	v_max_f32_e32 v2, v4, v4
	v_max_f32_e32 v2, v3, v2
	s_waitcnt lgkmcnt(0)
	v_max_f32_e32 v3, v15, v15
	v_sub_f32_e32 v4, v10, v0
	v_max_f32_e32 v3, v5, v3
	v_mul_f32_e32 v5, 0x3fb8aa3b, v4
	v_fma_f32 v10, v4, s52, -v5
	v_rndne_f32_e32 v14, v5
	v_fmac_f32_e32 v10, 0x32a5705f, v4
	v_sub_f32_e32 v5, v5, v14
	v_add_f32_e32 v5, v5, v10
	v_exp_f32_e32 v5, v5
	v_cvt_i32_f32_e32 v10, v14
	v_cmp_ngt_f32_e64 s[14:15], s53, v4
	v_ldexp_f32 v5, v5, v10
	v_sub_f32_e32 v10, v11, v1
	v_mul_f32_e32 v11, 0x3fb8aa3b, v10
	v_fma_f32 v14, v10, s52, -v11
	v_rndne_f32_e32 v15, v11
	v_fmac_f32_e32 v14, 0x32a5705f, v10
	v_sub_f32_e32 v11, v11, v15
	v_add_f32_e32 v11, v11, v14
	v_exp_f32_e32 v11, v11
	v_cvt_i32_f32_e32 v14, v15
	v_cndmask_b32_e64 v5, 0, v5, s[14:15]
	v_cmp_nlt_f32_e64 s[14:15], s61, v4
	v_ldexp_f32 v4, v11, v14
	s_nop 0
	v_cndmask_b32_e64 v92, v121, v5, s[14:15]
	v_sub_f32_e32 v5, v12, v2
	v_mul_f32_e32 v11, 0x3fb8aa3b, v5
	v_fma_f32 v12, v5, s52, -v11
	v_rndne_f32_e32 v14, v11
	v_fmac_f32_e32 v12, 0x32a5705f, v5
	v_sub_f32_e32 v11, v11, v14
	v_add_f32_e32 v11, v11, v12
	v_exp_f32_e32 v11, v11
	v_cvt_i32_f32_e32 v12, v14
	v_cmp_ngt_f32_e64 s[14:15], s53, v10
	s_nop 1
	v_cndmask_b32_e64 v4, 0, v4, s[14:15]
	v_cmp_nlt_f32_e64 s[14:15], s61, v10
	v_sub_f32_e32 v10, v13, v3
	s_nop 0
	v_cndmask_b32_e64 v93, v121, v4, s[14:15]
	v_ldexp_f32 v4, v11, v12
	v_mul_f32_e32 v11, 0x3fb8aa3b, v10
	v_fma_f32 v12, v10, s52, -v11
	v_rndne_f32_e32 v13, v11
	v_fmac_f32_e32 v12, 0x32a5705f, v10
	v_sub_f32_e32 v11, v11, v13
	v_add_f32_e32 v11, v11, v12
	v_exp_f32_e32 v11, v11
	v_cvt_i32_f32_e32 v12, v13
	v_cmp_ngt_f32_e64 s[14:15], s53, v5
	s_nop 1
	v_cndmask_b32_e64 v4, 0, v4, s[14:15]
	v_cmp_nlt_f32_e64 s[14:15], s61, v5
	s_nop 1
	v_cndmask_b32_e64 v94, v121, v4, s[14:15]
	v_ldexp_f32 v4, v11, v12
	v_cmp_ngt_f32_e64 s[14:15], s53, v10
	s_nop 1
	v_cndmask_b32_e64 v4, 0, v4, s[14:15]
	v_cmp_nlt_f32_e64 s[14:15], s61, v10
	v_add_u32_e32 v10, v117, v100
	s_nop 0
	v_cndmask_b32_e64 v95, v121, v4, s[14:15]
	s_mul_hi_i32 s15, s2, s35
	s_mul_i32 s14, s2, s35
	s_lshl_b64 s[14:15], s[14:15], 2
	s_add_u32 s14, s47, s14
	v_cvt_pk_f16_f32 v5, v94, v95
	v_cvt_pk_f16_f32 v4, v92, v93
	s_addc_u32 s15, s57, s15
	ds_write_b64 v10, v[4:5]
	s_and_saveexec_b64 s[16:17], s[8:9]
	s_cbranch_execnz .LBB37_67
; %bb.54:                               ;   in Loop: Header=BB37_45 Depth=1
	s_or_b64 exec, exec, s[16:17]
	s_and_saveexec_b64 s[16:17], s[10:11]
	s_cbranch_execnz .LBB37_68
.LBB37_55:                              ;   in Loop: Header=BB37_45 Depth=1
	s_or_b64 exec, exec, s[16:17]
	v_lshlrev_b32_e32 v96, 2, v86
	s_and_saveexec_b64 s[16:17], s[12:13]
	s_cbranch_execz .LBB37_57
.LBB37_56:                              ;   in Loop: Header=BB37_45 Depth=1
	v_lshl_add_u64 v[4:5], v[88:89], 2, s[14:15]
	v_mov_b32_e32 v97, v79
	v_lshl_add_u64 v[4:5], v[4:5], 0, v[96:97]
	global_load_dwordx4 v[10:13], v[4:5], off
	s_waitcnt vmcnt(0)
	ds_write_b128 v120, v[10:13]
.LBB37_57:                              ;   in Loop: Header=BB37_45 Depth=1
	s_or_b64 exec, exec, s[16:17]
	v_add_u32_e32 v131, 0x1800, v100
	v_add_u32_e32 v130, 0x1c00, v100
	;; [unrolled: 1-line block ×3, first 2 shown]
	v_sub_f32_e32 v134, v9, v1
	v_sub_f32_e32 v133, v8, v2
	s_waitcnt lgkmcnt(0)
	s_barrier
	ds_read2_b64 v[32:35], v131 offset0:128 offset1:156
	ds_read_b128 v[64:67], v117
	ds_read_b128 v[60:63], v117 offset:16
	ds_read_b128 v[52:55], v117 offset:32
	;; [unrolled: 1-line block ×3, first 2 shown]
	ds_read2_b64 v[28:31], v131 offset0:184 offset1:212
	ds_read2_b64 v[24:27], v130 offset0:112 offset1:140
	ds_read2_b64 v[20:23], v129 offset0:40 offset1:68
	ds_read2_b64 v[16:19], v129 offset0:96 offset1:124
	ds_read2_b64 v[12:15], v129 offset0:152 offset1:180
	ds_read_b128 v[56:59], v117 offset:64
	ds_read_b128 v[48:51], v117 offset:80
	ds_read2_b64 v[8:11], v129 offset0:208 offset1:236
	v_add_u32_e32 v128, 0x2800, v100
	v_sub_f32_e32 v135, v6, v0
	v_sub_f32_e32 v132, v7, v3
	ds_read2_b64 v[4:7], v128 offset0:8 offset1:36
	ds_read_b128 v[44:47], v117 offset:96
	ds_read_b128 v[36:39], v117 offset:112
	s_or_b32 s38, s2, 16
	s_mul_hi_i32 s39, s38, s35
	s_mul_i32 s38, s38, s35
	s_lshl_b64 s[38:39], s[38:39], 2
	s_add_u32 s38, s47, s38
	v_cmp_ngt_f32_e64 s[26:27], s53, v135
	v_cmp_nlt_f32_e64 s[28:29], s61, v135
	v_cmp_ngt_f32_e64 s[22:23], s53, v134
	v_cmp_nlt_f32_e64 s[24:25], s61, v134
	;; [unrolled: 2-line block ×4, first 2 shown]
	s_addc_u32 s39, s57, s39
	s_waitcnt lgkmcnt(0)
	s_barrier
	s_and_saveexec_b64 s[40:41], s[8:9]
	s_cbranch_execnz .LBB37_69
; %bb.58:                               ;   in Loop: Header=BB37_45 Depth=1
	s_or_b64 exec, exec, s[40:41]
	s_and_saveexec_b64 s[40:41], s[10:11]
	s_cbranch_execnz .LBB37_70
.LBB37_59:                              ;   in Loop: Header=BB37_45 Depth=1
	s_or_b64 exec, exec, s[40:41]
	s_and_saveexec_b64 s[40:41], s[12:13]
	s_cbranch_execz .LBB37_61
.LBB37_60:                              ;   in Loop: Header=BB37_45 Depth=1
	v_lshl_add_u64 v[136:137], v[88:89], 2, s[38:39]
	v_mov_b32_e32 v97, v79
	v_lshl_add_u64 v[96:97], v[136:137], 0, v[96:97]
	global_load_dwordx4 v[136:139], v[96:97], off
	s_waitcnt vmcnt(0)
	ds_write_b128 v120, v[136:139]
.LBB37_61:                              ;   in Loop: Header=BB37_45 Depth=1
	s_or_b64 exec, exec, s[40:41]
	v_mul_f32_e32 v91, 0x3fb8aa3b, v135
	v_fma_f32 v96, v135, s52, -v91
	v_rndne_f32_e32 v97, v91
	v_fmac_f32_e32 v96, 0x32a5705f, v135
	v_sub_f32_e32 v91, v91, v97
	v_add_f32_e32 v91, v91, v96
	v_cvt_i32_f32_e32 v96, v97
	v_exp_f32_e32 v91, v91
	v_mul_u32_u24_sdwa v138, v65, s62 dst_sel:DWORD dst_unused:UNUSED_PAD src0_sel:WORD_0 src1_sel:DWORD
	v_mul_u32_u24_sdwa v65, v65, s62 dst_sel:DWORD dst_unused:UNUSED_PAD src0_sel:WORD_1 src1_sel:DWORD
	v_mul_u32_u24_sdwa v139, v66, s62 dst_sel:DWORD dst_unused:UNUSED_PAD src0_sel:WORD_0 src1_sel:DWORD
	v_ldexp_f32 v91, v91, v96
	v_mul_f32_e32 v96, 0x3fb8aa3b, v134
	v_fma_f32 v97, v134, s52, -v96
	v_fmac_f32_e32 v97, 0x32a5705f, v134
	v_rndne_f32_e32 v134, v96
	v_sub_f32_e32 v96, v96, v134
	v_add_f32_e32 v96, v96, v97
	v_exp_f32_e32 v97, v96
	v_cvt_i32_f32_e32 v134, v134
	v_cndmask_b32_e64 v91, 0, v91, s[26:27]
	v_cndmask_b32_e64 v96, v121, v91, s[28:29]
	v_cvt_f16_f32_e32 v91, v96
	v_ldexp_f32 v97, v97, v134
	v_mul_f32_e32 v134, 0x3fb8aa3b, v133
	v_fma_f32 v135, v133, s52, -v134
	v_fmac_f32_e32 v135, 0x32a5705f, v133
	v_rndne_f32_e32 v133, v134
	v_sub_f32_e32 v134, v134, v133
	v_add_f32_e32 v134, v134, v135
	v_exp_f32_e32 v134, v134
	v_cvt_i32_f32_e32 v133, v133
	v_cndmask_b32_e64 v97, 0, v97, s[22:23]
	v_cndmask_b32_e64 v97, v121, v97, s[24:25]
	v_cvt_f16_f32_e32 v135, v97
	;; [unrolled: 12-line block ×3, first 2 shown]
	v_ldexp_f32 v133, v134, v136
	v_cndmask_b32_e64 v133, 0, v133, s[14:15]
	v_cndmask_b32_e64 v133, v121, v133, s[16:17]
	v_cvt_f16_f32_e32 v134, v133
	v_mul_u32_u24_e32 v136, 0x10001, v137
	v_mul_u32_u24_sdwa v137, v64, s62 dst_sel:DWORD dst_unused:UNUSED_PAD src0_sel:WORD_0 src1_sel:DWORD
	v_mul_u32_u24_e32 v91, 0x10001, v91
	v_mul_u32_u24_e32 v134, 0x10001, v134
	v_mul_u32_u24_sdwa v64, v64, s62 dst_sel:DWORD dst_unused:UNUSED_PAD src0_sel:WORD_1 src1_sel:DWORD
	v_pk_mul_f16 v101, v101, v134
	v_pk_mul_f16 v102, v102, v134
	;; [unrolled: 1-line block ×3, first 2 shown]
	v_mul_u32_u24_e32 v135, 0x10001, v135
	v_pk_mul_f16 v109, v109, v91
	v_pk_fma_f16 v91, v108, v91, v134
	v_pk_mul_f16 v108, v32, v64
	v_pk_mul_f16 v106, v106, v135
	;; [unrolled: 1-line block ×3, first 2 shown]
	v_pk_fma_f16 v105, v105, v135, v108
	v_pk_mul_f16 v108, v32, v138
	v_mul_u32_u24_sdwa v66, v66, s62 dst_sel:DWORD dst_unused:UNUSED_PAD src0_sel:WORD_1 src1_sel:DWORD
	v_mul_u32_u24_sdwa v140, v67, s62 dst_sel:DWORD dst_unused:UNUSED_PAD src0_sel:WORD_0 src1_sel:DWORD
	v_mul_u32_u24_sdwa v67, v67, s62 dst_sel:DWORD dst_unused:UNUSED_PAD src0_sel:WORD_1 src1_sel:DWORD
	v_pk_fma_f16 v103, v103, v136, v108
	v_pk_fma_f16 v32, v32, v65, v101
	v_pk_fma_f16 v101, v33, v137, v109
	v_pk_fma_f16 v64, v33, v64, v106
	v_pk_fma_f16 v104, v33, v138, v104
	v_pk_fma_f16 v33, v33, v65, v102
	v_mul_u32_u24_sdwa v141, v60, s62 dst_sel:DWORD dst_unused:UNUSED_PAD src0_sel:WORD_0 src1_sel:DWORD
	v_mul_u32_u24_sdwa v60, v60, s62 dst_sel:DWORD dst_unused:UNUSED_PAD src0_sel:WORD_1 src1_sel:DWORD
	v_mul_u32_u24_sdwa v142, v61, s62 dst_sel:DWORD dst_unused:UNUSED_PAD src0_sel:WORD_0 src1_sel:DWORD
	v_mul_u32_u24_sdwa v61, v61, s62 dst_sel:DWORD dst_unused:UNUSED_PAD src0_sel:WORD_1 src1_sel:DWORD
	v_pk_fma_f16 v65, v34, v139, v91
	v_pk_fma_f16 v91, v34, v66, v105
	v_pk_fma_f16 v102, v34, v140, v103
	v_pk_fma_f16 v32, v34, v67, v32
	v_pk_fma_f16 v34, v35, v139, v101
	v_pk_fma_f16 v64, v35, v66, v64
	v_pk_fma_f16 v66, v35, v140, v104
	v_pk_fma_f16 v33, v35, v67, v33
	v_mul_u32_u24_sdwa v143, v62, s62 dst_sel:DWORD dst_unused:UNUSED_PAD src0_sel:WORD_0 src1_sel:DWORD
	v_mul_u32_u24_sdwa v62, v62, s62 dst_sel:DWORD dst_unused:UNUSED_PAD src0_sel:WORD_1 src1_sel:DWORD
	v_mul_u32_u24_sdwa v144, v63, s62 dst_sel:DWORD dst_unused:UNUSED_PAD src0_sel:WORD_0 src1_sel:DWORD
	v_mul_u32_u24_sdwa v63, v63, s62 dst_sel:DWORD dst_unused:UNUSED_PAD src0_sel:WORD_1 src1_sel:DWORD
	v_pk_fma_f16 v35, v28, v141, v65
	v_pk_fma_f16 v65, v28, v60, v91
	;; [unrolled: 12-line block ×14, first 2 shown]
	v_pk_fma_f16 v15, v4, v166, v17
	v_pk_fma_f16 v4, v4, v37, v8
	;; [unrolled: 1-line block ×14, first 2 shown]
	s_waitcnt lgkmcnt(0)
	s_barrier
	ds_read_b128 v[4:7], v117 offset:128
	ds_read2_b64 v[8:11], v131 offset0:128 offset1:156
	ds_read_b128 v[12:15], v117 offset:144
	ds_read_b128 v[16:19], v117 offset:160
	;; [unrolled: 1-line block ×3, first 2 shown]
	s_waitcnt lgkmcnt(4)
	v_mul_u32_u24_sdwa v32, v4, s62 dst_sel:DWORD dst_unused:UNUSED_PAD src0_sel:WORD_0 src1_sel:DWORD
	v_mul_u32_u24_sdwa v4, v4, s62 dst_sel:DWORD dst_unused:UNUSED_PAD src0_sel:WORD_1 src1_sel:DWORD
	v_mul_u32_u24_sdwa v33, v5, s62 dst_sel:DWORD dst_unused:UNUSED_PAD src0_sel:WORD_0 src1_sel:DWORD
	v_mul_u32_u24_sdwa v5, v5, s62 dst_sel:DWORD dst_unused:UNUSED_PAD src0_sel:WORD_1 src1_sel:DWORD
	s_waitcnt lgkmcnt(3)
	v_pk_fma_f16 v24, v8, v32, v24
	v_pk_fma_f16 v25, v8, v4, v25
	;; [unrolled: 1-line block ×8, first 2 shown]
	v_mul_u32_u24_sdwa v9, v6, s62 dst_sel:DWORD dst_unused:UNUSED_PAD src0_sel:WORD_0 src1_sel:DWORD
	v_mul_u32_u24_sdwa v6, v6, s62 dst_sel:DWORD dst_unused:UNUSED_PAD src0_sel:WORD_1 src1_sel:DWORD
	v_mul_u32_u24_sdwa v29, v7, s62 dst_sel:DWORD dst_unused:UNUSED_PAD src0_sel:WORD_0 src1_sel:DWORD
	v_mul_u32_u24_sdwa v7, v7, s62 dst_sel:DWORD dst_unused:UNUSED_PAD src0_sel:WORD_1 src1_sel:DWORD
	v_pk_fma_f16 v24, v10, v9, v24
	v_pk_fma_f16 v25, v10, v6, v25
	;; [unrolled: 1-line block ×8, first 2 shown]
	ds_read2_b64 v[4:7], v131 offset0:184 offset1:212
	s_waitcnt lgkmcnt(3)
	v_mul_u32_u24_sdwa v28, v12, s62 dst_sel:DWORD dst_unused:UNUSED_PAD src0_sel:WORD_0 src1_sel:DWORD
	v_mul_u32_u24_sdwa v12, v12, s62 dst_sel:DWORD dst_unused:UNUSED_PAD src0_sel:WORD_1 src1_sel:DWORD
	v_mul_u32_u24_sdwa v29, v13, s62 dst_sel:DWORD dst_unused:UNUSED_PAD src0_sel:WORD_0 src1_sel:DWORD
	v_mul_u32_u24_sdwa v13, v13, s62 dst_sel:DWORD dst_unused:UNUSED_PAD src0_sel:WORD_1 src1_sel:DWORD
	s_waitcnt lgkmcnt(0)
	v_pk_fma_f16 v24, v4, v28, v24
	v_pk_fma_f16 v25, v4, v12, v25
	;; [unrolled: 1-line block ×8, first 2 shown]
	v_mul_u32_u24_sdwa v11, v14, s62 dst_sel:DWORD dst_unused:UNUSED_PAD src0_sel:WORD_0 src1_sel:DWORD
	v_mul_u32_u24_sdwa v12, v14, s62 dst_sel:DWORD dst_unused:UNUSED_PAD src0_sel:WORD_1 src1_sel:DWORD
	v_mul_u32_u24_sdwa v13, v15, s62 dst_sel:DWORD dst_unused:UNUSED_PAD src0_sel:WORD_0 src1_sel:DWORD
	v_mul_u32_u24_sdwa v14, v15, s62 dst_sel:DWORD dst_unused:UNUSED_PAD src0_sel:WORD_1 src1_sel:DWORD
	v_pk_fma_f16 v15, v6, v11, v24
	v_pk_fma_f16 v24, v6, v12, v25
	;; [unrolled: 1-line block ×8, first 2 shown]
	ds_read2_b64 v[4:7], v130 offset0:112 offset1:140
	v_mul_u32_u24_sdwa v12, v16, s62 dst_sel:DWORD dst_unused:UNUSED_PAD src0_sel:WORD_0 src1_sel:DWORD
	v_mul_u32_u24_sdwa v13, v16, s62 dst_sel:DWORD dst_unused:UNUSED_PAD src0_sel:WORD_1 src1_sel:DWORD
	v_mul_u32_u24_sdwa v14, v17, s62 dst_sel:DWORD dst_unused:UNUSED_PAD src0_sel:WORD_0 src1_sel:DWORD
	v_mul_u32_u24_sdwa v16, v17, s62 dst_sel:DWORD dst_unused:UNUSED_PAD src0_sel:WORD_1 src1_sel:DWORD
	s_waitcnt lgkmcnt(0)
	v_pk_fma_f16 v15, v4, v12, v15
	v_pk_fma_f16 v17, v4, v13, v24
	;; [unrolled: 1-line block ×8, first 2 shown]
	v_mul_u32_u24_sdwa v11, v18, s62 dst_sel:DWORD dst_unused:UNUSED_PAD src0_sel:WORD_0 src1_sel:DWORD
	v_mul_u32_u24_sdwa v12, v18, s62 dst_sel:DWORD dst_unused:UNUSED_PAD src0_sel:WORD_1 src1_sel:DWORD
	v_mul_u32_u24_sdwa v13, v19, s62 dst_sel:DWORD dst_unused:UNUSED_PAD src0_sel:WORD_0 src1_sel:DWORD
	v_mul_u32_u24_sdwa v14, v19, s62 dst_sel:DWORD dst_unused:UNUSED_PAD src0_sel:WORD_1 src1_sel:DWORD
	v_pk_fma_f16 v15, v6, v11, v15
	v_pk_fma_f16 v16, v6, v12, v17
	;; [unrolled: 1-line block ×8, first 2 shown]
	ds_read2_b64 v[4:7], v129 offset0:40 offset1:68
	v_mul_u32_u24_sdwa v12, v20, s62 dst_sel:DWORD dst_unused:UNUSED_PAD src0_sel:WORD_0 src1_sel:DWORD
	v_mul_u32_u24_sdwa v13, v20, s62 dst_sel:DWORD dst_unused:UNUSED_PAD src0_sel:WORD_1 src1_sel:DWORD
	v_mul_u32_u24_sdwa v14, v21, s62 dst_sel:DWORD dst_unused:UNUSED_PAD src0_sel:WORD_0 src1_sel:DWORD
	v_mul_u32_u24_sdwa v19, v21, s62 dst_sel:DWORD dst_unused:UNUSED_PAD src0_sel:WORD_1 src1_sel:DWORD
	s_waitcnt lgkmcnt(0)
	v_pk_fma_f16 v15, v4, v12, v15
	v_pk_fma_f16 v16, v4, v13, v16
	;; [unrolled: 1-line block ×6, first 2 shown]
	v_mul_u32_u24_sdwa v10, v22, s62 dst_sel:DWORD dst_unused:UNUSED_PAD src0_sel:WORD_0 src1_sel:DWORD
	v_mul_u32_u24_sdwa v11, v22, s62 dst_sel:DWORD dst_unused:UNUSED_PAD src0_sel:WORD_1 src1_sel:DWORD
	v_pk_fma_f16 v17, v4, v14, v17
	v_pk_fma_f16 v4, v4, v19, v18
	;; [unrolled: 1-line block ×6, first 2 shown]
	ds_read_b128 v[8:11], v117 offset:192
	v_mul_u32_u24_sdwa v13, v23, s62 dst_sel:DWORD dst_unused:UNUSED_PAD src0_sel:WORD_0 src1_sel:DWORD
	v_mul_u32_u24_sdwa v14, v23, s62 dst_sel:DWORD dst_unused:UNUSED_PAD src0_sel:WORD_1 src1_sel:DWORD
	v_pk_fma_f16 v17, v6, v13, v17
	v_pk_fma_f16 v19, v6, v14, v4
	;; [unrolled: 1-line block ×4, first 2 shown]
	ds_read2_b64 v[4:7], v129 offset0:96 offset1:124
	ds_read_b128 v[12:15], v117 offset:208
	s_waitcnt lgkmcnt(2)
	v_mul_u32_u24_sdwa v24, v8, s62 dst_sel:DWORD dst_unused:UNUSED_PAD src0_sel:WORD_0 src1_sel:DWORD
	v_mul_u32_u24_sdwa v8, v8, s62 dst_sel:DWORD dst_unused:UNUSED_PAD src0_sel:WORD_1 src1_sel:DWORD
	v_mul_u32_u24_sdwa v25, v9, s62 dst_sel:DWORD dst_unused:UNUSED_PAD src0_sel:WORD_0 src1_sel:DWORD
	v_mul_u32_u24_sdwa v9, v9, s62 dst_sel:DWORD dst_unused:UNUSED_PAD src0_sel:WORD_1 src1_sel:DWORD
	s_waitcnt lgkmcnt(1)
	v_pk_fma_f16 v18, v4, v24, v18
	v_pk_fma_f16 v16, v4, v8, v16
	;; [unrolled: 1-line block ×8, first 2 shown]
	v_mul_u32_u24_sdwa v9, v10, s62 dst_sel:DWORD dst_unused:UNUSED_PAD src0_sel:WORD_0 src1_sel:DWORD
	v_mul_u32_u24_sdwa v10, v10, s62 dst_sel:DWORD dst_unused:UNUSED_PAD src0_sel:WORD_1 src1_sel:DWORD
	v_mul_u32_u24_sdwa v21, v11, s62 dst_sel:DWORD dst_unused:UNUSED_PAD src0_sel:WORD_0 src1_sel:DWORD
	v_mul_u32_u24_sdwa v11, v11, s62 dst_sel:DWORD dst_unused:UNUSED_PAD src0_sel:WORD_1 src1_sel:DWORD
	v_pk_fma_f16 v18, v6, v9, v18
	v_pk_fma_f16 v16, v6, v10, v16
	;; [unrolled: 1-line block ×8, first 2 shown]
	ds_read2_b64 v[4:7], v129 offset0:152 offset1:180
	s_waitcnt lgkmcnt(1)
	v_mul_u32_u24_sdwa v19, v12, s62 dst_sel:DWORD dst_unused:UNUSED_PAD src0_sel:WORD_0 src1_sel:DWORD
	v_mul_u32_u24_sdwa v12, v12, s62 dst_sel:DWORD dst_unused:UNUSED_PAD src0_sel:WORD_1 src1_sel:DWORD
	v_mul_u32_u24_sdwa v20, v13, s62 dst_sel:DWORD dst_unused:UNUSED_PAD src0_sel:WORD_0 src1_sel:DWORD
	v_mul_u32_u24_sdwa v13, v13, s62 dst_sel:DWORD dst_unused:UNUSED_PAD src0_sel:WORD_1 src1_sel:DWORD
	s_waitcnt lgkmcnt(0)
	v_pk_fma_f16 v18, v4, v19, v18
	v_pk_fma_f16 v16, v4, v12, v16
	v_pk_fma_f16 v9, v5, v19, v9
	v_pk_fma_f16 v8, v5, v12, v8
	v_pk_fma_f16 v12, v5, v20, v10
	v_pk_fma_f16 v5, v5, v13, v11
	v_mul_u32_u24_sdwa v10, v14, s62 dst_sel:DWORD dst_unused:UNUSED_PAD src0_sel:WORD_0 src1_sel:DWORD
	v_mul_u32_u24_sdwa v11, v14, s62 dst_sel:DWORD dst_unused:UNUSED_PAD src0_sel:WORD_1 src1_sel:DWORD
	v_pk_fma_f16 v17, v4, v20, v17
	v_pk_fma_f16 v18, v6, v10, v18
	;; [unrolled: 1-line block ×5, first 2 shown]
	ds_read_b128 v[8:11], v117 offset:224
	v_pk_fma_f16 v4, v4, v13, v22
	v_mul_u32_u24_sdwa v13, v15, s62 dst_sel:DWORD dst_unused:UNUSED_PAD src0_sel:WORD_0 src1_sel:DWORD
	v_mul_u32_u24_sdwa v14, v15, s62 dst_sel:DWORD dst_unused:UNUSED_PAD src0_sel:WORD_1 src1_sel:DWORD
	v_pk_fma_f16 v17, v6, v13, v17
	v_pk_fma_f16 v19, v6, v14, v4
	;; [unrolled: 1-line block ×4, first 2 shown]
	ds_read2_b64 v[4:7], v129 offset0:208 offset1:236
	ds_read_b128 v[12:15], v117 offset:240
	s_waitcnt lgkmcnt(2)
	v_mul_u32_u24_sdwa v24, v8, s62 dst_sel:DWORD dst_unused:UNUSED_PAD src0_sel:WORD_0 src1_sel:DWORD
	v_mul_u32_u24_sdwa v8, v8, s62 dst_sel:DWORD dst_unused:UNUSED_PAD src0_sel:WORD_1 src1_sel:DWORD
	v_mul_u32_u24_sdwa v25, v9, s62 dst_sel:DWORD dst_unused:UNUSED_PAD src0_sel:WORD_0 src1_sel:DWORD
	v_mul_u32_u24_sdwa v9, v9, s62 dst_sel:DWORD dst_unused:UNUSED_PAD src0_sel:WORD_1 src1_sel:DWORD
	s_waitcnt lgkmcnt(1)
	v_pk_fma_f16 v18, v4, v24, v18
	v_pk_fma_f16 v16, v4, v8, v16
	;; [unrolled: 1-line block ×8, first 2 shown]
	v_mul_u32_u24_sdwa v9, v10, s62 dst_sel:DWORD dst_unused:UNUSED_PAD src0_sel:WORD_0 src1_sel:DWORD
	v_mul_u32_u24_sdwa v10, v10, s62 dst_sel:DWORD dst_unused:UNUSED_PAD src0_sel:WORD_1 src1_sel:DWORD
	v_mul_u32_u24_sdwa v21, v11, s62 dst_sel:DWORD dst_unused:UNUSED_PAD src0_sel:WORD_0 src1_sel:DWORD
	v_mul_u32_u24_sdwa v11, v11, s62 dst_sel:DWORD dst_unused:UNUSED_PAD src0_sel:WORD_1 src1_sel:DWORD
	v_pk_fma_f16 v18, v6, v9, v18
	v_pk_fma_f16 v16, v6, v10, v16
	;; [unrolled: 1-line block ×8, first 2 shown]
	ds_read2_b64 v[4:7], v128 offset0:8 offset1:36
	s_waitcnt lgkmcnt(0)
	s_barrier
	s_load_dword s14, s[36:37], 0x4
	v_mul_u32_u24_sdwa v19, v12, s62 dst_sel:DWORD dst_unused:UNUSED_PAD src0_sel:WORD_0 src1_sel:DWORD
	v_mul_u32_u24_sdwa v12, v12, s62 dst_sel:DWORD dst_unused:UNUSED_PAD src0_sel:WORD_1 src1_sel:DWORD
	v_mul_u32_u24_sdwa v20, v13, s62 dst_sel:DWORD dst_unused:UNUSED_PAD src0_sel:WORD_0 src1_sel:DWORD
	v_mul_u32_u24_sdwa v13, v13, s62 dst_sel:DWORD dst_unused:UNUSED_PAD src0_sel:WORD_1 src1_sel:DWORD
	s_waitcnt lgkmcnt(0)
	s_lshl_b32 s14, s14, 5
	v_pk_fma_f16 v18, v4, v19, v18
	v_pk_fma_f16 v16, v4, v12, v16
	;; [unrolled: 1-line block ×8, first 2 shown]
	v_mul_u32_u24_sdwa v11, v14, s62 dst_sel:DWORD dst_unused:UNUSED_PAD src0_sel:WORD_0 src1_sel:DWORD
	v_mul_u32_u24_sdwa v12, v14, s62 dst_sel:DWORD dst_unused:UNUSED_PAD src0_sel:WORD_1 src1_sel:DWORD
	v_mul_u32_u24_sdwa v13, v15, s62 dst_sel:DWORD dst_unused:UNUSED_PAD src0_sel:WORD_0 src1_sel:DWORD
	v_mul_u32_u24_sdwa v14, v15, s62 dst_sel:DWORD dst_unused:UNUSED_PAD src0_sel:WORD_1 src1_sel:DWORD
	s_add_i32 s2, s14, s2
	v_pk_fma_f32 v[70:71], v[70:71], v[132:133], v[94:95]
	v_pk_fma_f32 v[72:73], v[72:73], v[96:97], v[92:93]
	v_pk_fma_f16 v108, v6, v11, v18
	v_pk_fma_f16 v105, v6, v12, v16
	;; [unrolled: 1-line block ×7, first 2 shown]
	s_cmp_ge_i32 s2, s56
	v_pk_fma_f16 v102, v7, v14, v5
	s_cbranch_scc1 .LBB37_13
; %bb.62:                               ;   in Loop: Header=BB37_45 Depth=1
	v_mov_b32_e32 v6, v0
	v_mov_b32_e32 v9, v1
	;; [unrolled: 1-line block ×4, first 2 shown]
	s_branch .LBB37_45
.LBB37_63:                              ;   in Loop: Header=BB37_45 Depth=1
	global_load_dwordx4 v[0:3], v[4:5], off offset:96
	s_waitcnt vmcnt(0)
	ds_write_b128 v112, v[0:3]
	s_or_b64 exec, exec, s[16:17]
	v_lshl_add_u64 v[0:1], v[76:77], 2, s[14:15]
	s_and_saveexec_b64 s[16:17], s[4:5]
	s_cbranch_execz .LBB37_47
.LBB37_64:                              ;   in Loop: Header=BB37_45 Depth=1
	v_lshl_add_u64 v[2:3], v[0:1], 0, v[78:79]
	global_load_dwordx4 v[10:13], v[2:3], off offset:64
	s_waitcnt vmcnt(0)
	ds_write_b128 v113, v[10:13]
	s_or_b64 exec, exec, s[16:17]
	v_lshl_add_u64 v[2:3], v[80:81], 2, s[14:15]
	s_and_saveexec_b64 s[14:15], s[6:7]
	s_cbranch_execnz .LBB37_48
	s_branch .LBB37_49
.LBB37_65:                              ;   in Loop: Header=BB37_45 Depth=1
	global_load_dwordx4 v[14:17], v[4:5], off offset:208
	s_waitcnt vmcnt(0)
	ds_write_b128 v112, v[14:17]
	s_or_b64 exec, exec, s[14:15]
	s_and_saveexec_b64 s[14:15], s[4:5]
	s_cbranch_execz .LBB37_51
.LBB37_66:                              ;   in Loop: Header=BB37_45 Depth=1
	v_lshl_add_u64 v[0:1], v[0:1], 0, v[78:79]
	global_load_dwordx4 v[14:17], v[0:1], off offset:176
	s_waitcnt vmcnt(0)
	ds_write_b128 v113, v[14:17]
	s_or_b64 exec, exec, s[14:15]
	s_and_saveexec_b64 s[14:15], s[6:7]
	s_cbranch_execnz .LBB37_52
	s_branch .LBB37_53
.LBB37_67:                              ;   in Loop: Header=BB37_45 Depth=1
	v_lshl_add_u64 v[4:5], v[82:83], 2, s[14:15]
	v_lshl_add_u64 v[4:5], v[4:5], 0, v[78:79]
	global_load_dwordx4 v[10:13], v[4:5], off offset:192
	s_waitcnt vmcnt(0)
	ds_write_b128 v118, v[10:13]
	s_or_b64 exec, exec, s[16:17]
	s_and_saveexec_b64 s[16:17], s[10:11]
	s_cbranch_execz .LBB37_55
.LBB37_68:                              ;   in Loop: Header=BB37_45 Depth=1
	v_lshl_add_u64 v[4:5], v[84:85], 2, s[14:15]
	v_mov_b32_e32 v91, v79
	v_lshl_add_u64 v[4:5], v[4:5], 0, v[90:91]
	global_load_dwordx4 v[10:13], v[4:5], off offset:128
	s_waitcnt vmcnt(0)
	ds_write_b128 v119, v[10:13]
	s_or_b64 exec, exec, s[16:17]
	v_lshlrev_b32_e32 v96, 2, v86
	s_and_saveexec_b64 s[16:17], s[12:13]
	s_cbranch_execnz .LBB37_56
	s_branch .LBB37_57
.LBB37_69:                              ;   in Loop: Header=BB37_45 Depth=1
	v_lshl_add_u64 v[136:137], v[82:83], 2, s[38:39]
	v_lshl_add_u64 v[136:137], v[136:137], 0, v[78:79]
	global_load_dwordx4 v[136:139], v[136:137], off offset:192
	s_waitcnt vmcnt(0)
	ds_write_b128 v118, v[136:139]
	s_or_b64 exec, exec, s[40:41]
	s_and_saveexec_b64 s[40:41], s[10:11]
	s_cbranch_execz .LBB37_59
.LBB37_70:                              ;   in Loop: Header=BB37_45 Depth=1
	v_lshl_add_u64 v[136:137], v[84:85], 2, s[38:39]
	v_mov_b32_e32 v91, v79
	v_lshl_add_u64 v[136:137], v[136:137], 0, v[90:91]
	global_load_dwordx4 v[136:139], v[136:137], off offset:128
	s_waitcnt vmcnt(0)
	ds_write_b128 v119, v[136:139]
	s_or_b64 exec, exec, s[40:41]
	s_and_saveexec_b64 s[40:41], s[12:13]
	s_cbranch_execnz .LBB37_60
	s_branch .LBB37_61
	.section	.rodata,"a",@progbits
	.p2align	6, 0x0
	.amdhsa_kernel _ZL15flash_attn_tileILi112ELi112ELi16ELi2ELb0EEvPKcS1_S1_S1_S1_PKiPfP15HIP_vector_typeIfLj2EEffffjfiS5_IjLj3EEiiiiiiiiiiiliiliiiiil
		.amdhsa_group_segment_fixed_size 13376
		.amdhsa_private_segment_fixed_size 0
		.amdhsa_kernarg_size 464
		.amdhsa_user_sgpr_count 2
		.amdhsa_user_sgpr_dispatch_ptr 0
		.amdhsa_user_sgpr_queue_ptr 0
		.amdhsa_user_sgpr_kernarg_segment_ptr 1
		.amdhsa_user_sgpr_dispatch_id 0
		.amdhsa_user_sgpr_kernarg_preload_length 0
		.amdhsa_user_sgpr_kernarg_preload_offset 0
		.amdhsa_user_sgpr_private_segment_size 0
		.amdhsa_uses_dynamic_stack 0
		.amdhsa_enable_private_segment 0
		.amdhsa_system_sgpr_workgroup_id_x 1
		.amdhsa_system_sgpr_workgroup_id_y 1
		.amdhsa_system_sgpr_workgroup_id_z 1
		.amdhsa_system_sgpr_workgroup_info 0
		.amdhsa_system_vgpr_workitem_id 1
		.amdhsa_next_free_vgpr 169
		.amdhsa_next_free_sgpr 63
		.amdhsa_accum_offset 172
		.amdhsa_reserve_vcc 1
		.amdhsa_float_round_mode_32 0
		.amdhsa_float_round_mode_16_64 0
		.amdhsa_float_denorm_mode_32 3
		.amdhsa_float_denorm_mode_16_64 3
		.amdhsa_dx10_clamp 1
		.amdhsa_ieee_mode 1
		.amdhsa_fp16_overflow 0
		.amdhsa_tg_split 0
		.amdhsa_exception_fp_ieee_invalid_op 0
		.amdhsa_exception_fp_denorm_src 0
		.amdhsa_exception_fp_ieee_div_zero 0
		.amdhsa_exception_fp_ieee_overflow 0
		.amdhsa_exception_fp_ieee_underflow 0
		.amdhsa_exception_fp_ieee_inexact 0
		.amdhsa_exception_int_div_zero 0
	.end_amdhsa_kernel
	.section	.text._ZL15flash_attn_tileILi112ELi112ELi16ELi2ELb0EEvPKcS1_S1_S1_S1_PKiPfP15HIP_vector_typeIfLj2EEffffjfiS5_IjLj3EEiiiiiiiiiiiliiliiiiil,"axG",@progbits,_ZL15flash_attn_tileILi112ELi112ELi16ELi2ELb0EEvPKcS1_S1_S1_S1_PKiPfP15HIP_vector_typeIfLj2EEffffjfiS5_IjLj3EEiiiiiiiiiiiliiliiiiil,comdat
.Lfunc_end37:
	.size	_ZL15flash_attn_tileILi112ELi112ELi16ELi2ELb0EEvPKcS1_S1_S1_S1_PKiPfP15HIP_vector_typeIfLj2EEffffjfiS5_IjLj3EEiiiiiiiiiiiliiliiiiil, .Lfunc_end37-_ZL15flash_attn_tileILi112ELi112ELi16ELi2ELb0EEvPKcS1_S1_S1_S1_PKiPfP15HIP_vector_typeIfLj2EEffffjfiS5_IjLj3EEiiiiiiiiiiiliiliiiiil
                                        ; -- End function
	.set _ZL15flash_attn_tileILi112ELi112ELi16ELi2ELb0EEvPKcS1_S1_S1_S1_PKiPfP15HIP_vector_typeIfLj2EEffffjfiS5_IjLj3EEiiiiiiiiiiiliiliiiiil.num_vgpr, 169
	.set _ZL15flash_attn_tileILi112ELi112ELi16ELi2ELb0EEvPKcS1_S1_S1_S1_PKiPfP15HIP_vector_typeIfLj2EEffffjfiS5_IjLj3EEiiiiiiiiiiiliiliiiiil.num_agpr, 0
	.set _ZL15flash_attn_tileILi112ELi112ELi16ELi2ELb0EEvPKcS1_S1_S1_S1_PKiPfP15HIP_vector_typeIfLj2EEffffjfiS5_IjLj3EEiiiiiiiiiiiliiliiiiil.numbered_sgpr, 63
	.set _ZL15flash_attn_tileILi112ELi112ELi16ELi2ELb0EEvPKcS1_S1_S1_S1_PKiPfP15HIP_vector_typeIfLj2EEffffjfiS5_IjLj3EEiiiiiiiiiiiliiliiiiil.num_named_barrier, 0
	.set _ZL15flash_attn_tileILi112ELi112ELi16ELi2ELb0EEvPKcS1_S1_S1_S1_PKiPfP15HIP_vector_typeIfLj2EEffffjfiS5_IjLj3EEiiiiiiiiiiiliiliiiiil.private_seg_size, 0
	.set _ZL15flash_attn_tileILi112ELi112ELi16ELi2ELb0EEvPKcS1_S1_S1_S1_PKiPfP15HIP_vector_typeIfLj2EEffffjfiS5_IjLj3EEiiiiiiiiiiiliiliiiiil.uses_vcc, 1
	.set _ZL15flash_attn_tileILi112ELi112ELi16ELi2ELb0EEvPKcS1_S1_S1_S1_PKiPfP15HIP_vector_typeIfLj2EEffffjfiS5_IjLj3EEiiiiiiiiiiiliiliiiiil.uses_flat_scratch, 0
	.set _ZL15flash_attn_tileILi112ELi112ELi16ELi2ELb0EEvPKcS1_S1_S1_S1_PKiPfP15HIP_vector_typeIfLj2EEffffjfiS5_IjLj3EEiiiiiiiiiiiliiliiiiil.has_dyn_sized_stack, 0
	.set _ZL15flash_attn_tileILi112ELi112ELi16ELi2ELb0EEvPKcS1_S1_S1_S1_PKiPfP15HIP_vector_typeIfLj2EEffffjfiS5_IjLj3EEiiiiiiiiiiiliiliiiiil.has_recursion, 0
	.set _ZL15flash_attn_tileILi112ELi112ELi16ELi2ELb0EEvPKcS1_S1_S1_S1_PKiPfP15HIP_vector_typeIfLj2EEffffjfiS5_IjLj3EEiiiiiiiiiiiliiliiiiil.has_indirect_call, 0
	.section	.AMDGPU.csdata,"",@progbits
; Kernel info:
; codeLenInByte = 15412
; TotalNumSgprs: 69
; NumVgprs: 169
; NumAgprs: 0
; TotalNumVgprs: 169
; ScratchSize: 0
; MemoryBound: 0
; FloatMode: 240
; IeeeMode: 1
; LDSByteSize: 13376 bytes/workgroup (compile time only)
; SGPRBlocks: 8
; VGPRBlocks: 21
; NumSGPRsForWavesPerEU: 69
; NumVGPRsForWavesPerEU: 169
; AccumOffset: 172
; Occupancy: 2
; WaveLimiterHint : 1
; COMPUTE_PGM_RSRC2:SCRATCH_EN: 0
; COMPUTE_PGM_RSRC2:USER_SGPR: 2
; COMPUTE_PGM_RSRC2:TRAP_HANDLER: 0
; COMPUTE_PGM_RSRC2:TGID_X_EN: 1
; COMPUTE_PGM_RSRC2:TGID_Y_EN: 1
; COMPUTE_PGM_RSRC2:TGID_Z_EN: 1
; COMPUTE_PGM_RSRC2:TIDIG_COMP_CNT: 1
; COMPUTE_PGM_RSRC3_GFX90A:ACCUM_OFFSET: 42
; COMPUTE_PGM_RSRC3_GFX90A:TG_SPLIT: 0
	.section	.text._ZL33flash_attn_stream_k_fixup_uniformILi112ELi16ELi2EEvPfPK15HIP_vector_typeIfLj2EEiiiiiiS1_IjLj3EES5_S5_,"axG",@progbits,_ZL33flash_attn_stream_k_fixup_uniformILi112ELi16ELi2EEvPfPK15HIP_vector_typeIfLj2EEiiiiiiS1_IjLj3EES5_S5_,comdat
	.globl	_ZL33flash_attn_stream_k_fixup_uniformILi112ELi16ELi2EEvPfPK15HIP_vector_typeIfLj2EEiiiiiiS1_IjLj3EES5_S5_ ; -- Begin function _ZL33flash_attn_stream_k_fixup_uniformILi112ELi16ELi2EEvPfPK15HIP_vector_typeIfLj2EEiiiiiiS1_IjLj3EES5_S5_
	.p2align	8
	.type	_ZL33flash_attn_stream_k_fixup_uniformILi112ELi16ELi2EEvPfPK15HIP_vector_typeIfLj2EEiiiiiiS1_IjLj3EES5_S5_,@function
_ZL33flash_attn_stream_k_fixup_uniformILi112ELi16ELi2EEvPfPK15HIP_vector_typeIfLj2EEiiiiiiS1_IjLj3EES5_S5_: ; @_ZL33flash_attn_stream_k_fixup_uniformILi112ELi16ELi2EEvPfPK15HIP_vector_typeIfLj2EEiiiiiiS1_IjLj3EES5_S5_
; %bb.0:
	s_load_dwordx8 s[8:15], s[0:1], 0x1c
	s_load_dwordx2 s[6:7], s[0:1], 0x10
	s_load_dwordx4 s[16:19], s[0:1], 0x3c
	s_waitcnt lgkmcnt(0)
	s_mul_hi_u32 s5, s11, s2
	s_add_i32 s5, s2, s5
	s_lshr_b32 s5, s5, s12
	s_mul_i32 s11, s5, s13
	s_sub_i32 s12, s2, s11
	s_mul_hi_u32 s11, s12, s14
	s_add_i32 s11, s12, s11
	s_lshr_b32 s11, s11, s15
	s_mul_i32 s13, s11, s16
	s_sub_i32 s12, s12, s13
	;; [unrolled: 5-line block ×3, first 2 shown]
	s_lshl_b32 s12, s16, 4
	s_lshl_b32 s17, s13, 1
	s_add_i32 s12, s12, s3
	s_cmp_lt_i32 s12, s6
	s_cselect_b64 s[12:13], -1, 0
	s_add_i32 s17, s17, s4
	s_cmp_lt_i32 s17, s9
	s_cselect_b64 s[14:15], -1, 0
	s_and_b64 s[12:13], s[12:13], s[14:15]
	s_andn2_b64 vcc, exec, s[12:13]
	s_cbranch_vccnz .LBB38_6
; %bb.1:
	s_load_dwordx4 s[12:15], s[0:1], 0x0
	s_mul_i32 s0, s5, s6
	s_mul_i32 s11, s11, s9
	s_add_i32 s0, s0, s3
	s_mul_i32 s0, s0, s7
	s_add_i32 s5, s17, s11
	;; [unrolled: 2-line block ×3, first 2 shown]
	s_mulk_i32 s1, 0x700
	s_mulk_i32 s0, 0x70
	s_add_i32 s0, s0, s1
	v_add_u32_e32 v4, s0, v0
	s_waitcnt lgkmcnt(0)
	v_mov_b32_e32 v2, s12
	v_mov_b32_e32 v3, s13
	v_ashrrev_i32_e32 v5, 31, v4
	v_lshl_add_u64 v[2:3], v[4:5], 2, v[2:3]
	global_load_dword v5, v[2:3], off
	s_mul_i32 s5, s10, s2
	s_lshl_b32 s11, s3, 1
	s_add_i32 s9, s5, s10
	s_add_i32 s0, s11, s4
	s_lshl_b32 s1, s9, 5
	s_add_i32 s0, s0, s1
	s_sub_i32 s0, s0, 32
	s_ashr_i32 s1, s0, 31
	s_lshl_b64 s[0:1], s[0:1], 3
	s_add_u32 s0, s14, s0
	s_addc_u32 s1, s15, s1
	s_load_dword s12, s[0:1], 0x4
	s_add_i32 s6, s9, -2
	s_cmp_lt_i32 s6, s5
	s_cbranch_scc1 .LBB38_4
; %bb.2:
	s_lshl_b32 s6, s8, 7
	s_ashr_i32 s7, s6, 31
	s_lshl_b64 s[6:7], s[6:7], 2
	s_add_u32 s6, s14, s6
	s_addc_u32 s7, s15, s7
	s_add_i32 s2, s2, 1
	s_load_dword s0, s[0:1], 0x0
	s_mul_i32 s1, s10, s2
	s_lshl_b32 s2, s1, 5
	s_add_i32 s2, s4, s2
	s_mulk_i32 s3, 0xe0
	s_mulk_i32 s4, 0x70
	s_lshl_b32 s8, s8, 5
	s_mulk_i32 s1, 0xe00
	s_add_i32 s3, s4, s3
	s_add_i32 s2, s2, s8
	;; [unrolled: 1-line block ×4, first 2 shown]
	v_add_u32_e32 v0, s3, v0
	s_add_i32 s9, s9, -1
	s_sub_i32 s2, s2, 64
	v_add_u32_e32 v0, 0xffffe400, v0
	s_waitcnt lgkmcnt(0)
	v_mov_b32_e32 v7, s0
	v_mov_b32_e32 v4, s12
	s_mov_b32 s4, 0x3fb8aa3b
	s_mov_b32 s8, 0xc2ce8ed0
	;; [unrolled: 1-line block ×3, first 2 shown]
	v_mov_b32_e32 v6, 0x7f800000
	s_mov_b32 s11, 0xc1a00000
.LBB38_3:                               ; =>This Inner Loop Header: Depth=1
	v_ashrrev_i32_e32 v1, 31, v0
	v_lshl_add_u64 v[8:9], v[0:1], 2, s[6:7]
	global_load_dword v9, v[8:9], off
	s_ashr_i32 s3, s2, 31
	s_lshl_b64 s[0:1], s[2:3], 3
	s_add_u32 s0, s14, s0
	s_addc_u32 s1, s15, s1
	s_load_dwordx2 s[0:1], s[0:1], 0x0
	v_max_f32_e32 v1, v7, v7
	s_add_i32 s9, s9, -1
	s_sub_i32 s2, s2, 32
	v_add_u32_e32 v0, 0xfffff200, v0
	s_waitcnt lgkmcnt(0)
	v_max_f32_e64 v10, s0, s0
	v_max_f32_e32 v1, v1, v10
	v_sub_f32_e32 v11, s0, v1
	v_sub_f32_e32 v10, v7, v1
	v_mul_f32_e32 v12, 0x3fb8aa3b, v11
	v_mov_b32_e32 v7, v1
	v_mul_f32_e32 v1, 0x3fb8aa3b, v10
	v_fma_f32 v15, v11, s4, -v12
	v_rndne_f32_e32 v16, v12
	v_fma_f32 v13, v10, s4, -v1
	v_rndne_f32_e32 v14, v1
	v_fmac_f32_e32 v15, 0x32a5705f, v11
	v_sub_f32_e32 v12, v12, v16
	v_fmac_f32_e32 v13, 0x32a5705f, v10
	v_sub_f32_e32 v1, v1, v14
	v_add_f32_e32 v12, v12, v15
	v_cvt_i32_f32_e32 v16, v16
	v_add_f32_e32 v1, v1, v13
	v_exp_f32_e32 v12, v12
	v_cvt_i32_f32_e32 v14, v14
	v_exp_f32_e32 v1, v1
	v_cmp_ngt_f32_e32 vcc, s8, v11
	v_ldexp_f32 v12, v12, v16
	v_mov_b32_e32 v8, s1
	v_ldexp_f32 v1, v1, v14
	v_cmp_ngt_f32_e64 s[0:1], s8, v10
	v_cndmask_b32_e32 v12, 0, v12, vcc
	v_cmp_nlt_f32_e32 vcc, s10, v11
	v_cndmask_b32_e64 v1, 0, v1, s[0:1]
	v_cmp_nlt_f32_e64 s[0:1], s10, v10
	v_cndmask_b32_e32 v12, v6, v12, vcc
	v_cmp_le_f32_e32 vcc, s11, v11
	v_cndmask_b32_e64 v1, v6, v1, s[0:1]
	v_cmp_le_f32_e64 s[0:1], s11, v10
	v_cndmask_b32_e32 v12, 0, v12, vcc
	s_cmp_le_i32 s9, s5
	v_cndmask_b32_e64 v10, 0, v1, s[0:1]
	s_waitcnt vmcnt(0)
	v_pk_mul_f32 v[8:9], v[8:9], v[12:13] op_sel_hi:[1,0]
	s_nop 0
	v_pk_fma_f32 v[4:5], v[4:5], v[10:11], v[8:9] op_sel_hi:[1,0,1]
	s_cbranch_scc0 .LBB38_3
	s_branch .LBB38_5
.LBB38_4:
	s_waitcnt lgkmcnt(0)
	v_mov_b32_e32 v4, s12
.LBB38_5:
	s_waitcnt vmcnt(0)
	v_div_scale_f32 v0, s[0:1], v4, v4, v5
	v_rcp_f32_e32 v1, v0
	v_div_scale_f32 v6, vcc, v5, v4, v5
	v_fma_f32 v7, -v0, v1, 1.0
	v_fmac_f32_e32 v1, v7, v1
	v_mul_f32_e32 v7, v6, v1
	v_fma_f32 v8, -v0, v7, v6
	v_fmac_f32_e32 v7, v8, v1
	v_fma_f32 v0, -v0, v7, v6
	v_div_fmas_f32 v0, v0, v1, v7
	v_div_fixup_f32 v0, v0, v4, v5
	global_store_dword v[2:3], v0, off
.LBB38_6:
	s_endpgm
	.section	.rodata,"a",@progbits
	.p2align	6, 0x0
	.amdhsa_kernel _ZL33flash_attn_stream_k_fixup_uniformILi112ELi16ELi2EEvPfPK15HIP_vector_typeIfLj2EEiiiiiiS1_IjLj3EES5_S5_
		.amdhsa_group_segment_fixed_size 0
		.amdhsa_private_segment_fixed_size 0
		.amdhsa_kernarg_size 76
		.amdhsa_user_sgpr_count 2
		.amdhsa_user_sgpr_dispatch_ptr 0
		.amdhsa_user_sgpr_queue_ptr 0
		.amdhsa_user_sgpr_kernarg_segment_ptr 1
		.amdhsa_user_sgpr_dispatch_id 0
		.amdhsa_user_sgpr_kernarg_preload_length 0
		.amdhsa_user_sgpr_kernarg_preload_offset 0
		.amdhsa_user_sgpr_private_segment_size 0
		.amdhsa_uses_dynamic_stack 0
		.amdhsa_enable_private_segment 0
		.amdhsa_system_sgpr_workgroup_id_x 1
		.amdhsa_system_sgpr_workgroup_id_y 1
		.amdhsa_system_sgpr_workgroup_id_z 1
		.amdhsa_system_sgpr_workgroup_info 0
		.amdhsa_system_vgpr_workitem_id 0
		.amdhsa_next_free_vgpr 17
		.amdhsa_next_free_sgpr 20
		.amdhsa_accum_offset 20
		.amdhsa_reserve_vcc 1
		.amdhsa_float_round_mode_32 0
		.amdhsa_float_round_mode_16_64 0
		.amdhsa_float_denorm_mode_32 3
		.amdhsa_float_denorm_mode_16_64 3
		.amdhsa_dx10_clamp 1
		.amdhsa_ieee_mode 1
		.amdhsa_fp16_overflow 0
		.amdhsa_tg_split 0
		.amdhsa_exception_fp_ieee_invalid_op 0
		.amdhsa_exception_fp_denorm_src 0
		.amdhsa_exception_fp_ieee_div_zero 0
		.amdhsa_exception_fp_ieee_overflow 0
		.amdhsa_exception_fp_ieee_underflow 0
		.amdhsa_exception_fp_ieee_inexact 0
		.amdhsa_exception_int_div_zero 0
	.end_amdhsa_kernel
	.section	.text._ZL33flash_attn_stream_k_fixup_uniformILi112ELi16ELi2EEvPfPK15HIP_vector_typeIfLj2EEiiiiiiS1_IjLj3EES5_S5_,"axG",@progbits,_ZL33flash_attn_stream_k_fixup_uniformILi112ELi16ELi2EEvPfPK15HIP_vector_typeIfLj2EEiiiiiiS1_IjLj3EES5_S5_,comdat
.Lfunc_end38:
	.size	_ZL33flash_attn_stream_k_fixup_uniformILi112ELi16ELi2EEvPfPK15HIP_vector_typeIfLj2EEiiiiiiS1_IjLj3EES5_S5_, .Lfunc_end38-_ZL33flash_attn_stream_k_fixup_uniformILi112ELi16ELi2EEvPfPK15HIP_vector_typeIfLj2EEiiiiiiS1_IjLj3EES5_S5_
                                        ; -- End function
	.set _ZL33flash_attn_stream_k_fixup_uniformILi112ELi16ELi2EEvPfPK15HIP_vector_typeIfLj2EEiiiiiiS1_IjLj3EES5_S5_.num_vgpr, 17
	.set _ZL33flash_attn_stream_k_fixup_uniformILi112ELi16ELi2EEvPfPK15HIP_vector_typeIfLj2EEiiiiiiS1_IjLj3EES5_S5_.num_agpr, 0
	.set _ZL33flash_attn_stream_k_fixup_uniformILi112ELi16ELi2EEvPfPK15HIP_vector_typeIfLj2EEiiiiiiS1_IjLj3EES5_S5_.numbered_sgpr, 20
	.set _ZL33flash_attn_stream_k_fixup_uniformILi112ELi16ELi2EEvPfPK15HIP_vector_typeIfLj2EEiiiiiiS1_IjLj3EES5_S5_.num_named_barrier, 0
	.set _ZL33flash_attn_stream_k_fixup_uniformILi112ELi16ELi2EEvPfPK15HIP_vector_typeIfLj2EEiiiiiiS1_IjLj3EES5_S5_.private_seg_size, 0
	.set _ZL33flash_attn_stream_k_fixup_uniformILi112ELi16ELi2EEvPfPK15HIP_vector_typeIfLj2EEiiiiiiS1_IjLj3EES5_S5_.uses_vcc, 1
	.set _ZL33flash_attn_stream_k_fixup_uniformILi112ELi16ELi2EEvPfPK15HIP_vector_typeIfLj2EEiiiiiiS1_IjLj3EES5_S5_.uses_flat_scratch, 0
	.set _ZL33flash_attn_stream_k_fixup_uniformILi112ELi16ELi2EEvPfPK15HIP_vector_typeIfLj2EEiiiiiiS1_IjLj3EES5_S5_.has_dyn_sized_stack, 0
	.set _ZL33flash_attn_stream_k_fixup_uniformILi112ELi16ELi2EEvPfPK15HIP_vector_typeIfLj2EEiiiiiiS1_IjLj3EES5_S5_.has_recursion, 0
	.set _ZL33flash_attn_stream_k_fixup_uniformILi112ELi16ELi2EEvPfPK15HIP_vector_typeIfLj2EEiiiiiiS1_IjLj3EES5_S5_.has_indirect_call, 0
	.section	.AMDGPU.csdata,"",@progbits
; Kernel info:
; codeLenInByte = 832
; TotalNumSgprs: 26
; NumVgprs: 17
; NumAgprs: 0
; TotalNumVgprs: 17
; ScratchSize: 0
; MemoryBound: 0
; FloatMode: 240
; IeeeMode: 1
; LDSByteSize: 0 bytes/workgroup (compile time only)
; SGPRBlocks: 3
; VGPRBlocks: 2
; NumSGPRsForWavesPerEU: 26
; NumVGPRsForWavesPerEU: 17
; AccumOffset: 20
; Occupancy: 8
; WaveLimiterHint : 0
; COMPUTE_PGM_RSRC2:SCRATCH_EN: 0
; COMPUTE_PGM_RSRC2:USER_SGPR: 2
; COMPUTE_PGM_RSRC2:TRAP_HANDLER: 0
; COMPUTE_PGM_RSRC2:TGID_X_EN: 1
; COMPUTE_PGM_RSRC2:TGID_Y_EN: 1
; COMPUTE_PGM_RSRC2:TGID_Z_EN: 1
; COMPUTE_PGM_RSRC2:TIDIG_COMP_CNT: 0
; COMPUTE_PGM_RSRC3_GFX90A:ACCUM_OFFSET: 4
; COMPUTE_PGM_RSRC3_GFX90A:TG_SPLIT: 0
	.section	.text._ZL33flash_attn_stream_k_fixup_generalILi112ELi16ELi2EEvPfPK15HIP_vector_typeIfLj2EEiiiiS1_IjLj3EES5_S5_S5_,"axG",@progbits,_ZL33flash_attn_stream_k_fixup_generalILi112ELi16ELi2EEvPfPK15HIP_vector_typeIfLj2EEiiiiS1_IjLj3EES5_S5_S5_,comdat
	.globl	_ZL33flash_attn_stream_k_fixup_generalILi112ELi16ELi2EEvPfPK15HIP_vector_typeIfLj2EEiiiiS1_IjLj3EES5_S5_S5_ ; -- Begin function _ZL33flash_attn_stream_k_fixup_generalILi112ELi16ELi2EEvPfPK15HIP_vector_typeIfLj2EEiiiiS1_IjLj3EES5_S5_S5_
	.p2align	8
	.type	_ZL33flash_attn_stream_k_fixup_generalILi112ELi16ELi2EEvPfPK15HIP_vector_typeIfLj2EEiiiiS1_IjLj3EES5_S5_S5_,@function
_ZL33flash_attn_stream_k_fixup_generalILi112ELi16ELi2EEvPfPK15HIP_vector_typeIfLj2EEiiiiS1_IjLj3EES5_S5_S5_: ; @_ZL33flash_attn_stream_k_fixup_generalILi112ELi16ELi2EEvPfPK15HIP_vector_typeIfLj2EEiiiiS1_IjLj3EES5_S5_S5_
; %bb.0:
	s_load_dwordx4 s[8:11], s[0:1], 0x10
	s_load_dword s22, s[0:1], 0x50
	s_mov_b32 s12, 0
	s_waitcnt lgkmcnt(0)
	s_mul_hi_i32 s13, s11, s2
	s_cmp_lg_u64 s[12:13], 0
	s_mul_i32 s5, s11, s2
	s_cbranch_scc0 .LBB39_20
; %bb.1:
	s_add_u32 s6, s22, 0
	s_addc_u32 s7, 0, 0
	s_xor_b64 s[6:7], s[6:7], 0
	v_cvt_f32_u32_e32 v1, s6
	v_cvt_f32_u32_e32 v2, s7
	s_sub_u32 s12, 0, s6
	s_subb_u32 s18, 0, s7
	v_fmamk_f32 v1, v2, 0x4f800000, v1
	v_rcp_f32_e32 v1, v1
	s_nop 0
	v_mul_f32_e32 v1, 0x5f7ffffc, v1
	v_mul_f32_e32 v2, 0x2f800000, v1
	v_trunc_f32_e32 v2, v2
	v_fmamk_f32 v1, v2, 0xcf800000, v1
	v_cvt_u32_f32_e32 v2, v2
	v_cvt_u32_f32_e32 v1, v1
	v_readfirstlane_b32 s19, v2
	v_readfirstlane_b32 s14, v1
	s_mul_i32 s15, s12, s19
	s_mul_hi_u32 s21, s12, s14
	s_mul_i32 s20, s18, s14
	s_add_i32 s15, s21, s15
	s_add_i32 s15, s15, s20
	s_mul_i32 s23, s12, s14
	s_mul_i32 s21, s14, s15
	s_mul_hi_u32 s24, s14, s23
	s_mul_hi_u32 s20, s14, s15
	s_add_u32 s21, s24, s21
	s_addc_u32 s20, 0, s20
	s_mul_hi_u32 s25, s19, s23
	s_mul_i32 s23, s19, s23
	s_add_u32 s21, s21, s23
	s_mul_hi_u32 s24, s19, s15
	s_addc_u32 s20, s20, s25
	s_addc_u32 s21, s24, 0
	s_mul_i32 s15, s19, s15
	s_add_u32 s15, s20, s15
	s_addc_u32 s20, 0, s21
	s_add_u32 s21, s14, s15
	s_cselect_b64 s[14:15], -1, 0
	s_cmp_lg_u64 s[14:15], 0
	s_addc_u32 s19, s19, s20
	s_mul_i32 s14, s12, s19
	s_mul_hi_u32 s15, s12, s21
	s_add_i32 s14, s15, s14
	s_mul_i32 s18, s18, s21
	s_add_i32 s14, s14, s18
	s_mul_i32 s12, s12, s21
	s_mul_hi_u32 s18, s19, s12
	s_mul_i32 s20, s19, s12
	s_mul_i32 s24, s21, s14
	s_mul_hi_u32 s12, s21, s12
	s_mul_hi_u32 s23, s21, s14
	s_add_u32 s12, s12, s24
	s_addc_u32 s23, 0, s23
	s_add_u32 s12, s12, s20
	s_mul_hi_u32 s15, s19, s14
	s_addc_u32 s12, s23, s18
	s_addc_u32 s15, s15, 0
	s_mul_i32 s14, s19, s14
	s_add_u32 s12, s12, s14
	s_addc_u32 s18, 0, s15
	s_add_u32 s20, s21, s12
	s_cselect_b64 s[14:15], -1, 0
	s_cmp_lg_u64 s[14:15], 0
	s_addc_u32 s18, s19, s18
	s_ashr_i32 s14, s13, 31
	s_add_u32 s12, s5, s14
	s_mov_b32 s15, s14
	s_addc_u32 s13, s13, s14
	s_xor_b64 s[12:13], s[12:13], s[14:15]
	s_mul_i32 s21, s12, s18
	s_mul_hi_u32 s23, s12, s20
	s_mul_hi_u32 s19, s12, s18
	s_add_u32 s21, s23, s21
	s_addc_u32 s19, 0, s19
	s_mul_hi_u32 s24, s13, s20
	s_mul_i32 s20, s13, s20
	s_add_u32 s20, s21, s20
	s_mul_hi_u32 s23, s13, s18
	s_addc_u32 s19, s19, s24
	s_addc_u32 s20, s23, 0
	s_mul_i32 s18, s13, s18
	s_add_u32 s23, s19, s18
	s_addc_u32 s24, 0, s20
	s_mul_i32 s18, s6, s24
	s_mul_hi_u32 s19, s6, s23
	s_add_i32 s18, s19, s18
	s_mul_i32 s19, s7, s23
	s_add_i32 s25, s18, s19
	s_sub_i32 s20, s13, s25
	s_mul_i32 s18, s6, s23
	s_sub_u32 s12, s12, s18
	s_cselect_b64 s[18:19], -1, 0
	s_cmp_lg_u64 s[18:19], 0
	s_subb_u32 s26, s20, s7
	s_sub_u32 s27, s12, s6
	s_cselect_b64 s[20:21], -1, 0
	s_cmp_lg_u64 s[20:21], 0
	s_subb_u32 s20, s26, 0
	s_cmp_ge_u32 s20, s7
	s_cselect_b32 s21, -1, 0
	s_cmp_ge_u32 s27, s6
	s_cselect_b32 s26, -1, 0
	s_cmp_eq_u32 s20, s7
	s_cselect_b32 s20, s26, s21
	s_add_u32 s21, s23, 1
	s_addc_u32 s26, s24, 0
	s_add_u32 s27, s23, 2
	s_addc_u32 s28, s24, 0
	s_cmp_lg_u32 s20, 0
	s_cselect_b32 s20, s27, s21
	s_cselect_b32 s21, s28, s26
	s_cmp_lg_u64 s[18:19], 0
	s_subb_u32 s13, s13, s25
	s_cmp_ge_u32 s13, s7
	s_cselect_b32 s18, -1, 0
	s_cmp_ge_u32 s12, s6
	s_cselect_b32 s6, -1, 0
	s_cmp_eq_u32 s13, s7
	s_cselect_b32 s6, s6, s18
	s_cmp_lg_u32 s6, 0
	s_cselect_b32 s7, s21, s24
	s_cselect_b32 s6, s20, s23
	s_xor_b64 s[12:13], s[14:15], 0
	s_xor_b64 s[6:7], s[6:7], s[12:13]
	s_sub_u32 s6, s6, s12
	s_load_dwordx4 s[12:15], s[0:1], 0x44
	s_cbranch_execnz .LBB39_3
.LBB39_2:
	v_cvt_f32_u32_e32 v1, s22
	s_sub_i32 s6, 0, s22
	v_rcp_iflag_f32_e32 v1, v1
	s_nop 0
	v_mul_f32_e32 v1, 0x4f7ffffe, v1
	v_cvt_u32_f32_e32 v1, v1
	s_nop 0
	v_readfirstlane_b32 s7, v1
	s_mul_i32 s6, s6, s7
	s_mul_hi_u32 s6, s7, s6
	s_add_i32 s7, s7, s6
	s_mul_hi_u32 s6, s5, s7
	s_waitcnt lgkmcnt(0)
	s_mul_i32 s15, s6, s22
	s_sub_i32 s5, s5, s15
	s_add_i32 s7, s6, 1
	s_sub_i32 s15, s5, s22
	s_cmp_ge_u32 s5, s22
	s_cselect_b32 s6, s7, s6
	s_cselect_b32 s5, s15, s5
	s_add_i32 s7, s6, 1
	s_cmp_ge_u32 s5, s22
	s_cselect_b32 s6, s7, s6
.LBB39_3:
	s_add_i32 s5, s2, 1
	s_mul_hi_i32 s21, s11, s5
	s_mov_b32 s20, 0
	s_cmp_lg_u64 s[20:21], 0
	s_mul_i32 s5, s11, s5
	s_cbranch_scc0 .LBB39_21
; %bb.4:
	s_add_u32 s16, s22, 0
	s_addc_u32 s17, 0, 0
	s_xor_b64 s[18:19], s[16:17], 0
	v_cvt_f32_u32_e32 v1, s18
	v_cvt_f32_u32_e32 v2, s19
	s_sub_u32 s7, 0, s18
	s_waitcnt lgkmcnt(0)
	s_subb_u32 s15, 0, s19
	v_fmamk_f32 v1, v2, 0x4f800000, v1
	v_rcp_f32_e32 v1, v1
	s_nop 0
	v_mul_f32_e32 v1, 0x5f7ffffc, v1
	v_mul_f32_e32 v2, 0x2f800000, v1
	v_trunc_f32_e32 v2, v2
	v_fmamk_f32 v1, v2, 0xcf800000, v1
	v_cvt_u32_f32_e32 v2, v2
	v_cvt_u32_f32_e32 v1, v1
	v_readfirstlane_b32 s20, v2
	v_readfirstlane_b32 s23, v1
	s_mul_i32 s24, s7, s20
	s_mul_hi_u32 s26, s7, s23
	s_mul_i32 s25, s15, s23
	s_add_i32 s24, s26, s24
	s_add_i32 s24, s24, s25
	s_mul_i32 s27, s7, s23
	s_mul_i32 s26, s23, s24
	s_mul_hi_u32 s28, s23, s27
	s_mul_hi_u32 s25, s23, s24
	s_add_u32 s26, s28, s26
	s_addc_u32 s25, 0, s25
	s_mul_hi_u32 s29, s20, s27
	s_mul_i32 s27, s20, s27
	s_add_u32 s26, s26, s27
	s_mul_hi_u32 s28, s20, s24
	s_addc_u32 s25, s25, s29
	s_addc_u32 s26, s28, 0
	s_mul_i32 s24, s20, s24
	s_add_u32 s24, s25, s24
	s_addc_u32 s26, 0, s26
	s_add_u32 s23, s23, s24
	s_cselect_b64 s[24:25], -1, 0
	s_cmp_lg_u64 s[24:25], 0
	s_addc_u32 s20, s20, s26
	s_mul_i32 s24, s7, s20
	s_mul_hi_u32 s25, s7, s23
	s_add_i32 s24, s25, s24
	s_mul_i32 s15, s15, s23
	s_add_i32 s24, s24, s15
	s_mul_i32 s7, s7, s23
	s_mul_hi_u32 s25, s20, s7
	s_mul_i32 s26, s20, s7
	s_mul_i32 s28, s23, s24
	s_mul_hi_u32 s7, s23, s7
	s_mul_hi_u32 s27, s23, s24
	s_add_u32 s7, s7, s28
	s_addc_u32 s27, 0, s27
	s_add_u32 s7, s7, s26
	s_mul_hi_u32 s15, s20, s24
	s_addc_u32 s7, s27, s25
	s_addc_u32 s15, s15, 0
	s_mul_i32 s24, s20, s24
	s_add_u32 s7, s7, s24
	s_addc_u32 s15, 0, s15
	s_add_u32 s7, s23, s7
	s_cselect_b64 s[24:25], -1, 0
	s_cmp_lg_u64 s[24:25], 0
	s_addc_u32 s15, s20, s15
	s_ashr_i32 s24, s21, 31
	s_add_u32 s20, s5, s24
	s_mov_b32 s25, s24
	s_addc_u32 s21, s21, s24
	s_xor_b64 s[20:21], s[20:21], s[24:25]
	s_mul_i32 s26, s20, s15
	s_mul_hi_u32 s27, s20, s7
	s_mul_hi_u32 s23, s20, s15
	s_add_u32 s26, s27, s26
	s_addc_u32 s23, 0, s23
	s_mul_hi_u32 s28, s21, s7
	s_mul_i32 s7, s21, s7
	s_add_u32 s7, s26, s7
	s_mul_hi_u32 s27, s21, s15
	s_addc_u32 s7, s23, s28
	s_addc_u32 s23, s27, 0
	s_mul_i32 s15, s21, s15
	s_add_u32 s7, s7, s15
	s_addc_u32 s15, 0, s23
	s_mul_i32 s23, s18, s15
	s_mul_hi_u32 s26, s18, s7
	s_add_i32 s23, s26, s23
	s_mul_i32 s26, s19, s7
	s_add_i32 s23, s23, s26
	s_sub_i32 s28, s21, s23
	s_mul_i32 s26, s18, s7
	s_sub_u32 s20, s20, s26
	s_cselect_b64 s[26:27], -1, 0
	s_cmp_lg_u64 s[26:27], 0
	s_subb_u32 s30, s28, s19
	s_sub_u32 s31, s20, s18
	s_cselect_b64 s[28:29], -1, 0
	s_cmp_lg_u64 s[28:29], 0
	s_subb_u32 s28, s30, 0
	s_cmp_ge_u32 s28, s19
	s_cselect_b32 s29, -1, 0
	s_cmp_ge_u32 s31, s18
	s_cselect_b32 s30, -1, 0
	s_cmp_eq_u32 s28, s19
	s_cselect_b32 s28, s30, s29
	s_add_u32 s29, s7, 1
	s_addc_u32 s30, s15, 0
	s_add_u32 s31, s7, 2
	s_addc_u32 s33, s15, 0
	s_cmp_lg_u32 s28, 0
	s_cselect_b32 s28, s31, s29
	s_cselect_b32 s29, s33, s30
	s_cmp_lg_u64 s[26:27], 0
	s_subb_u32 s21, s21, s23
	s_cmp_ge_u32 s21, s19
	s_cselect_b32 s23, -1, 0
	s_cmp_ge_u32 s20, s18
	s_cselect_b32 s18, -1, 0
	s_cmp_eq_u32 s21, s19
	s_cselect_b32 s18, s18, s23
	s_cmp_lg_u32 s18, 0
	s_cselect_b32 s19, s29, s15
	s_cselect_b32 s18, s28, s7
	s_xor_b64 s[20:21], s[24:25], 0
	s_xor_b64 s[18:19], s[18:19], s[20:21]
	s_sub_u32 s18, s18, s20
	s_cbranch_execnz .LBB39_6
.LBB39_5:
	v_cvt_f32_u32_e32 v1, s22
	s_sub_i32 s7, 0, s22
	v_rcp_iflag_f32_e32 v1, v1
	s_nop 0
	v_mul_f32_e32 v1, 0x4f7ffffe, v1
	v_cvt_u32_f32_e32 v1, v1
	s_waitcnt lgkmcnt(0)
	v_readfirstlane_b32 s15, v1
	s_mul_i32 s7, s7, s15
	s_mul_hi_u32 s7, s15, s7
	s_add_i32 s15, s15, s7
	s_mul_hi_u32 s7, s5, s15
	s_mul_i32 s16, s7, s22
	s_sub_i32 s5, s5, s16
	s_add_i32 s15, s7, 1
	s_sub_i32 s16, s5, s22
	s_cmp_ge_u32 s5, s22
	s_cselect_b32 s7, s15, s7
	s_cselect_b32 s5, s16, s5
	s_add_i32 s15, s7, 1
	s_cmp_ge_u32 s5, s22
	s_cselect_b32 s18, s15, s7
.LBB39_6:
	s_cmp_eq_u32 s6, s18
	s_waitcnt lgkmcnt(0)
	s_mul_hi_u32 s5, s6, s12
	s_cselect_b64 s[16:17], -1, 0
	s_add_i32 s5, s5, s6
	s_lshr_b32 s7, s5, s13
	s_mul_i32 s5, s7, s14
	s_cmp_eq_u32 s5, s6
	s_mul_hi_u32 s5, s18, s12
	s_cselect_b64 s[20:21], -1, 0
	s_add_i32 s5, s5, s18
	s_lshr_b32 s5, s5, s13
	s_cmp_eq_u32 s7, s5
	s_mul_i32 s5, s5, s14
	s_cselect_b64 s[24:25], -1, 0
	s_cmp_lg_u32 s5, s18
	s_cselect_b64 s[18:19], -1, 0
	s_and_b64 s[18:19], s[24:25], s[18:19]
	s_or_b64 s[16:17], s[16:17], s[20:21]
	s_or_b64 s[16:17], s[16:17], s[18:19]
	s_and_b64 vcc, exec, s[16:17]
	s_cbranch_vccnz .LBB39_23
; %bb.7:
	s_load_dwordx8 s[24:31], s[0:1], 0x20
	s_load_dword s5, s[0:1], 0x40
	s_waitcnt lgkmcnt(0)
	s_mul_hi_u32 s15, s6, s24
	s_add_i32 s15, s15, s6
	s_lshr_b32 s20, s15, s25
	s_mul_i32 s15, s20, s26
	s_sub_i32 s15, s6, s15
	s_mul_hi_u32 s16, s15, s27
	s_add_i32 s16, s15, s16
	s_lshr_b32 s21, s16, s28
	s_mul_i32 s16, s21, s29
	s_sub_i32 s15, s15, s16
	;; [unrolled: 5-line block ×3, first 2 shown]
	s_mul_hi_u32 s15, s5, s12
	s_add_i32 s5, s5, s15
	s_lshr_b32 s23, s5, s13
	s_lshl_b32 s5, s23, 4
	s_lshl_b32 s24, s16, 1
	s_add_i32 s5, s5, s3
	s_cmp_lt_i32 s5, s8
	s_cselect_b64 s[16:17], -1, 0
	s_add_i32 s24, s24, s4
	s_cmp_lt_i32 s24, s10
	s_cselect_b64 s[18:19], -1, 0
	s_and_b64 s[16:17], s[16:17], s[18:19]
	s_andn2_b64 vcc, exec, s[16:17]
	s_cbranch_vccnz .LBB39_23
; %bb.8:
	s_load_dwordx4 s[16:19], s[0:1], 0x0
	s_mov_b32 s0, 0
	s_lshl_b32 s15, s3, 1
	s_lshl_b32 s26, s22, 7
	s_mov_b32 s27, s0
	s_add_i32 s15, s15, s4
	s_lshl_b64 s[4:5], s[26:27], 2
	s_waitcnt lgkmcnt(0)
	s_add_u32 s4, s18, s4
	s_mul_i32 s1, s20, s8
	s_addc_u32 s5, s19, s5
	s_mul_i32 s21, s21, s10
	s_add_i32 s1, s1, s3
	s_mul_i32 s1, s1, s9
	s_add_i32 s3, s24, s21
	s_mul_i32 s8, s9, s23
	s_add_i32 s1, s3, s1
	s_mulk_i32 s8, 0x700
	s_mulk_i32 s1, 0x70
	s_add_i32 s8, s8, s1
	v_add_u32_e32 v4, s8, v0
	v_mov_b32_e32 v2, s16
	v_mov_b32_e32 v3, s17
	v_ashrrev_i32_e32 v5, 31, v4
	v_lshl_add_u64 v[2:3], v[4:5], 2, v[2:3]
	global_load_dword v1, v[2:3], off
	v_cvt_f32_u32_e32 v4, s22
	s_lshl_b32 s1, s2, 5
	s_add_i32 s8, s15, s1
	s_ashr_i32 s9, s8, 31
	s_lshl_b64 s[8:9], s[8:9], 3
	v_rcp_iflag_f32_e32 v4, v4
	s_add_u32 s8, s18, s8
	s_addc_u32 s9, s19, s9
	s_load_dwordx2 s[8:9], s[8:9], 0x0
	v_mul_f32_e32 v4, 0x4f7ffffe, v4
	v_cvt_u32_f32_e32 v7, v4
	s_mul_i32 s1, s15, 0x70
	s_add_i32 s21, s2, -1
	v_add_u32_e32 v6, s1, v0
	s_waitcnt lgkmcnt(0)
	v_mov_b32_e32 v0, s9
	v_mov_b32_e32 v9, s8
	s_mov_b32 s10, 0x3fb8aa3b
	s_mov_b32 s20, 0xc2ce8ed0
	;; [unrolled: 1-line block ×4, first 2 shown]
	v_mov_b32_e32 v8, 0x7f800000
	s_mul_hi_i32 s1, s21, s11
	s_cmp_lg_u64 s[0:1], 0
	s_mul_i32 s16, s21, s11
	s_cbranch_scc0 .LBB39_19
.LBB39_9:
	s_add_u32 s2, s22, 0
	s_addc_u32 s3, 0, 0
	s_xor_b64 s[2:3], s[2:3], 0
	v_cvt_f32_u32_e32 v4, s2
	v_cvt_f32_u32_e32 v5, s3
	s_sub_u32 s17, 0, s2
	s_subb_u32 s25, 0, s3
	v_fmac_f32_e32 v4, 0x4f800000, v5
	v_rcp_f32_e32 v4, v4
	s_nop 0
	v_mul_f32_e32 v4, 0x5f7ffffc, v4
	v_mul_f32_e32 v5, 0x2f800000, v4
	v_trunc_f32_e32 v5, v5
	v_fmac_f32_e32 v4, 0xcf800000, v5
	v_cvt_u32_f32_e32 v5, v5
	v_cvt_u32_f32_e32 v4, v4
	v_readfirstlane_b32 s26, v5
	v_readfirstlane_b32 s8, v4
	s_mul_i32 s9, s17, s26
	s_mul_hi_u32 s28, s17, s8
	s_mul_i32 s27, s25, s8
	s_add_i32 s9, s28, s9
	s_mul_i32 s29, s17, s8
	s_add_i32 s9, s9, s27
	s_mul_i32 s28, s8, s9
	s_mul_hi_u32 s30, s8, s29
	s_mul_hi_u32 s27, s8, s9
	s_add_u32 s28, s30, s28
	s_addc_u32 s27, 0, s27
	s_mul_hi_u32 s31, s26, s29
	s_mul_i32 s29, s26, s29
	s_add_u32 s28, s28, s29
	s_mul_hi_u32 s30, s26, s9
	s_addc_u32 s27, s27, s31
	s_addc_u32 s28, s30, 0
	s_mul_i32 s9, s26, s9
	s_add_u32 s9, s27, s9
	s_addc_u32 s27, 0, s28
	s_add_u32 s28, s8, s9
	s_cselect_b64 s[8:9], -1, 0
	s_cmp_lg_u64 s[8:9], 0
	s_addc_u32 s26, s26, s27
	s_mul_i32 s8, s17, s26
	s_mul_hi_u32 s9, s17, s28
	s_add_i32 s8, s9, s8
	s_mul_i32 s25, s25, s28
	s_add_i32 s8, s8, s25
	s_mul_i32 s17, s17, s28
	s_mul_hi_u32 s25, s26, s17
	s_mul_i32 s27, s26, s17
	s_mul_i32 s30, s28, s8
	s_mul_hi_u32 s17, s28, s17
	s_mul_hi_u32 s29, s28, s8
	s_add_u32 s17, s17, s30
	s_addc_u32 s29, 0, s29
	s_add_u32 s17, s17, s27
	s_mul_hi_u32 s9, s26, s8
	s_addc_u32 s17, s29, s25
	s_addc_u32 s9, s9, 0
	s_mul_i32 s8, s26, s8
	s_add_u32 s8, s17, s8
	s_addc_u32 s17, 0, s9
	s_add_u32 s25, s28, s8
	s_cselect_b64 s[8:9], -1, 0
	s_cmp_lg_u64 s[8:9], 0
	s_addc_u32 s17, s26, s17
	s_ashr_i32 s8, s1, 31
	s_add_u32 s26, s16, s8
	s_mov_b32 s9, s8
	s_addc_u32 s27, s1, s8
	s_xor_b64 s[26:27], s[26:27], s[8:9]
	s_mul_i32 s28, s26, s17
	s_mul_hi_u32 s29, s26, s25
	s_mul_hi_u32 s1, s26, s17
	s_add_u32 s28, s29, s28
	s_addc_u32 s1, 0, s1
	s_mul_hi_u32 s30, s27, s25
	s_mul_i32 s25, s27, s25
	s_add_u32 s25, s28, s25
	s_mul_hi_u32 s29, s27, s17
	s_addc_u32 s1, s1, s30
	s_addc_u32 s25, s29, 0
	s_mul_i32 s17, s27, s17
	s_add_u32 s1, s1, s17
	s_addc_u32 s17, 0, s25
	s_mul_i32 s25, s2, s17
	s_mul_hi_u32 s28, s2, s1
	s_add_i32 s25, s28, s25
	s_mul_i32 s28, s3, s1
	s_add_i32 s25, s25, s28
	s_sub_i32 s30, s27, s25
	s_mul_i32 s28, s2, s1
	s_sub_u32 s26, s26, s28
	s_cselect_b64 s[28:29], -1, 0
	s_cmp_lg_u64 s[28:29], 0
	s_subb_u32 s33, s30, s3
	s_sub_u32 s34, s26, s2
	s_cselect_b64 s[30:31], -1, 0
	s_cmp_lg_u64 s[30:31], 0
	s_subb_u32 s30, s33, 0
	s_cmp_ge_u32 s30, s3
	s_cselect_b32 s31, -1, 0
	s_cmp_ge_u32 s34, s2
	s_cselect_b32 s33, -1, 0
	s_cmp_eq_u32 s30, s3
	s_cselect_b32 s30, s33, s31
	s_add_u32 s31, s1, 1
	s_addc_u32 s33, s17, 0
	s_add_u32 s34, s1, 2
	s_addc_u32 s35, s17, 0
	s_cmp_lg_u32 s30, 0
	s_cselect_b32 s30, s34, s31
	s_cselect_b32 s31, s35, s33
	s_cmp_lg_u64 s[28:29], 0
	s_subb_u32 s25, s27, s25
	s_cmp_ge_u32 s25, s3
	s_cselect_b32 s27, -1, 0
	s_cmp_ge_u32 s26, s2
	s_cselect_b32 s2, -1, 0
	s_cmp_eq_u32 s25, s3
	s_cselect_b32 s2, s2, s27
	s_cmp_lg_u32 s2, 0
	s_cselect_b32 s3, s31, s17
	s_cselect_b32 s2, s30, s1
	s_xor_b64 s[8:9], s[8:9], 0
	s_xor_b64 s[2:3], s[2:3], s[8:9]
	s_sub_u32 s8, s2, s8
	s_cbranch_execnz .LBB39_11
.LBB39_10:
	s_sub_i32 s1, 0, s22
	v_readfirstlane_b32 s2, v7
	s_mul_i32 s1, s1, s2
	s_mul_hi_u32 s1, s2, s1
	s_add_i32 s2, s2, s1
	s_mul_hi_u32 s1, s16, s2
	s_mul_i32 s3, s1, s22
	s_sub_i32 s3, s16, s3
	s_add_i32 s2, s1, 1
	s_sub_i32 s8, s3, s22
	s_cmp_ge_u32 s3, s22
	s_cselect_b32 s1, s2, s1
	s_cselect_b32 s3, s8, s3
	s_add_i32 s2, s1, 1
	s_cmp_ge_u32 s3, s22
	s_cselect_b32 s8, s2, s1
.LBB39_11:
	s_cmp_lg_u32 s6, s8
	s_cbranch_scc0 .LBB39_15
; %bb.12:
	s_add_i32 s1, s21, s22
	s_lshl_b32 s1, s1, 5
	s_add_i32 s2, s1, s15
	s_mov_b32 s3, s0
	s_lshl_b64 s[2:3], s[2:3], 3
	s_add_u32 s16, s18, s2
	s_mul_hi_u32 s1, s8, s12
	s_addc_u32 s17, s19, s3
	s_add_i32 s1, s1, s8
	s_lshr_b32 s1, s1, s13
	s_mul_i32 s2, s1, s14
	s_cmp_eq_u32 s2, s8
	s_cselect_b64 s[2:3], -1, 0
	s_cmp_lt_u32 s1, s7
	s_cselect_b64 s[26:27], -1, 0
	s_or_b64 s[26:27], s[26:27], s[2:3]
	s_mov_b64 s[2:3], -1
	s_and_b64 vcc, exec, s[26:27]
	s_mov_b32 s1, s21
	s_mov_b32 s25, s6
	s_cbranch_vccnz .LBB39_14
; %bb.13:
	s_add_i32 s1, s21, -1
	s_mov_b64 s[2:3], 0
	s_mov_b32 s25, s8
.LBB39_14:
	s_mul_i32 s8, s21, 0xe00
	v_add_u32_e32 v4, s8, v6
	v_ashrrev_i32_e32 v5, 31, v4
	v_lshl_add_u64 v[4:5], v[4:5], 2, s[4:5]
	global_load_dword v5, v[4:5], off
	s_load_dwordx2 s[8:9], s[16:17], 0x0
	v_max_f32_e32 v4, v9, v9
	s_waitcnt lgkmcnt(0)
	v_max_f32_e64 v10, s8, s8
	v_max_f32_e32 v10, v4, v10
	v_sub_f32_e32 v11, v9, v10
	v_sub_f32_e32 v13, s8, v10
	v_mul_f32_e32 v4, 0x3fb8aa3b, v11
	v_mul_f32_e32 v12, 0x3fb8aa3b, v13
	v_fma_f32 v14, v11, s10, -v4
	v_rndne_f32_e32 v15, v4
	v_fma_f32 v16, v13, s10, -v12
	v_rndne_f32_e32 v17, v12
	v_fmac_f32_e32 v14, 0x32a5705f, v11
	v_sub_f32_e32 v4, v4, v15
	v_fmac_f32_e32 v16, 0x32a5705f, v13
	v_sub_f32_e32 v12, v12, v17
	v_add_f32_e32 v4, v4, v14
	v_cvt_i32_f32_e32 v15, v15
	v_add_f32_e32 v12, v12, v16
	v_exp_f32_e32 v14, v4
	v_cvt_i32_f32_e32 v17, v17
	v_exp_f32_e32 v12, v12
	v_cmp_ngt_f32_e32 vcc, s20, v11
	v_ldexp_f32 v14, v14, v15
	v_mov_b32_e32 v4, s9
	v_ldexp_f32 v12, v12, v17
	v_cndmask_b32_e32 v14, 0, v14, vcc
	v_cmp_ngt_f32_e32 vcc, s20, v13
	s_nop 1
	v_cndmask_b32_e32 v12, 0, v12, vcc
	v_cmp_nlt_f32_e32 vcc, s23, v11
	s_nop 1
	v_cndmask_b32_e32 v14, v8, v14, vcc
	v_cmp_nlt_f32_e32 vcc, s23, v13
	s_nop 1
	v_cndmask_b32_e32 v15, v8, v12, vcc
	v_cmp_le_f32_e32 vcc, s24, v11
	s_nop 1
	v_cndmask_b32_e32 v12, 0, v14, vcc
	v_cmp_le_f32_e32 vcc, s24, v13
	s_nop 1
	v_cndmask_b32_e32 v14, 0, v15, vcc
	s_waitcnt vmcnt(0)
	v_pk_mul_f32 v[4:5], v[4:5], v[14:15] op_sel_hi:[1,0]
	s_nop 0
	v_pk_fma_f32 v[4:5], v[0:1], v[12:13], v[4:5] op_sel_hi:[1,0,1]
	s_cbranch_execz .LBB39_16
	s_branch .LBB39_17
.LBB39_15:
                                        ; implicit-def: $vgpr4_vgpr5
                                        ; implicit-def: $sgpr2_sgpr3
                                        ; implicit-def: $vgpr10
                                        ; implicit-def: $sgpr1
                                        ; implicit-def: $sgpr25
.LBB39_16:
	s_add_i32 s1, s21, -1
	s_mov_b64 s[2:3], 0
	s_mov_b32 s25, s6
	v_mov_b32_e32 v10, v9
	s_waitcnt vmcnt(0)
	v_mov_b64_e32 v[4:5], v[0:1]
.LBB39_17:
	s_andn2_b64 vcc, exec, s[2:3]
	s_cbranch_vccz .LBB39_22
; %bb.18:
	s_mov_b32 s6, s25
	s_mov_b32 s21, s1
	v_mov_b32_e32 v9, v10
	s_waitcnt vmcnt(0)
	v_mov_b64_e32 v[0:1], v[4:5]
	s_mul_hi_i32 s1, s21, s11
	s_cmp_lg_u64 s[0:1], 0
	s_mul_i32 s16, s21, s11
	s_cbranch_scc1 .LBB39_9
.LBB39_19:
                                        ; implicit-def: $sgpr8_sgpr9
	s_branch .LBB39_10
.LBB39_20:
                                        ; implicit-def: $sgpr6_sgpr7
	s_load_dwordx4 s[12:15], s[0:1], 0x44
	s_branch .LBB39_2
.LBB39_21:
                                        ; implicit-def: $sgpr18_sgpr19
	s_branch .LBB39_5
.LBB39_22:
	v_div_scale_f32 v0, s[0:1], v4, v4, v5
	s_waitcnt vmcnt(0)
	v_rcp_f32_e32 v1, v0
	v_div_scale_f32 v6, vcc, v5, v4, v5
	v_fma_f32 v7, -v0, v1, 1.0
	v_fmac_f32_e32 v1, v7, v1
	v_mul_f32_e32 v7, v6, v1
	v_fma_f32 v8, -v0, v7, v6
	v_fmac_f32_e32 v7, v8, v1
	v_fma_f32 v0, -v0, v7, v6
	v_div_fmas_f32 v0, v0, v1, v7
	v_div_fixup_f32 v0, v0, v4, v5
	global_store_dword v[2:3], v0, off
.LBB39_23:
	s_endpgm
	.section	.rodata,"a",@progbits
	.p2align	6, 0x0
	.amdhsa_kernel _ZL33flash_attn_stream_k_fixup_generalILi112ELi16ELi2EEvPfPK15HIP_vector_typeIfLj2EEiiiiS1_IjLj3EES5_S5_S5_
		.amdhsa_group_segment_fixed_size 0
		.amdhsa_private_segment_fixed_size 0
		.amdhsa_kernarg_size 336
		.amdhsa_user_sgpr_count 2
		.amdhsa_user_sgpr_dispatch_ptr 0
		.amdhsa_user_sgpr_queue_ptr 0
		.amdhsa_user_sgpr_kernarg_segment_ptr 1
		.amdhsa_user_sgpr_dispatch_id 0
		.amdhsa_user_sgpr_kernarg_preload_length 0
		.amdhsa_user_sgpr_kernarg_preload_offset 0
		.amdhsa_user_sgpr_private_segment_size 0
		.amdhsa_uses_dynamic_stack 0
		.amdhsa_enable_private_segment 0
		.amdhsa_system_sgpr_workgroup_id_x 1
		.amdhsa_system_sgpr_workgroup_id_y 1
		.amdhsa_system_sgpr_workgroup_id_z 1
		.amdhsa_system_sgpr_workgroup_info 0
		.amdhsa_system_vgpr_workitem_id 0
		.amdhsa_next_free_vgpr 18
		.amdhsa_next_free_sgpr 36
		.amdhsa_accum_offset 20
		.amdhsa_reserve_vcc 1
		.amdhsa_float_round_mode_32 0
		.amdhsa_float_round_mode_16_64 0
		.amdhsa_float_denorm_mode_32 3
		.amdhsa_float_denorm_mode_16_64 3
		.amdhsa_dx10_clamp 1
		.amdhsa_ieee_mode 1
		.amdhsa_fp16_overflow 0
		.amdhsa_tg_split 0
		.amdhsa_exception_fp_ieee_invalid_op 0
		.amdhsa_exception_fp_denorm_src 0
		.amdhsa_exception_fp_ieee_div_zero 0
		.amdhsa_exception_fp_ieee_overflow 0
		.amdhsa_exception_fp_ieee_underflow 0
		.amdhsa_exception_fp_ieee_inexact 0
		.amdhsa_exception_int_div_zero 0
	.end_amdhsa_kernel
	.section	.text._ZL33flash_attn_stream_k_fixup_generalILi112ELi16ELi2EEvPfPK15HIP_vector_typeIfLj2EEiiiiS1_IjLj3EES5_S5_S5_,"axG",@progbits,_ZL33flash_attn_stream_k_fixup_generalILi112ELi16ELi2EEvPfPK15HIP_vector_typeIfLj2EEiiiiS1_IjLj3EES5_S5_S5_,comdat
.Lfunc_end39:
	.size	_ZL33flash_attn_stream_k_fixup_generalILi112ELi16ELi2EEvPfPK15HIP_vector_typeIfLj2EEiiiiS1_IjLj3EES5_S5_S5_, .Lfunc_end39-_ZL33flash_attn_stream_k_fixup_generalILi112ELi16ELi2EEvPfPK15HIP_vector_typeIfLj2EEiiiiS1_IjLj3EES5_S5_S5_
                                        ; -- End function
	.set _ZL33flash_attn_stream_k_fixup_generalILi112ELi16ELi2EEvPfPK15HIP_vector_typeIfLj2EEiiiiS1_IjLj3EES5_S5_S5_.num_vgpr, 18
	.set _ZL33flash_attn_stream_k_fixup_generalILi112ELi16ELi2EEvPfPK15HIP_vector_typeIfLj2EEiiiiS1_IjLj3EES5_S5_S5_.num_agpr, 0
	.set _ZL33flash_attn_stream_k_fixup_generalILi112ELi16ELi2EEvPfPK15HIP_vector_typeIfLj2EEiiiiS1_IjLj3EES5_S5_S5_.numbered_sgpr, 36
	.set _ZL33flash_attn_stream_k_fixup_generalILi112ELi16ELi2EEvPfPK15HIP_vector_typeIfLj2EEiiiiS1_IjLj3EES5_S5_S5_.num_named_barrier, 0
	.set _ZL33flash_attn_stream_k_fixup_generalILi112ELi16ELi2EEvPfPK15HIP_vector_typeIfLj2EEiiiiS1_IjLj3EES5_S5_S5_.private_seg_size, 0
	.set _ZL33flash_attn_stream_k_fixup_generalILi112ELi16ELi2EEvPfPK15HIP_vector_typeIfLj2EEiiiiS1_IjLj3EES5_S5_S5_.uses_vcc, 1
	.set _ZL33flash_attn_stream_k_fixup_generalILi112ELi16ELi2EEvPfPK15HIP_vector_typeIfLj2EEiiiiS1_IjLj3EES5_S5_S5_.uses_flat_scratch, 0
	.set _ZL33flash_attn_stream_k_fixup_generalILi112ELi16ELi2EEvPfPK15HIP_vector_typeIfLj2EEiiiiS1_IjLj3EES5_S5_S5_.has_dyn_sized_stack, 0
	.set _ZL33flash_attn_stream_k_fixup_generalILi112ELi16ELi2EEvPfPK15HIP_vector_typeIfLj2EEiiiiS1_IjLj3EES5_S5_S5_.has_recursion, 0
	.set _ZL33flash_attn_stream_k_fixup_generalILi112ELi16ELi2EEvPfPK15HIP_vector_typeIfLj2EEiiiiS1_IjLj3EES5_S5_S5_.has_indirect_call, 0
	.section	.AMDGPU.csdata,"",@progbits
; Kernel info:
; codeLenInByte = 2944
; TotalNumSgprs: 42
; NumVgprs: 18
; NumAgprs: 0
; TotalNumVgprs: 18
; ScratchSize: 0
; MemoryBound: 0
; FloatMode: 240
; IeeeMode: 1
; LDSByteSize: 0 bytes/workgroup (compile time only)
; SGPRBlocks: 5
; VGPRBlocks: 2
; NumSGPRsForWavesPerEU: 42
; NumVGPRsForWavesPerEU: 18
; AccumOffset: 20
; Occupancy: 8
; WaveLimiterHint : 0
; COMPUTE_PGM_RSRC2:SCRATCH_EN: 0
; COMPUTE_PGM_RSRC2:USER_SGPR: 2
; COMPUTE_PGM_RSRC2:TRAP_HANDLER: 0
; COMPUTE_PGM_RSRC2:TGID_X_EN: 1
; COMPUTE_PGM_RSRC2:TGID_Y_EN: 1
; COMPUTE_PGM_RSRC2:TGID_Z_EN: 1
; COMPUTE_PGM_RSRC2:TIDIG_COMP_CNT: 0
; COMPUTE_PGM_RSRC3_GFX90A:ACCUM_OFFSET: 4
; COMPUTE_PGM_RSRC3_GFX90A:TG_SPLIT: 0
	.section	.text._ZL15flash_attn_tileILi112ELi112ELi8ELi2ELb0EEvPKcS1_S1_S1_S1_PKiPfP15HIP_vector_typeIfLj2EEffffjfiS5_IjLj3EEiiiiiiiiiiiliiliiiiil,"axG",@progbits,_ZL15flash_attn_tileILi112ELi112ELi8ELi2ELb0EEvPKcS1_S1_S1_S1_PKiPfP15HIP_vector_typeIfLj2EEffffjfiS5_IjLj3EEiiiiiiiiiiiliiliiiiil,comdat
	.globl	_ZL15flash_attn_tileILi112ELi112ELi8ELi2ELb0EEvPKcS1_S1_S1_S1_PKiPfP15HIP_vector_typeIfLj2EEffffjfiS5_IjLj3EEiiiiiiiiiiiliiliiiiil ; -- Begin function _ZL15flash_attn_tileILi112ELi112ELi8ELi2ELb0EEvPKcS1_S1_S1_S1_PKiPfP15HIP_vector_typeIfLj2EEffffjfiS5_IjLj3EEiiiiiiiiiiiliiliiiiil
	.p2align	8
	.type	_ZL15flash_attn_tileILi112ELi112ELi8ELi2ELb0EEvPKcS1_S1_S1_S1_PKiPfP15HIP_vector_typeIfLj2EEffffjfiS5_IjLj3EEiiiiiiiiiiiliiliiiiil,@function
_ZL15flash_attn_tileILi112ELi112ELi8ELi2ELb0EEvPKcS1_S1_S1_S1_PKiPfP15HIP_vector_typeIfLj2EEffffjfiS5_IjLj3EEiiiiiiiiiiiliiliiiiil: ; @_ZL15flash_attn_tileILi112ELi112ELi8ELi2ELb0EEvPKcS1_S1_S1_S1_PKiPfP15HIP_vector_typeIfLj2EEffffjfiS5_IjLj3EEiiiiiiiiiiiliiliiiiil
; %bb.0:
	s_load_dwordx4 s[36:39], s[0:1], 0x5c
	s_load_dwordx2 s[40:41], s[0:1], 0x80
	s_load_dwordx16 s[16:31], s[0:1], 0x0
	s_mov_b64 s[42:43], 0
	s_waitcnt lgkmcnt(0)
	s_lshr_b32 s5, s39, 31
	s_add_i32 s5, s39, s5
	s_ashr_i32 s5, s5, 1
	v_cvt_f32_u32_e32 v1, s5
	s_sub_i32 s6, 0, s5
	v_rcp_iflag_f32_e32 v1, v1
	s_nop 0
	v_mul_f32_e32 v1, 0x4f7ffffe, v1
	v_cvt_u32_f32_e32 v1, v1
	s_nop 0
	v_readfirstlane_b32 s7, v1
	s_mul_i32 s6, s6, s7
	s_mul_hi_u32 s6, s7, s6
	s_add_i32 s7, s7, s6
	s_mul_hi_u32 s6, s4, s7
	s_mul_i32 s7, s6, s5
	s_sub_i32 s7, s4, s7
	s_add_i32 s8, s6, 1
	s_sub_i32 s9, s7, s5
	s_cmp_ge_u32 s7, s5
	s_cselect_b32 s6, s8, s6
	s_cselect_b32 s7, s9, s7
	s_add_i32 s8, s6, 1
	s_cmp_ge_u32 s7, s5
	s_cselect_b32 s33, s8, s6
	s_abs_i32 s5, s41
	v_cvt_f32_u32_e32 v1, s5
	s_sub_i32 s8, 0, s5
	s_abs_i32 s7, s39
	s_xor_b32 s6, s39, s41
	v_rcp_iflag_f32_e32 v1, v1
	s_lshl_b32 s4, s4, 1
	s_ashr_i32 s6, s6, 31
	v_mul_f32_e32 v1, 0x4f7ffffe, v1
	v_cvt_u32_f32_e32 v1, v1
	s_nop 0
	v_readfirstlane_b32 s9, v1
	s_mul_i32 s8, s8, s9
	s_mul_hi_u32 s8, s9, s8
	s_add_i32 s9, s9, s8
	s_mul_hi_u32 s8, s7, s9
	s_mul_i32 s9, s8, s5
	s_sub_i32 s7, s7, s9
	s_add_i32 s10, s8, 1
	s_sub_i32 s9, s7, s5
	s_cmp_ge_u32 s7, s5
	s_cselect_b32 s8, s10, s8
	s_cselect_b32 s7, s9, s7
	s_add_i32 s9, s8, 1
	s_cmp_ge_u32 s7, s5
	s_cselect_b32 s5, s9, s8
	s_xor_b32 s5, s5, s6
	s_sub_i32 s13, s5, s6
	s_abs_i32 s12, s13
	v_cvt_f32_u32_e32 v1, s12
	s_load_dwordx2 s[8:9], s[0:1], 0xb8
	s_mul_i32 s5, s33, s39
	s_cmp_eq_u64 s[22:23], 0
	v_rcp_iflag_f32_e32 v1, v1
	s_nop 0
	v_mul_f32_e32 v1, 0x4f7ffffe, v1
	v_cvt_u32_f32_e32 v1, v1
	s_nop 0
	v_readfirstlane_b32 s14, v1
	s_cbranch_scc1 .LBB40_2
; %bb.1:
	s_waitcnt lgkmcnt(0)
	s_abs_i32 s8, s8
	v_cvt_f32_u32_e32 v1, s8
	s_sub_i32 s15, 0, s8
	s_abs_i32 s11, s33
	s_ashr_i32 s10, s33, 31
	v_rcp_iflag_f32_e32 v1, v1
	s_load_dwordx2 s[6:7], s[0:1], 0xc8
	v_mul_f32_e32 v1, 0x4f7ffffe, v1
	v_cvt_u32_f32_e32 v1, v1
	s_nop 0
	v_readfirstlane_b32 s34, v1
	s_mul_i32 s15, s15, s34
	s_mul_hi_u32 s15, s34, s15
	s_add_i32 s34, s34, s15
	s_mul_hi_u32 s15, s11, s34
	s_mul_i32 s15, s15, s8
	s_sub_i32 s11, s11, s15
	s_sub_i32 s15, s11, s8
	s_cmp_ge_u32 s11, s8
	s_cselect_b32 s11, s15, s11
	s_sub_i32 s15, s11, s8
	s_cmp_ge_u32 s11, s8
	s_cselect_b32 s8, s15, s11
	s_xor_b32 s8, s8, s10
	s_sub_i32 s8, s8, s10
	s_ashr_i32 s10, s8, 31
	s_waitcnt lgkmcnt(0)
	s_mul_hi_u32 s11, s6, s8
	s_mul_i32 s10, s6, s10
	s_mul_i32 s7, s7, s8
	s_add_i32 s10, s11, s10
	s_add_i32 s10, s10, s7
	s_mul_i32 s6, s6, s8
	s_add_u32 s42, s22, s6
	s_addc_u32 s43, s23, s10
.LBB40_2:
	v_bfe_u32 v1, v0, 10, 10
	v_lshl_add_u32 v49, s2, 3, v1
	v_and_b32_e32 v50, 0x3ff, v0
	v_mul_hi_u32 v0, s36, v49
	v_add_u32_e32 v0, v49, v0
	v_lshrrev_b32_e32 v0, s37, v0
	v_mul_lo_u32 v0, v0, s38
	s_sub_i32 s34, s4, s5
	v_cmp_gt_u32_e64 s[22:23], 28, v50
	v_sub_u32_e32 v0, v49, v0
	v_lshlrev_b32_e32 v48, 2, v50
	v_lshlrev_b32_e32 v51, 3, v50
	s_and_saveexec_b64 s[10:11], s[22:23]
	s_cbranch_execz .LBB40_4
; %bb.3:
	s_load_dwordx4 s[4:7], s[0:1], 0x70
	s_waitcnt lgkmcnt(0)
	s_mul_i32 s7, s33, s6
	s_ashr_i32 s15, s7, 31
	s_mul_i32 s8, s34, s5
	s_add_u32 s7, s16, s7
	s_addc_u32 s15, s17, s15
	s_ashr_i32 s17, s8, 31
	s_add_u32 s16, s7, s8
	s_mov_b32 s6, s4
	s_addc_u32 s17, s15, s17
	s_ashr_i32 s7, s4, 31
	s_lshr_b64 s[36:37], s[6:7], 2
	s_lshr_b32 s4, s7, 2
	v_mad_u64_u32 v[2:3], s[6:7], s36, v0, 0
	v_mov_b32_e32 v4, v3
	v_mad_u64_u32 v[4:5], s[6:7], s4, v0, v[4:5]
	v_mov_b32_e32 v3, v4
	v_lshl_add_u64 v[2:3], v[2:3], 2, s[16:17]
	v_lshlrev_b32_e32 v4, 2, v48
	v_mov_b32_e32 v5, 0
	v_lshl_add_u64 v[6:7], v[2:3], 0, v[4:5]
	s_ashr_i32 s7, s5, 31
	s_and_b32 s6, s5, -4
	global_load_dwordx4 v[2:5], v[6:7], off
	v_lshl_add_u64 v[6:7], v[6:7], 0, s[6:7]
	global_load_dwordx4 v[6:9], v[6:7], off
	s_load_dword s4, s[0:1], 0x40
	s_movk_i32 s5, 0x1c0
	v_mad_u32_u24 v10, v1, s5, v51
	s_waitcnt vmcnt(1) lgkmcnt(0)
	v_fma_mixlo_f16 v2, s4, v2, 0
	v_fma_mixlo_f16 v3, s4, v3, 0
	;; [unrolled: 1-line block ×4, first 2 shown]
	v_lshlrev_b32_e32 v3, 16, v3
	v_and_b32_e32 v2, 0xffff, v2
	v_lshlrev_b32_e32 v5, 16, v5
	v_and_b32_e32 v4, 0xffff, v4
	s_waitcnt vmcnt(0)
	v_fma_mixlo_f16 v6, s4, v6, 0
	v_fma_mixlo_f16 v7, s4, v7, 0
	;; [unrolled: 1-line block ×4, first 2 shown]
	v_or_b32_e32 v2, v3, v2
	v_or3_b32 v3, v5, v4, 0
	v_lshlrev_b32_e32 v4, 16, v7
	v_and_b32_e32 v5, 0xffff, v6
	v_lshlrev_b32_e32 v6, 16, v9
	v_and_b32_e32 v7, 0xffff, v8
	v_or_b32_e32 v4, v4, v5
	v_or3_b32 v2, 0, 0, v2
	v_or3_b32 v5, v6, v7, 0
	;; [unrolled: 1-line block ×3, first 2 shown]
	v_add_u32_e32 v6, 0x1000, v10
	ds_write2_b64 v6, v[2:3], v[4:5] offset0:8 offset1:36
.LBB40_4:
	s_or_b64 exec, exec, s[10:11]
	s_cmp_eq_u64 s[26:27], 0
	s_waitcnt lgkmcnt(0)
	s_barrier
	s_cbranch_scc1 .LBB40_6
; %bb.5:
	s_load_dword s4, s[0:1], 0xd0
	s_mov_b32 s5, 0
	s_waitcnt lgkmcnt(0)
	s_mul_i32 s4, s4, s33
	s_add_i32 s4, s4, s2
	s_lshl_b64 s[4:5], s[4:5], 2
	s_add_u32 s4, s26, s4
	s_addc_u32 s5, s27, s5
	s_load_dword s40, s[4:5], 0x0
.LBB40_6:
	s_lshl_b32 s2, s3, 5
	s_waitcnt lgkmcnt(0)
	s_cmp_lt_i32 s2, s40
	v_mbcnt_lo_u32_b32 v2, -1, 0
	s_cbranch_scc1 .LBB40_22
; %bb.7:
	v_mbcnt_hi_u32_b32 v80, -1, v2
	v_and_b32_e32 v3, 0x60, v80
	v_add_u32_e32 v98, 32, v3
	v_xor_b32_e32 v97, 16, v80
	v_xor_b32_e32 v96, 8, v80
	;; [unrolled: 1-line block ×5, first 2 shown]
	s_cbranch_execz .LBB40_23
; %bb.8:
	v_mov_b32_e32 v53, 0
	v_mov_b32_e32 v75, 0xfeffffff
	;; [unrolled: 1-line block ×8, first 2 shown]
.LBB40_9:
	v_cmp_lt_i32_e32 vcc, v97, v98
	s_cmp_lg_u64 s[24:25], 0
	s_cselect_b64 s[4:5], -1, 0
	v_cndmask_b32_e32 v0, v80, v97, vcc
	v_lshlrev_b32_e32 v1, 2, v0
	ds_bpermute_b32 v0, v1, v52
	ds_bpermute_b32 v1, v1, v53
	v_cmp_lt_i32_e32 vcc, v96, v98
	s_cmp_eq_u32 s3, 0
	s_cselect_b64 s[6:7], -1, 0
	v_cndmask_b32_e32 v2, v80, v96, vcc
	v_lshlrev_b32_e32 v3, 2, v2
	s_waitcnt lgkmcnt(0)
	v_pk_add_f32 v[0:1], v[52:53], v[0:1]
	ds_bpermute_b32 v2, v3, v0
	ds_bpermute_b32 v3, v3, v1
	v_cmp_lt_i32_e32 vcc, v95, v98
	s_and_b64 s[4:5], s[6:7], s[4:5]
	s_waitcnt lgkmcnt(0)
	v_pk_add_f32 v[0:1], v[0:1], v[2:3]
	v_cndmask_b32_e32 v4, v80, v95, vcc
	v_lshlrev_b32_e32 v4, 2, v4
	ds_bpermute_b32 v2, v4, v0
	ds_bpermute_b32 v3, v4, v1
	v_cmp_lt_i32_e32 vcc, v94, v98
	s_waitcnt lgkmcnt(0)
	v_pk_add_f32 v[0:1], v[0:1], v[2:3]
	v_cndmask_b32_e32 v4, v80, v94, vcc
	v_lshlrev_b32_e32 v4, 2, v4
	ds_bpermute_b32 v2, v4, v0
	ds_bpermute_b32 v3, v4, v1
	v_cmp_lt_i32_e32 vcc, v93, v98
	s_waitcnt lgkmcnt(0)
	v_pk_add_f32 v[0:1], v[0:1], v[2:3]
	v_cndmask_b32_e32 v4, v80, v93, vcc
	v_lshlrev_b32_e32 v4, 2, v4
	ds_bpermute_b32 v2, v4, v0
	ds_bpermute_b32 v3, v4, v1
	s_and_b64 vcc, exec, s[4:5]
	s_waitcnt lgkmcnt(0)
	v_pk_add_f32 v[0:1], v[0:1], v[2:3]
	s_cbranch_vccz .LBB40_11
; %bb.10:
	s_ashr_i32 s35, s34, 31
	s_lshl_b64 s[4:5], s[34:35], 2
	s_add_u32 s4, s24, s4
	s_addc_u32 s5, s25, s5
	v_mov_b32_e32 v2, 0
	global_load_dwordx2 v[2:3], v2, s[4:5]
	v_max_f32_e32 v4, v74, v74
	v_max_f32_e32 v5, v75, v75
	s_mov_b32 s2, 0x3fb8aa3b
	s_mov_b32 s4, 0xc2ce8ed0
	;; [unrolled: 1-line block ×3, first 2 shown]
	v_mov_b32_e32 v7, 0x7f800000
	s_waitcnt vmcnt(0)
	v_max_f32_e32 v6, v2, v2
	v_max_f32_e32 v4, v4, v6
	;; [unrolled: 1-line block ×3, first 2 shown]
	v_sub_f32_e32 v6, v74, v4
	v_max_f32_e32 v5, v5, v8
	v_sub_f32_e32 v8, v2, v4
	v_mul_f32_e32 v2, 0x3fb8aa3b, v6
	v_sub_f32_e32 v9, v75, v5
	v_sub_f32_e32 v10, v3, v5
	v_mul_f32_e32 v3, 0x3fb8aa3b, v8
	v_fma_f32 v13, v6, s2, -v2
	v_rndne_f32_e32 v14, v2
	v_mul_f32_e32 v11, 0x3fb8aa3b, v9
	v_fma_f32 v15, v8, s2, -v3
	v_rndne_f32_e32 v16, v3
	v_fmac_f32_e32 v13, 0x32a5705f, v6
	v_sub_f32_e32 v2, v2, v14
	v_mul_f32_e32 v12, 0x3fb8aa3b, v10
	v_fma_f32 v17, v9, s2, -v11
	v_rndne_f32_e32 v18, v11
	v_fmac_f32_e32 v15, 0x32a5705f, v8
	v_sub_f32_e32 v3, v3, v16
	v_add_f32_e32 v2, v2, v13
	v_fma_f32 v19, v10, s2, -v12
	v_rndne_f32_e32 v20, v12
	v_cvt_i32_f32_e32 v14, v14
	v_fmac_f32_e32 v17, 0x32a5705f, v9
	v_sub_f32_e32 v11, v11, v18
	v_add_f32_e32 v3, v3, v15
	v_exp_f32_e32 v2, v2
	v_cvt_i32_f32_e32 v16, v16
	v_fmac_f32_e32 v19, 0x32a5705f, v10
	v_sub_f32_e32 v12, v12, v20
	v_add_f32_e32 v11, v11, v17
	v_exp_f32_e32 v3, v3
	v_cvt_i32_f32_e32 v18, v18
	v_add_f32_e32 v12, v12, v19
	v_exp_f32_e32 v11, v11
	v_cvt_i32_f32_e32 v20, v20
	v_exp_f32_e32 v12, v12
	v_ldexp_f32 v2, v2, v14
	v_cmp_ngt_f32_e32 vcc, s4, v6
	v_ldexp_f32 v3, v3, v16
	v_ldexp_f32 v11, v11, v18
	v_cndmask_b32_e32 v2, 0, v2, vcc
	v_cmp_ngt_f32_e32 vcc, s4, v8
	v_ldexp_f32 v12, v12, v20
	v_mov_b64_e32 v[74:75], v[4:5]
	v_cndmask_b32_e32 v3, 0, v3, vcc
	v_cmp_ngt_f32_e32 vcc, s4, v9
	s_nop 1
	v_cndmask_b32_e32 v11, 0, v11, vcc
	v_cmp_ngt_f32_e32 vcc, s4, v10
	s_nop 1
	v_cndmask_b32_e32 v12, 0, v12, vcc
	v_cmp_nlt_f32_e32 vcc, s5, v6
	s_nop 1
	v_cndmask_b32_e32 v2, v7, v2, vcc
	v_cmp_nlt_f32_e32 vcc, s5, v8
	v_cvt_f16_f32_e32 v8, v2
	s_nop 0
	v_cndmask_b32_e32 v6, v7, v3, vcc
	v_cmp_nlt_f32_e32 vcc, s5, v9
	s_nop 1
	v_cndmask_b32_e32 v3, v7, v11, vcc
	v_cvt_f16_f32_e32 v9, v3
	v_cmp_nlt_f32_e32 vcc, s5, v10
	s_nop 1
	v_cndmask_b32_e32 v7, v7, v12, vcc
	v_pk_fma_f32 v[0:1], v[0:1], v[2:3], v[6:7]
	v_mul_u32_u24_e32 v2, 0x10001, v8
	v_mul_u32_u24_e32 v3, 0x10001, v9
	v_pk_mul_f16 v81, v81, v2
	v_pk_mul_f16 v82, v82, v2
	v_pk_mul_f16 v63, v63, v3
	v_pk_mul_f16 v69, v69, v3
.LBB40_11:
	v_cmp_gt_i32_e32 vcc, s38, v49
	s_and_saveexec_b64 s[4:5], vcc
	s_cbranch_execz .LBB40_21
; %bb.12:
	s_load_dword s6, s[0:1], 0xd4
	v_mov_b32_e32 v4, 1.0
	s_waitcnt lgkmcnt(0)
	s_cmp_lg_u32 s6, 1
	s_cselect_b64 s[4:5], -1, 0
	s_cmp_eq_u32 s6, 1
	s_cselect_b64 s[0:1], -1, 0
	s_and_b64 vcc, exec, s[4:5]
	s_cbranch_vccnz .LBB40_14
; %bb.13:
	v_div_scale_f32 v2, s[8:9], v0, v0, 1.0
	v_rcp_f32_e32 v3, v2
	v_div_scale_f32 v4, vcc, 1.0, v0, 1.0
	v_fma_f32 v5, -v2, v3, 1.0
	v_fmac_f32_e32 v3, v5, v3
	v_mul_f32_e32 v5, v4, v3
	v_fma_f32 v6, -v2, v5, v4
	v_fmac_f32_e32 v5, v6, v3
	v_fma_f32 v2, -v2, v5, v4
	v_div_fmas_f32 v2, v2, v3, v5
	v_div_fixup_f32 v4, v2, v0, 1.0
.LBB40_14:
	s_mul_i32 s33, s33, s38
	v_add_u32_e32 v2, s33, v49
	v_mul_lo_u32 v2, v2, s39
	v_add_u32_e32 v2, s34, v2
	v_mul_lo_u32 v2, s6, v2
	v_add_u32_e32 v2, s3, v2
	s_and_saveexec_b64 s[2:3], s[22:23]
	s_cbranch_execz .LBB40_16
; %bb.15:
	v_cvt_f32_f16_sdwa v9, v81 dst_sel:DWORD dst_unused:UNUSED_PAD src0_sel:WORD_1
	v_cvt_f32_f16_e32 v8, v81
	v_cvt_f32_f16_sdwa v11, v82 dst_sel:DWORD dst_unused:UNUSED_PAD src0_sel:WORD_1
	v_cvt_f32_f16_e32 v10, v82
	s_movk_i32 s7, 0x70
	v_mad_u64_u32 v[6:7], s[8:9], v2, s7, v[48:49]
	v_mov_b32_e32 v7, 0
	v_lshl_add_u64 v[12:13], v[6:7], 2, s[28:29]
	v_pk_mul_f32 v[6:7], v[4:5], v[8:9] op_sel_hi:[0,1]
	v_pk_mul_f32 v[8:9], v[4:5], v[10:11] op_sel_hi:[0,1]
	global_store_dwordx4 v[12:13], v[6:9], off
.LBB40_16:
	s_or_b64 exec, exec, s[2:3]
	v_cmp_eq_u32_e32 vcc, 0, v50
	s_and_b64 s[2:3], vcc, s[4:5]
	s_and_saveexec_b64 s[4:5], s[2:3]
	s_cbranch_execnz .LBB40_50
; %bb.17:
	s_or_b64 exec, exec, s[4:5]
	s_andn2_b64 vcc, exec, s[0:1]
	v_mov_b32_e32 v0, 1.0
	s_cbranch_vccz .LBB40_51
.LBB40_18:
	v_add_u32_e32 v2, s6, v2
	s_and_saveexec_b64 s[0:1], s[22:23]
	s_cbranch_execnz .LBB40_52
.LBB40_19:
	s_or_b64 exec, exec, s[0:1]
	s_and_b64 exec, exec, s[2:3]
	s_cbranch_execz .LBB40_21
.LBB40_20:
	v_ashrrev_i32_e32 v3, 31, v2
	v_lshl_add_u64 v[2:3], v[2:3], 3, s[30:31]
	v_mov_b32_e32 v0, v75
	global_store_dwordx2 v[2:3], v[0:1], off
.LBB40_21:
	s_endpgm
.LBB40_22:
                                        ; implicit-def: $vgpr80
                                        ; implicit-def: $vgpr98
                                        ; implicit-def: $vgpr97
                                        ; implicit-def: $vgpr96
                                        ; implicit-def: $vgpr95
                                        ; implicit-def: $vgpr94
                                        ; implicit-def: $vgpr93
.LBB40_23:
	s_sub_i32 s4, 0, s12
	s_mul_i32 s4, s4, s14
	s_mul_hi_u32 s4, s14, s4
	s_add_i32 s14, s14, s4
	s_load_dwordx2 s[10:11], s[0:1], 0x8c
	s_load_dwordx4 s[4:7], s[0:1], 0x98
	s_abs_i32 s8, s34
	s_ashr_i32 s17, s34, 31
	s_ashr_i32 s13, s13, 31
	s_waitcnt lgkmcnt(0)
	s_ashr_i32 s41, s10, 2
	s_ashr_i32 s35, s6, 2
	;; [unrolled: 1-line block ×3, first 2 shown]
	s_mul_hi_u32 s10, s4, s33
	s_mul_i32 s26, s4, s6
	s_add_i32 s10, s10, s26
	s_mul_i32 s5, s5, s33
	s_ashr_i32 s9, s9, 1
	s_add_i32 s10, s10, s5
	s_mul_i32 s4, s4, s33
	s_mul_hi_u32 s16, s8, s14
	s_add_u32 s4, s18, s4
	s_addc_u32 s5, s19, s10
	s_xor_b32 s10, s17, s13
	s_mul_i32 s13, s16, s12
	s_sub_i32 s8, s8, s13
	s_add_i32 s13, s16, 1
	s_sub_i32 s17, s8, s12
	s_cmp_ge_u32 s8, s12
	s_cselect_b32 s13, s13, s16
	s_cselect_b32 s8, s17, s8
	s_add_i32 s16, s13, 1
	s_cmp_ge_u32 s8, s12
	s_cselect_b32 s8, s16, s13
	s_load_dwordx2 s[14:15], s[0:1], 0xa8
	s_xor_b32 s8, s8, s10
	s_sub_i32 s8, s8, s10
	s_mul_i32 s10, s8, s11
	s_ashr_i32 s11, s10, 31
	s_add_u32 s46, s4, s10
	s_addc_u32 s47, s5, s11
	s_waitcnt lgkmcnt(0)
	s_mul_hi_u32 s4, s14, s33
	s_mul_i32 s5, s14, s6
	s_add_i32 s4, s4, s5
	s_mul_i32 s5, s15, s33
	s_add_i32 s4, s4, s5
	s_mul_i32 s5, s14, s33
	s_add_u32 s5, s20, s5
	s_mul_i32 s8, s8, s7
	s_addc_u32 s4, s21, s4
	s_ashr_i32 s6, s8, 31
	s_add_u32 s48, s5, s8
	v_lshrrev_b32_e32 v4, 1, v50
	s_movk_i32 s8, 0x1c0
	v_mov_b32_e32 v9, 0x1040
	v_lshl_add_u32 v5, v1, 4, v4
	v_lshrrev_b32_e32 v4, 2, v50
	v_mad_u32_u24 v87, v1, s8, v9
	v_mad_u64_u32 v[62:63], s[8:9], v0, s9, v[50:51]
	v_mov_b32_e32 v0, 0x1e40
	v_lshl_add_u32 v6, v1, 3, v4
	v_and_b32_e32 v4, 4, v48
	v_lshl_add_u32 v88, v1, 7, v0
	v_lshrrev_b32_e32 v0, 3, v50
	v_lshl_add_u32 v3, v1, 5, v50
	v_lshlrev_b32_e32 v7, 2, v4
	v_lshl_add_u32 v0, v1, 2, v0
	v_mul_u32_u24_e32 v1, 0xe0, v5
	v_cmp_gt_u32_e32 vcc, 32, v3
	v_mul_lo_u32 v54, s41, v3
	v_lshlrev_b32_e32 v3, 7, v5
	v_and_b32_e32 v8, 12, v48
	v_or_b32_e32 v1, v1, v7
	s_addc_u32 s49, s4, s6
	v_or3_b32 v85, v3, v7, 64
	v_lshlrev_b32_e32 v3, 2, v8
	v_add_u32_e32 v89, 0xc0, v1
	v_mul_u32_u24_e32 v1, 0xe0, v6
	s_movk_i32 s15, 0x80
	v_and_b32_e32 v68, 28, v48
	v_lshlrev_b32_e32 v83, 7, v50
	v_mul_lo_u32 v56, s41, v5
	v_mov_b32_e32 v59, 0
	v_mul_lo_u32 v60, s41, v6
	s_movk_i32 s14, 0xe0
	v_mul_lo_u32 v64, s35, v5
	v_add3_u32 v90, v1, v3, s15
	v_mul_lo_u32 v66, s35, v6
	v_lshlrev_b32_e32 v1, 2, v68
	v_mul_lo_u32 v70, s35, v0
	s_add_u32 s26, s0, 0xd0
	v_cmp_gt_u32_e64 s[4:5], 32, v5
	v_cmp_gt_u32_e64 s[6:7], 32, v6
	v_or_b32_e32 v84, 0x60, v83
	v_ashrrev_i32_e32 v55, 31, v54
	v_ashrrev_i32_e32 v57, 31, v56
	v_lshl_or_b32 v86, v6, 7, v3
	v_ashrrev_i32_e32 v61, 31, v60
	v_cmp_gt_u32_e64 s[8:9], 16, v5
	v_cmp_gt_u32_e64 s[10:11], 16, v6
	v_cmp_gt_u32_e64 s[12:13], 16, v0
	v_ashrrev_i32_e32 v65, 31, v64
	v_ashrrev_i32_e32 v67, 31, v66
	v_mad_u32_u24 v91, v0, s14, v1
	v_ashrrev_i32_e32 v71, 31, v70
	s_addc_u32 s27, s1, 0
	v_mov_b32_e32 v6, 0xfeffffff
	s_mov_b32 s50, 0x3fb8aa3b
	s_mov_b32 s51, 0xc2ce8ed0
	;; [unrolled: 1-line block ×4, first 2 shown]
	v_lshlrev_b32_e32 v58, 2, v4
	v_lshlrev_b32_e32 v72, 2, v8
	v_mbcnt_hi_u32_b32 v80, -1, v2
	v_mov_b32_e32 v92, 0x7f800000
	v_mov_b32_e32 v69, v59
	;; [unrolled: 1-line block ×8, first 2 shown]
.LBB40_24:                              ; =>This Inner Loop Header: Depth=1
	s_mul_hi_i32 s15, s2, s41
	s_mul_i32 s14, s2, s41
	s_lshl_b64 s[14:15], s[14:15], 2
	s_add_u32 s14, s46, s14
	s_addc_u32 s15, s47, s15
	v_lshl_add_u64 v[4:5], v[54:55], 2, s[14:15]
	s_and_saveexec_b64 s[16:17], vcc
	s_cbranch_execnz .LBB40_42
; %bb.25:                               ;   in Loop: Header=BB40_24 Depth=1
	s_or_b64 exec, exec, s[16:17]
	v_lshl_add_u64 v[0:1], v[56:57], 2, s[14:15]
	s_and_saveexec_b64 s[16:17], s[4:5]
	s_cbranch_execnz .LBB40_43
.LBB40_26:                              ;   in Loop: Header=BB40_24 Depth=1
	s_or_b64 exec, exec, s[16:17]
	v_lshl_add_u64 v[2:3], v[60:61], 2, s[14:15]
	s_and_saveexec_b64 s[14:15], s[6:7]
	s_cbranch_execz .LBB40_28
.LBB40_27:                              ;   in Loop: Header=BB40_24 Depth=1
	v_mov_b32_e32 v73, v59
	v_lshl_add_u64 v[8:9], v[2:3], 0, v[72:73]
	global_load_dwordx4 v[8:11], v[8:9], off
	s_waitcnt vmcnt(0)
	ds_write_b128 v86, v[8:11]
.LBB40_28:                              ;   in Loop: Header=BB40_24 Depth=1
	s_or_b64 exec, exec, s[14:15]
	s_waitcnt lgkmcnt(0)
	s_barrier
	ds_read_b128 v[10:13], v83
	ds_read_b128 v[14:17], v87
	ds_read_b128 v[18:21], v87 offset:224
	v_mov_b32_e32 v8, 0
	s_waitcnt lgkmcnt(1)
	;;#ASMSTART
	v_dot2_f32_f16 v8, v10, v14, v8
	;;#ASMEND
	s_nop 0
	;;#ASMSTART
	v_dot2_f32_f16 v8, v11, v15, v8
	;;#ASMEND
	v_mov_b32_e32 v9, 0
	;;#ASMSTART
	v_dot2_f32_f16 v8, v12, v16, v8
	;;#ASMEND
	s_nop 0
	;;#ASMSTART
	v_dot2_f32_f16 v8, v13, v17, v8
	;;#ASMEND
	s_waitcnt lgkmcnt(0)
	;;#ASMSTART
	v_dot2_f32_f16 v9, v10, v18, v9
	;;#ASMEND
	s_nop 0
	;;#ASMSTART
	v_dot2_f32_f16 v9, v11, v19, v9
	;;#ASMEND
	s_nop 0
	;;#ASMSTART
	v_dot2_f32_f16 v9, v12, v20, v9
	;;#ASMEND
	s_nop 0
	;;#ASMSTART
	v_dot2_f32_f16 v9, v13, v21, v9
	;;#ASMEND
	ds_read_b128 v[10:13], v83 offset:16
	ds_read_b128 v[14:17], v87 offset:16
	ds_read_b128 v[18:21], v87 offset:240
	s_waitcnt lgkmcnt(1)
	;;#ASMSTART
	v_dot2_f32_f16 v8, v10, v14, v8
	;;#ASMEND
	s_nop 0
	;;#ASMSTART
	v_dot2_f32_f16 v8, v11, v15, v8
	;;#ASMEND
	s_nop 0
	;;#ASMSTART
	v_dot2_f32_f16 v8, v12, v16, v8
	;;#ASMEND
	s_nop 0
	;;#ASMSTART
	v_dot2_f32_f16 v8, v13, v17, v8
	;;#ASMEND
	s_waitcnt lgkmcnt(0)
	;;#ASMSTART
	v_dot2_f32_f16 v9, v10, v18, v9
	;;#ASMEND
	s_nop 0
	;;#ASMSTART
	v_dot2_f32_f16 v9, v11, v19, v9
	;;#ASMEND
	s_nop 0
	;;#ASMSTART
	v_dot2_f32_f16 v9, v12, v20, v9
	;;#ASMEND
	s_nop 0
	;;#ASMSTART
	v_dot2_f32_f16 v9, v13, v21, v9
	;;#ASMEND
	ds_read_b128 v[10:13], v83 offset:32
	ds_read_b128 v[14:17], v87 offset:32
	ds_read_b128 v[18:21], v87 offset:256
	s_waitcnt lgkmcnt(1)
	;;#ASMSTART
	v_dot2_f32_f16 v8, v10, v14, v8
	;;#ASMEND
	s_nop 0
	;;#ASMSTART
	v_dot2_f32_f16 v8, v11, v15, v8
	;;#ASMEND
	s_nop 0
	;; [unrolled: 35-line block ×6, first 2 shown]
	;;#ASMSTART
	v_dot2_f32_f16 v8, v12, v16, v8
	;;#ASMEND
	s_nop 0
	;;#ASMSTART
	v_dot2_f32_f16 v8, v13, v17, v8
	;;#ASMEND
	s_waitcnt lgkmcnt(0)
	;;#ASMSTART
	v_dot2_f32_f16 v9, v10, v18, v9
	;;#ASMEND
	s_nop 0
	;;#ASMSTART
	v_dot2_f32_f16 v9, v11, v19, v9
	;;#ASMEND
	s_nop 0
	;; [unrolled: 4-line block ×3, first 2 shown]
	;;#ASMSTART
	v_dot2_f32_f16 v9, v13, v21, v9
	;;#ASMEND
	s_barrier
	s_and_saveexec_b64 s[14:15], vcc
	s_cbranch_execnz .LBB40_44
; %bb.29:                               ;   in Loop: Header=BB40_24 Depth=1
	s_or_b64 exec, exec, s[14:15]
	s_and_saveexec_b64 s[14:15], s[4:5]
	s_cbranch_execnz .LBB40_45
.LBB40_30:                              ;   in Loop: Header=BB40_24 Depth=1
	s_or_b64 exec, exec, s[14:15]
	s_and_saveexec_b64 s[14:15], s[6:7]
	s_cbranch_execz .LBB40_32
.LBB40_31:                              ;   in Loop: Header=BB40_24 Depth=1
	v_mov_b32_e32 v73, v59
	v_lshl_add_u64 v[0:1], v[2:3], 0, v[72:73]
	global_load_dwordx4 v[0:3], v[0:1], off offset:112
	s_waitcnt vmcnt(0)
	ds_write_b128 v86, v[0:3]
.LBB40_32:                              ;   in Loop: Header=BB40_24 Depth=1
	s_or_b64 exec, exec, s[14:15]
	s_waitcnt lgkmcnt(0)
	s_barrier
	ds_read_b128 v[0:3], v83
	ds_read_b128 v[10:13], v87 offset:112
	ds_read_b128 v[14:17], v87 offset:336
	s_waitcnt lgkmcnt(1)
	;;#ASMSTART
	v_dot2_f32_f16 v8, v0, v10, v8
	;;#ASMEND
	s_nop 0
	;;#ASMSTART
	v_dot2_f32_f16 v8, v1, v11, v8
	;;#ASMEND
	v_xor_b32_e32 v97, 16, v80
	;;#ASMSTART
	v_dot2_f32_f16 v8, v2, v12, v8
	;;#ASMEND
	v_xor_b32_e32 v96, 8, v80
	;;#ASMSTART
	v_dot2_f32_f16 v8, v3, v13, v8
	;;#ASMEND
	s_waitcnt lgkmcnt(0)
	;;#ASMSTART
	v_dot2_f32_f16 v9, v0, v14, v9
	;;#ASMEND
	v_xor_b32_e32 v95, 4, v80
	;;#ASMSTART
	v_dot2_f32_f16 v9, v1, v15, v9
	;;#ASMEND
	v_xor_b32_e32 v94, 2, v80
	;; [unrolled: 4-line block ×3, first 2 shown]
	;;#ASMSTART
	v_dot2_f32_f16 v9, v3, v17, v9
	;;#ASMEND
	ds_read_b128 v[0:3], v83 offset:16
	ds_read_b128 v[10:13], v87 offset:128
	;; [unrolled: 1-line block ×3, first 2 shown]
	s_waitcnt lgkmcnt(1)
	;;#ASMSTART
	v_dot2_f32_f16 v8, v0, v10, v8
	;;#ASMEND
	s_nop 0
	;;#ASMSTART
	v_dot2_f32_f16 v8, v1, v11, v8
	;;#ASMEND
	s_mul_hi_i32 s17, s2, s35
	;;#ASMSTART
	v_dot2_f32_f16 v8, v2, v12, v8
	;;#ASMEND
	s_mul_i32 s16, s2, s35
	;;#ASMSTART
	v_dot2_f32_f16 v8, v3, v13, v8
	;;#ASMEND
	s_waitcnt lgkmcnt(0)
	;;#ASMSTART
	v_dot2_f32_f16 v9, v0, v14, v9
	;;#ASMEND
	s_lshl_b64 s[16:17], s[16:17], 2
	;;#ASMSTART
	v_dot2_f32_f16 v9, v1, v15, v9
	;;#ASMEND
	s_add_u32 s16, s48, s16
	;;#ASMSTART
	v_dot2_f32_f16 v9, v2, v16, v9
	;;#ASMEND
	v_add_u32_e32 v4, v88, v48
	;;#ASMSTART
	v_dot2_f32_f16 v9, v3, v17, v9
	;;#ASMEND
	ds_read_b128 v[0:3], v83 offset:32
	ds_read_b128 v[10:13], v87 offset:144
	;; [unrolled: 1-line block ×3, first 2 shown]
	s_waitcnt lgkmcnt(1)
	;;#ASMSTART
	v_dot2_f32_f16 v8, v0, v10, v8
	;;#ASMEND
	s_nop 0
	;;#ASMSTART
	v_dot2_f32_f16 v8, v1, v11, v8
	;;#ASMEND
	s_addc_u32 s17, s49, s17
	;;#ASMSTART
	v_dot2_f32_f16 v8, v2, v12, v8
	;;#ASMEND
	s_nop 0
	;;#ASMSTART
	v_dot2_f32_f16 v8, v3, v13, v8
	;;#ASMEND
	s_waitcnt lgkmcnt(0)
	;;#ASMSTART
	v_dot2_f32_f16 v9, v0, v14, v9
	;;#ASMEND
	s_nop 0
	;;#ASMSTART
	v_dot2_f32_f16 v9, v1, v15, v9
	;;#ASMEND
	s_nop 0
	;;#ASMSTART
	v_dot2_f32_f16 v9, v2, v16, v9
	;;#ASMEND
	s_nop 0
	;;#ASMSTART
	v_dot2_f32_f16 v9, v3, v17, v9
	;;#ASMEND
	ds_read_b128 v[0:3], v83 offset:48
	ds_read_b128 v[10:13], v87 offset:160
	ds_read_b128 v[14:17], v87 offset:384
	s_waitcnt lgkmcnt(1)
	;;#ASMSTART
	v_dot2_f32_f16 v8, v0, v10, v8
	;;#ASMEND
	s_nop 0
	;;#ASMSTART
	v_dot2_f32_f16 v8, v1, v11, v8
	;;#ASMEND
	s_nop 0
	;;#ASMSTART
	v_dot2_f32_f16 v8, v2, v12, v8
	;;#ASMEND
	s_nop 0
	;;#ASMSTART
	v_dot2_f32_f16 v8, v3, v13, v8
	;;#ASMEND
	s_waitcnt lgkmcnt(0)
	;;#ASMSTART
	v_dot2_f32_f16 v9, v0, v14, v9
	;;#ASMEND
	s_nop 0
	;;#ASMSTART
	v_dot2_f32_f16 v9, v1, v15, v9
	;;#ASMEND
	s_nop 0
	;;#ASMSTART
	v_dot2_f32_f16 v9, v2, v16, v9
	;;#ASMEND
	s_nop 0
	;;#ASMSTART
	v_dot2_f32_f16 v9, v3, v17, v9
	;;#ASMEND
	ds_read_b128 v[0:3], v83 offset:64
	ds_read_b128 v[10:13], v87 offset:176
	ds_read_b128 v[14:17], v87 offset:400
	s_waitcnt lgkmcnt(1)
	;;#ASMSTART
	v_dot2_f32_f16 v8, v0, v10, v8
	;;#ASMEND
	s_nop 0
	;;#ASMSTART
	v_dot2_f32_f16 v8, v1, v11, v8
	;;#ASMEND
	s_nop 0
	;; [unrolled: 35-line block ×4, first 2 shown]
	;;#ASMSTART
	v_dot2_f32_f16 v8, v2, v12, v8
	;;#ASMEND
	s_nop 0
	;;#ASMSTART
	v_dot2_f32_f16 v8, v3, v13, v8
	;;#ASMEND
	s_waitcnt lgkmcnt(0)
	;;#ASMSTART
	v_dot2_f32_f16 v9, v0, v14, v9
	;;#ASMEND
	v_add_u32_e32 v0, s2, v62
	;;#ASMSTART
	v_dot2_f32_f16 v9, v1, v15, v9
	;;#ASMEND
	v_ashrrev_i32_e32 v1, 31, v0
	;;#ASMSTART
	v_dot2_f32_f16 v9, v2, v16, v9
	;;#ASMEND
	v_lshl_add_u64 v[0:1], v[0:1], 1, s[42:43]
	;;#ASMSTART
	v_dot2_f32_f16 v9, v3, v17, v9
	;;#ASMEND
	global_load_ushort v0, v[0:1], off
	v_and_b32_e32 v1, 0x60, v80
	v_add_u32_e32 v98, 32, v1
	v_cmp_lt_i32_e64 s[14:15], v97, v98
	v_max_f32_e32 v2, v6, v6
	v_max_f32_e32 v3, v7, v7
	v_cndmask_b32_e64 v1, v80, v97, s[14:15]
	v_lshlrev_b32_e32 v1, 2, v1
	v_cmp_lt_i32_e64 s[14:15], v96, v98
	s_barrier
	s_waitcnt vmcnt(0)
	v_cvt_f32_f16_e32 v0, v0
	v_add_f32_e32 v5, v8, v0
	v_add_f32_e32 v0, v9, v0
	;; [unrolled: 1-line block ×4, first 2 shown]
	v_max_f32_e32 v2, v2, v8
	v_max_f32_e32 v3, v3, v9
	ds_bpermute_b32 v8, v1, v2
	ds_bpermute_b32 v1, v1, v3
	v_cndmask_b32_e64 v9, v80, v96, s[14:15]
	v_lshlrev_b32_e32 v9, 2, v9
	v_cmp_lt_i32_e64 s[14:15], v95, v98
	s_waitcnt lgkmcnt(1)
	v_max_f32_e32 v8, v8, v8
	s_waitcnt lgkmcnt(0)
	v_max_f32_e32 v1, v1, v1
	v_max_f32_e32 v2, v2, v8
	v_max_f32_e32 v1, v3, v1
	ds_bpermute_b32 v3, v9, v2
	ds_bpermute_b32 v8, v9, v1
	v_cndmask_b32_e64 v9, v80, v95, s[14:15]
	v_lshlrev_b32_e32 v9, 2, v9
	v_cmp_lt_i32_e64 s[14:15], v94, v98
	s_waitcnt lgkmcnt(1)
	v_max_f32_e32 v3, v3, v3
	s_waitcnt lgkmcnt(0)
	v_max_f32_e32 v8, v8, v8
	;; [unrolled: 11-line block ×3, first 2 shown]
	v_max_f32_e32 v2, v2, v3
	v_max_f32_e32 v1, v1, v8
	ds_bpermute_b32 v3, v9, v2
	ds_bpermute_b32 v8, v9, v1
	v_cndmask_b32_e64 v9, v80, v93, s[14:15]
	v_lshlrev_b32_e32 v9, 2, v9
	s_waitcnt lgkmcnt(1)
	v_max_f32_e32 v3, v3, v3
	s_waitcnt lgkmcnt(0)
	v_max_f32_e32 v8, v8, v8
	v_max_f32_e32 v2, v2, v3
	;; [unrolled: 1-line block ×3, first 2 shown]
	ds_bpermute_b32 v3, v9, v2
	ds_bpermute_b32 v8, v9, v1
	s_waitcnt lgkmcnt(1)
	v_max_f32_e32 v3, v3, v3
	s_waitcnt lgkmcnt(0)
	v_max_f32_e32 v8, v8, v8
	v_max_f32_e32 v74, v2, v3
	;; [unrolled: 1-line block ×3, first 2 shown]
	v_sub_f32_e32 v1, v5, v74
	v_sub_f32_e32 v0, v0, v75
	v_mul_f32_e32 v2, 0x3fb8aa3b, v1
	v_mul_f32_e32 v3, 0x3fb8aa3b, v0
	v_fma_f32 v5, v1, s50, -v2
	v_rndne_f32_e32 v8, v2
	v_fma_f32 v9, v0, s50, -v3
	v_rndne_f32_e32 v10, v3
	v_fmac_f32_e32 v5, 0x32a5705f, v1
	v_sub_f32_e32 v2, v2, v8
	v_fmac_f32_e32 v9, 0x32a5705f, v0
	v_sub_f32_e32 v3, v3, v10
	v_add_f32_e32 v2, v2, v5
	v_cvt_i32_f32_e32 v8, v8
	v_add_f32_e32 v3, v3, v9
	v_exp_f32_e32 v2, v2
	v_cvt_i32_f32_e32 v10, v10
	v_exp_f32_e32 v3, v3
	v_cmp_ngt_f32_e64 s[14:15], s51, v1
	v_ldexp_f32 v2, v2, v8
	v_ldexp_f32 v3, v3, v10
	v_cndmask_b32_e64 v2, 0, v2, s[14:15]
	v_cmp_ngt_f32_e64 s[14:15], s51, v0
	s_nop 1
	v_cndmask_b32_e64 v3, 0, v3, s[14:15]
	v_cmp_nlt_f32_e64 s[14:15], s52, v1
	s_nop 1
	v_cndmask_b32_e64 v76, v92, v2, s[14:15]
	v_cmp_nlt_f32_e64 s[14:15], s52, v0
	s_nop 1
	v_cndmask_b32_e64 v77, v92, v3, s[14:15]
	v_cvt_pk_f16_f32 v0, v76, v77
	ds_write_b32 v4, v0
	s_and_saveexec_b64 s[14:15], s[8:9]
	s_cbranch_execnz .LBB40_46
; %bb.33:                               ;   in Loop: Header=BB40_24 Depth=1
	s_or_b64 exec, exec, s[14:15]
	s_and_saveexec_b64 s[14:15], s[10:11]
	s_cbranch_execnz .LBB40_47
.LBB40_34:                              ;   in Loop: Header=BB40_24 Depth=1
	s_or_b64 exec, exec, s[14:15]
	v_lshlrev_b32_e32 v78, 2, v68
	s_and_saveexec_b64 s[14:15], s[12:13]
	s_cbranch_execz .LBB40_36
.LBB40_35:                              ;   in Loop: Header=BB40_24 Depth=1
	v_lshl_add_u64 v[0:1], v[70:71], 2, s[16:17]
	v_mov_b32_e32 v79, v59
	v_lshl_add_u64 v[0:1], v[0:1], 0, v[78:79]
	global_load_dwordx4 v[0:3], v[0:1], off
	s_waitcnt vmcnt(0)
	ds_write_b128 v91, v[0:3]
.LBB40_36:                              ;   in Loop: Header=BB40_24 Depth=1
	s_or_b64 exec, exec, s[14:15]
	s_waitcnt lgkmcnt(0)
	s_barrier
	ds_read2_b64 v[28:31], v51 offset1:28
	ds_read_b128 v[44:47], v88
	ds_read_b128 v[40:43], v88 offset:16
	ds_read_b128 v[36:39], v88 offset:32
	;; [unrolled: 1-line block ×3, first 2 shown]
	ds_read2_b64 v[24:27], v51 offset0:56 offset1:84
	ds_read2_b64 v[20:23], v51 offset0:112 offset1:140
	;; [unrolled: 1-line block ×4, first 2 shown]
	v_add_u32_e32 v99, 0x800, v51
	v_sub_f32_e32 v101, v6, v74
	v_sub_f32_e32 v100, v7, v75
	ds_read2_b64 v[8:11], v99 offset0:24 offset1:52
	ds_read2_b64 v[4:7], v99 offset0:80 offset1:108
	;; [unrolled: 1-line block ×3, first 2 shown]
	s_or_b32 s36, s2, 16
	s_mul_hi_i32 s37, s36, s35
	s_mul_i32 s36, s36, s35
	s_lshl_b64 s[36:37], s[36:37], 2
	s_add_u32 s36, s48, s36
	v_cmp_ngt_f32_e64 s[18:19], s51, v101
	v_cmp_nlt_f32_e64 s[20:21], s52, v101
	v_cmp_ngt_f32_e64 s[14:15], s51, v100
	v_cmp_nlt_f32_e64 s[16:17], s52, v100
	s_addc_u32 s37, s49, s37
	s_waitcnt lgkmcnt(0)
	s_barrier
	s_and_saveexec_b64 s[44:45], s[8:9]
	s_cbranch_execnz .LBB40_48
; %bb.37:                               ;   in Loop: Header=BB40_24 Depth=1
	s_or_b64 exec, exec, s[44:45]
	s_and_saveexec_b64 s[44:45], s[10:11]
	s_cbranch_execnz .LBB40_49
.LBB40_38:                              ;   in Loop: Header=BB40_24 Depth=1
	s_or_b64 exec, exec, s[44:45]
	s_and_saveexec_b64 s[44:45], s[12:13]
	s_cbranch_execz .LBB40_40
.LBB40_39:                              ;   in Loop: Header=BB40_24 Depth=1
	v_lshl_add_u64 v[102:103], v[70:71], 2, s[36:37]
	v_mov_b32_e32 v79, v59
	v_lshl_add_u64 v[78:79], v[102:103], 0, v[78:79]
	global_load_dwordx4 v[102:105], v[78:79], off
	s_waitcnt vmcnt(0)
	ds_write_b128 v91, v[102:105]
.LBB40_40:                              ;   in Loop: Header=BB40_24 Depth=1
	s_or_b64 exec, exec, s[44:45]
	v_mul_f32_e32 v73, 0x3fb8aa3b, v101
	v_fma_f32 v78, v101, s50, -v73
	v_rndne_f32_e32 v79, v73
	v_fmac_f32_e32 v78, 0x32a5705f, v101
	v_sub_f32_e32 v73, v73, v79
	v_add_f32_e32 v73, v73, v78
	v_cvt_i32_f32_e32 v78, v79
	v_exp_f32_e32 v73, v73
	v_mul_u32_u24_sdwa v101, v44, s53 dst_sel:DWORD dst_unused:UNUSED_PAD src0_sel:WORD_0 src1_sel:DWORD
	v_mul_u32_u24_sdwa v44, v44, s53 dst_sel:DWORD dst_unused:UNUSED_PAD src0_sel:WORD_1 src1_sel:DWORD
	v_pk_mul_f16 v117, v28, v101
	v_ldexp_f32 v73, v73, v78
	v_mul_f32_e32 v78, 0x3fb8aa3b, v100
	v_fma_f32 v79, v100, s50, -v78
	v_fmac_f32_e32 v79, 0x32a5705f, v100
	v_rndne_f32_e32 v100, v78
	v_sub_f32_e32 v78, v78, v100
	v_add_f32_e32 v78, v78, v79
	v_exp_f32_e32 v79, v78
	v_cvt_i32_f32_e32 v100, v100
	v_cndmask_b32_e64 v73, 0, v73, s[18:19]
	v_cndmask_b32_e64 v78, v92, v73, s[20:21]
	v_cvt_f16_f32_e32 v73, v78
	v_ldexp_f32 v79, v79, v100
	v_cndmask_b32_e64 v79, 0, v79, s[14:15]
	v_cndmask_b32_e64 v79, v92, v79, s[16:17]
	v_cvt_f16_f32_e32 v100, v79
	v_mul_u32_u24_e32 v73, 0x10001, v73
	v_pk_mul_f16 v82, v82, v73
	v_pk_mul_f16 v28, v28, v44
	v_mul_u32_u24_e32 v100, 0x10001, v100
	v_pk_mul_f16 v69, v69, v100
	v_mul_u32_u24_sdwa v102, v45, s53 dst_sel:DWORD dst_unused:UNUSED_PAD src0_sel:WORD_0 src1_sel:DWORD
	v_mul_u32_u24_sdwa v45, v45, s53 dst_sel:DWORD dst_unused:UNUSED_PAD src0_sel:WORD_1 src1_sel:DWORD
	v_pk_fma_f16 v73, v81, v73, v117
	v_pk_fma_f16 v28, v63, v100, v28
	v_pk_fma_f16 v63, v29, v101, v82
	v_pk_fma_f16 v29, v29, v44, v69
	v_mul_u32_u24_sdwa v103, v46, s53 dst_sel:DWORD dst_unused:UNUSED_PAD src0_sel:WORD_0 src1_sel:DWORD
	v_mul_u32_u24_sdwa v46, v46, s53 dst_sel:DWORD dst_unused:UNUSED_PAD src0_sel:WORD_1 src1_sel:DWORD
	v_pk_fma_f16 v44, v30, v102, v73
	v_pk_fma_f16 v28, v30, v45, v28
	v_pk_fma_f16 v30, v31, v102, v63
	v_pk_fma_f16 v29, v31, v45, v29
	;; [unrolled: 6-line block ×15, first 2 shown]
	v_pk_fma_f16 v20, v2, v116, v7
	v_pk_fma_f16 v21, v2, v35, v0
	;; [unrolled: 1-line block ×4, first 2 shown]
	s_waitcnt lgkmcnt(0)
	s_barrier
	ds_read_b128 v[0:3], v88 offset:64
	ds_read2_b64 v[4:7], v51 offset1:28
	ds_read_b128 v[8:11], v88 offset:80
	ds_read_b128 v[12:15], v88 offset:96
	;; [unrolled: 1-line block ×3, first 2 shown]
	s_waitcnt lgkmcnt(4)
	v_mul_u32_u24_sdwa v24, v0, s53 dst_sel:DWORD dst_unused:UNUSED_PAD src0_sel:WORD_0 src1_sel:DWORD
	v_mul_u32_u24_sdwa v0, v0, s53 dst_sel:DWORD dst_unused:UNUSED_PAD src0_sel:WORD_1 src1_sel:DWORD
	s_waitcnt lgkmcnt(3)
	v_pk_fma_f16 v20, v4, v24, v20
	v_pk_fma_f16 v4, v4, v0, v21
	;; [unrolled: 1-line block ×4, first 2 shown]
	v_mul_u32_u24_sdwa v5, v1, s53 dst_sel:DWORD dst_unused:UNUSED_PAD src0_sel:WORD_0 src1_sel:DWORD
	v_pk_fma_f16 v25, v6, v5, v20
	ds_read2_b64 v[20:23], v51 offset0:56 offset1:84
	v_mul_u32_u24_sdwa v1, v1, s53 dst_sel:DWORD dst_unused:UNUSED_PAD src0_sel:WORD_1 src1_sel:DWORD
	v_pk_fma_f16 v4, v6, v1, v4
	v_pk_fma_f16 v5, v7, v5, v24
	;; [unrolled: 1-line block ×3, first 2 shown]
	v_mul_u32_u24_sdwa v1, v2, s53 dst_sel:DWORD dst_unused:UNUSED_PAD src0_sel:WORD_0 src1_sel:DWORD
	v_mul_u32_u24_sdwa v2, v2, s53 dst_sel:DWORD dst_unused:UNUSED_PAD src0_sel:WORD_1 src1_sel:DWORD
	s_waitcnt lgkmcnt(0)
	v_pk_fma_f16 v6, v20, v1, v25
	v_pk_fma_f16 v4, v20, v2, v4
	;; [unrolled: 1-line block ×4, first 2 shown]
	v_mul_u32_u24_sdwa v20, v3, s53 dst_sel:DWORD dst_unused:UNUSED_PAD src0_sel:WORD_0 src1_sel:DWORD
	v_mul_u32_u24_sdwa v21, v3, s53 dst_sel:DWORD dst_unused:UNUSED_PAD src0_sel:WORD_1 src1_sel:DWORD
	ds_read2_b64 v[0:3], v51 offset0:112 offset1:140
	v_pk_fma_f16 v6, v22, v20, v6
	v_pk_fma_f16 v4, v22, v21, v4
	;; [unrolled: 1-line block ×4, first 2 shown]
	v_mul_u32_u24_sdwa v20, v8, s53 dst_sel:DWORD dst_unused:UNUSED_PAD src0_sel:WORD_0 src1_sel:DWORD
	v_mul_u32_u24_sdwa v8, v8, s53 dst_sel:DWORD dst_unused:UNUSED_PAD src0_sel:WORD_1 src1_sel:DWORD
	s_waitcnt lgkmcnt(0)
	v_pk_fma_f16 v6, v0, v20, v6
	v_pk_fma_f16 v0, v0, v8, v4
	;; [unrolled: 1-line block ×4, first 2 shown]
	v_mul_u32_u24_sdwa v8, v9, s53 dst_sel:DWORD dst_unused:UNUSED_PAD src0_sel:WORD_0 src1_sel:DWORD
	v_pk_fma_f16 v21, v2, v8, v6
	ds_read2_b64 v[4:7], v51 offset0:168 offset1:196
	v_mul_u32_u24_sdwa v9, v9, s53 dst_sel:DWORD dst_unused:UNUSED_PAD src0_sel:WORD_1 src1_sel:DWORD
	v_pk_fma_f16 v0, v2, v9, v0
	v_pk_fma_f16 v2, v3, v8, v20
	;; [unrolled: 1-line block ×3, first 2 shown]
	v_mul_u32_u24_sdwa v3, v10, s53 dst_sel:DWORD dst_unused:UNUSED_PAD src0_sel:WORD_0 src1_sel:DWORD
	v_mul_u32_u24_sdwa v8, v10, s53 dst_sel:DWORD dst_unused:UNUSED_PAD src0_sel:WORD_1 src1_sel:DWORD
	s_waitcnt lgkmcnt(0)
	v_pk_fma_f16 v9, v4, v3, v21
	v_pk_fma_f16 v0, v4, v8, v0
	;; [unrolled: 1-line block ×4, first 2 shown]
	v_mul_u32_u24_sdwa v8, v11, s53 dst_sel:DWORD dst_unused:UNUSED_PAD src0_sel:WORD_0 src1_sel:DWORD
	v_mul_u32_u24_sdwa v10, v11, s53 dst_sel:DWORD dst_unused:UNUSED_PAD src0_sel:WORD_1 src1_sel:DWORD
	v_pk_fma_f16 v9, v6, v8, v9
	v_pk_fma_f16 v6, v6, v10, v0
	ds_read2_b64 v[0:3], v51 offset0:224 offset1:252
	v_pk_fma_f16 v4, v7, v8, v4
	v_pk_fma_f16 v5, v7, v10, v5
	v_mul_u32_u24_sdwa v7, v12, s53 dst_sel:DWORD dst_unused:UNUSED_PAD src0_sel:WORD_0 src1_sel:DWORD
	v_mul_u32_u24_sdwa v8, v12, s53 dst_sel:DWORD dst_unused:UNUSED_PAD src0_sel:WORD_1 src1_sel:DWORD
	s_waitcnt lgkmcnt(0)
	v_pk_fma_f16 v9, v0, v7, v9
	v_pk_fma_f16 v0, v0, v8, v6
	;; [unrolled: 1-line block ×4, first 2 shown]
	ds_read2_b64 v[4:7], v99 offset0:24 offset1:52
	v_mul_u32_u24_sdwa v8, v13, s53 dst_sel:DWORD dst_unused:UNUSED_PAD src0_sel:WORD_0 src1_sel:DWORD
	v_mul_u32_u24_sdwa v11, v13, s53 dst_sel:DWORD dst_unused:UNUSED_PAD src0_sel:WORD_1 src1_sel:DWORD
	v_pk_fma_f16 v9, v2, v8, v9
	v_pk_fma_f16 v0, v2, v11, v0
	;; [unrolled: 1-line block ×4, first 2 shown]
	v_mul_u32_u24_sdwa v3, v14, s53 dst_sel:DWORD dst_unused:UNUSED_PAD src0_sel:WORD_0 src1_sel:DWORD
	v_mul_u32_u24_sdwa v8, v14, s53 dst_sel:DWORD dst_unused:UNUSED_PAD src0_sel:WORD_1 src1_sel:DWORD
	s_waitcnt lgkmcnt(0)
	v_pk_fma_f16 v9, v4, v3, v9
	v_pk_fma_f16 v0, v4, v8, v0
	;; [unrolled: 1-line block ×4, first 2 shown]
	v_mul_u32_u24_sdwa v8, v15, s53 dst_sel:DWORD dst_unused:UNUSED_PAD src0_sel:WORD_0 src1_sel:DWORD
	v_mul_u32_u24_sdwa v10, v15, s53 dst_sel:DWORD dst_unused:UNUSED_PAD src0_sel:WORD_1 src1_sel:DWORD
	v_pk_fma_f16 v9, v6, v8, v9
	v_pk_fma_f16 v6, v6, v10, v0
	ds_read2_b64 v[0:3], v99 offset0:80 offset1:108
	v_pk_fma_f16 v4, v7, v8, v4
	v_pk_fma_f16 v5, v7, v10, v5
	v_mul_u32_u24_sdwa v7, v16, s53 dst_sel:DWORD dst_unused:UNUSED_PAD src0_sel:WORD_0 src1_sel:DWORD
	v_mul_u32_u24_sdwa v8, v16, s53 dst_sel:DWORD dst_unused:UNUSED_PAD src0_sel:WORD_1 src1_sel:DWORD
	s_waitcnt lgkmcnt(0)
	v_pk_fma_f16 v9, v0, v7, v9
	v_pk_fma_f16 v0, v0, v8, v6
	v_pk_fma_f16 v10, v1, v7, v4
	v_pk_fma_f16 v1, v1, v8, v5
	ds_read2_b64 v[4:7], v99 offset0:136 offset1:164
	s_waitcnt lgkmcnt(0)
	s_barrier
	s_load_dword s14, s[26:27], 0x4
	v_mul_u32_u24_sdwa v8, v17, s53 dst_sel:DWORD dst_unused:UNUSED_PAD src0_sel:WORD_0 src1_sel:DWORD
	v_mul_u32_u24_sdwa v11, v17, s53 dst_sel:DWORD dst_unused:UNUSED_PAD src0_sel:WORD_1 src1_sel:DWORD
	v_pk_fma_f16 v9, v2, v8, v9
	v_pk_fma_f16 v0, v2, v11, v0
	;; [unrolled: 1-line block ×4, first 2 shown]
	v_mul_u32_u24_sdwa v3, v18, s53 dst_sel:DWORD dst_unused:UNUSED_PAD src0_sel:WORD_0 src1_sel:DWORD
	v_mul_u32_u24_sdwa v8, v18, s53 dst_sel:DWORD dst_unused:UNUSED_PAD src0_sel:WORD_1 src1_sel:DWORD
	s_waitcnt lgkmcnt(0)
	s_lshl_b32 s14, s14, 5
	v_pk_fma_f16 v9, v4, v3, v9
	v_pk_fma_f16 v0, v4, v8, v0
	v_pk_fma_f16 v2, v5, v3, v2
	v_pk_fma_f16 v1, v5, v8, v1
	v_mul_u32_u24_sdwa v3, v19, s53 dst_sel:DWORD dst_unused:UNUSED_PAD src0_sel:WORD_0 src1_sel:DWORD
	v_mul_u32_u24_sdwa v4, v19, s53 dst_sel:DWORD dst_unused:UNUSED_PAD src0_sel:WORD_1 src1_sel:DWORD
	s_add_i32 s2, s14, s2
	v_pk_fma_f32 v[52:53], v[52:53], v[78:79], v[76:77]
	v_pk_fma_f16 v81, v6, v3, v9
	v_pk_fma_f16 v63, v6, v4, v0
	;; [unrolled: 1-line block ×3, first 2 shown]
	s_cmp_ge_i32 s2, s40
	v_pk_fma_f16 v69, v7, v4, v1
	s_cbranch_scc1 .LBB40_9
; %bb.41:                               ;   in Loop: Header=BB40_24 Depth=1
	v_mov_b32_e32 v6, v74
	v_mov_b32_e32 v7, v75
	s_branch .LBB40_24
.LBB40_42:                              ;   in Loop: Header=BB40_24 Depth=1
	global_load_dwordx4 v[0:3], v[4:5], off offset:96
	s_waitcnt vmcnt(0)
	ds_write_b128 v84, v[0:3]
	s_or_b64 exec, exec, s[16:17]
	v_lshl_add_u64 v[0:1], v[56:57], 2, s[14:15]
	s_and_saveexec_b64 s[16:17], s[4:5]
	s_cbranch_execz .LBB40_26
.LBB40_43:                              ;   in Loop: Header=BB40_24 Depth=1
	v_lshl_add_u64 v[2:3], v[0:1], 0, v[58:59]
	global_load_dwordx4 v[8:11], v[2:3], off offset:64
	s_waitcnt vmcnt(0)
	ds_write_b128 v85, v[8:11]
	s_or_b64 exec, exec, s[16:17]
	v_lshl_add_u64 v[2:3], v[60:61], 2, s[14:15]
	s_and_saveexec_b64 s[14:15], s[6:7]
	s_cbranch_execnz .LBB40_27
	s_branch .LBB40_28
.LBB40_44:                              ;   in Loop: Header=BB40_24 Depth=1
	global_load_dwordx4 v[10:13], v[4:5], off offset:208
	s_waitcnt vmcnt(0)
	ds_write_b128 v84, v[10:13]
	s_or_b64 exec, exec, s[14:15]
	s_and_saveexec_b64 s[14:15], s[4:5]
	s_cbranch_execz .LBB40_30
.LBB40_45:                              ;   in Loop: Header=BB40_24 Depth=1
	v_lshl_add_u64 v[0:1], v[0:1], 0, v[58:59]
	global_load_dwordx4 v[10:13], v[0:1], off offset:176
	s_waitcnt vmcnt(0)
	ds_write_b128 v85, v[10:13]
	s_or_b64 exec, exec, s[14:15]
	s_and_saveexec_b64 s[14:15], s[6:7]
	s_cbranch_execnz .LBB40_31
	s_branch .LBB40_32
.LBB40_46:                              ;   in Loop: Header=BB40_24 Depth=1
	v_lshl_add_u64 v[0:1], v[64:65], 2, s[16:17]
	v_lshl_add_u64 v[0:1], v[0:1], 0, v[58:59]
	global_load_dwordx4 v[0:3], v[0:1], off offset:192
	s_waitcnt vmcnt(0)
	ds_write_b128 v89, v[0:3]
	s_or_b64 exec, exec, s[14:15]
	s_and_saveexec_b64 s[14:15], s[10:11]
	s_cbranch_execz .LBB40_34
.LBB40_47:                              ;   in Loop: Header=BB40_24 Depth=1
	v_lshl_add_u64 v[0:1], v[66:67], 2, s[16:17]
	v_mov_b32_e32 v73, v59
	v_lshl_add_u64 v[0:1], v[0:1], 0, v[72:73]
	global_load_dwordx4 v[0:3], v[0:1], off offset:128
	s_waitcnt vmcnt(0)
	ds_write_b128 v90, v[0:3]
	s_or_b64 exec, exec, s[14:15]
	v_lshlrev_b32_e32 v78, 2, v68
	s_and_saveexec_b64 s[14:15], s[12:13]
	s_cbranch_execnz .LBB40_35
	s_branch .LBB40_36
.LBB40_48:                              ;   in Loop: Header=BB40_24 Depth=1
	v_lshl_add_u64 v[102:103], v[64:65], 2, s[36:37]
	v_lshl_add_u64 v[102:103], v[102:103], 0, v[58:59]
	global_load_dwordx4 v[102:105], v[102:103], off offset:192
	s_waitcnt vmcnt(0)
	ds_write_b128 v89, v[102:105]
	s_or_b64 exec, exec, s[44:45]
	s_and_saveexec_b64 s[44:45], s[10:11]
	s_cbranch_execz .LBB40_38
.LBB40_49:                              ;   in Loop: Header=BB40_24 Depth=1
	v_lshl_add_u64 v[102:103], v[66:67], 2, s[36:37]
	v_mov_b32_e32 v73, v59
	v_lshl_add_u64 v[102:103], v[102:103], 0, v[72:73]
	global_load_dwordx4 v[102:105], v[102:103], off offset:128
	s_waitcnt vmcnt(0)
	ds_write_b128 v90, v[102:105]
	s_or_b64 exec, exec, s[44:45]
	s_and_saveexec_b64 s[44:45], s[12:13]
	s_cbranch_execnz .LBB40_39
	s_branch .LBB40_40
.LBB40_50:
	v_ashrrev_i32_e32 v3, 31, v2
	v_lshl_add_u64 v[4:5], v[2:3], 3, s[30:31]
	v_mov_b32_e32 v6, v74
	v_mov_b32_e32 v7, v0
	global_store_dwordx2 v[4:5], v[6:7], off
	s_or_b64 exec, exec, s[4:5]
	s_andn2_b64 vcc, exec, s[0:1]
	v_mov_b32_e32 v0, 1.0
	s_cbranch_vccnz .LBB40_18
.LBB40_51:
	v_div_scale_f32 v0, s[0:1], v1, v1, 1.0
	v_rcp_f32_e32 v3, v0
	v_div_scale_f32 v4, vcc, 1.0, v1, 1.0
	v_fma_f32 v5, -v0, v3, 1.0
	v_fmac_f32_e32 v3, v5, v3
	v_mul_f32_e32 v5, v4, v3
	v_fma_f32 v6, -v0, v5, v4
	v_fmac_f32_e32 v5, v6, v3
	v_fma_f32 v0, -v0, v5, v4
	v_div_fmas_f32 v0, v0, v3, v5
	v_div_fixup_f32 v0, v0, v1, 1.0
	v_add_u32_e32 v2, s6, v2
	s_and_saveexec_b64 s[0:1], s[22:23]
	s_cbranch_execz .LBB40_19
.LBB40_52:
	v_cvt_f32_f16_sdwa v7, v63 dst_sel:DWORD dst_unused:UNUSED_PAD src0_sel:WORD_1
	v_cvt_f32_f16_e32 v6, v63
	v_cvt_f32_f16_sdwa v9, v69 dst_sel:DWORD dst_unused:UNUSED_PAD src0_sel:WORD_1
	v_cvt_f32_f16_e32 v8, v69
	s_movk_i32 s4, 0x70
	v_mad_u64_u32 v[4:5], s[4:5], v2, s4, v[48:49]
	v_mov_b32_e32 v5, 0
	v_lshl_add_u64 v[10:11], v[4:5], 2, s[28:29]
	v_pk_mul_f32 v[4:5], v[0:1], v[6:7] op_sel_hi:[0,1]
	v_pk_mul_f32 v[6:7], v[0:1], v[8:9] op_sel_hi:[0,1]
	global_store_dwordx4 v[10:11], v[4:7], off
	s_or_b64 exec, exec, s[0:1]
	s_and_b64 exec, exec, s[2:3]
	s_cbranch_execnz .LBB40_20
	s_branch .LBB40_21
	.section	.rodata,"a",@progbits
	.p2align	6, 0x0
	.amdhsa_kernel _ZL15flash_attn_tileILi112ELi112ELi8ELi2ELb0EEvPKcS1_S1_S1_S1_PKiPfP15HIP_vector_typeIfLj2EEffffjfiS5_IjLj3EEiiiiiiiiiiiliiliiiiil
		.amdhsa_group_segment_fixed_size 8768
		.amdhsa_private_segment_fixed_size 0
		.amdhsa_kernarg_size 464
		.amdhsa_user_sgpr_count 2
		.amdhsa_user_sgpr_dispatch_ptr 0
		.amdhsa_user_sgpr_queue_ptr 0
		.amdhsa_user_sgpr_kernarg_segment_ptr 1
		.amdhsa_user_sgpr_dispatch_id 0
		.amdhsa_user_sgpr_kernarg_preload_length 0
		.amdhsa_user_sgpr_kernarg_preload_offset 0
		.amdhsa_user_sgpr_private_segment_size 0
		.amdhsa_uses_dynamic_stack 0
		.amdhsa_enable_private_segment 0
		.amdhsa_system_sgpr_workgroup_id_x 1
		.amdhsa_system_sgpr_workgroup_id_y 1
		.amdhsa_system_sgpr_workgroup_id_z 1
		.amdhsa_system_sgpr_workgroup_info 0
		.amdhsa_system_vgpr_workitem_id 1
		.amdhsa_next_free_vgpr 118
		.amdhsa_next_free_sgpr 54
		.amdhsa_accum_offset 120
		.amdhsa_reserve_vcc 1
		.amdhsa_float_round_mode_32 0
		.amdhsa_float_round_mode_16_64 0
		.amdhsa_float_denorm_mode_32 3
		.amdhsa_float_denorm_mode_16_64 3
		.amdhsa_dx10_clamp 1
		.amdhsa_ieee_mode 1
		.amdhsa_fp16_overflow 0
		.amdhsa_tg_split 0
		.amdhsa_exception_fp_ieee_invalid_op 0
		.amdhsa_exception_fp_denorm_src 0
		.amdhsa_exception_fp_ieee_div_zero 0
		.amdhsa_exception_fp_ieee_overflow 0
		.amdhsa_exception_fp_ieee_underflow 0
		.amdhsa_exception_fp_ieee_inexact 0
		.amdhsa_exception_int_div_zero 0
	.end_amdhsa_kernel
	.section	.text._ZL15flash_attn_tileILi112ELi112ELi8ELi2ELb0EEvPKcS1_S1_S1_S1_PKiPfP15HIP_vector_typeIfLj2EEffffjfiS5_IjLj3EEiiiiiiiiiiiliiliiiiil,"axG",@progbits,_ZL15flash_attn_tileILi112ELi112ELi8ELi2ELb0EEvPKcS1_S1_S1_S1_PKiPfP15HIP_vector_typeIfLj2EEffffjfiS5_IjLj3EEiiiiiiiiiiiliiliiiiil,comdat
.Lfunc_end40:
	.size	_ZL15flash_attn_tileILi112ELi112ELi8ELi2ELb0EEvPKcS1_S1_S1_S1_PKiPfP15HIP_vector_typeIfLj2EEffffjfiS5_IjLj3EEiiiiiiiiiiiliiliiiiil, .Lfunc_end40-_ZL15flash_attn_tileILi112ELi112ELi8ELi2ELb0EEvPKcS1_S1_S1_S1_PKiPfP15HIP_vector_typeIfLj2EEffffjfiS5_IjLj3EEiiiiiiiiiiiliiliiiiil
                                        ; -- End function
	.set _ZL15flash_attn_tileILi112ELi112ELi8ELi2ELb0EEvPKcS1_S1_S1_S1_PKiPfP15HIP_vector_typeIfLj2EEffffjfiS5_IjLj3EEiiiiiiiiiiiliiliiiiil.num_vgpr, 118
	.set _ZL15flash_attn_tileILi112ELi112ELi8ELi2ELb0EEvPKcS1_S1_S1_S1_PKiPfP15HIP_vector_typeIfLj2EEffffjfiS5_IjLj3EEiiiiiiiiiiiliiliiiiil.num_agpr, 0
	.set _ZL15flash_attn_tileILi112ELi112ELi8ELi2ELb0EEvPKcS1_S1_S1_S1_PKiPfP15HIP_vector_typeIfLj2EEffffjfiS5_IjLj3EEiiiiiiiiiiiliiliiiiil.numbered_sgpr, 54
	.set _ZL15flash_attn_tileILi112ELi112ELi8ELi2ELb0EEvPKcS1_S1_S1_S1_PKiPfP15HIP_vector_typeIfLj2EEffffjfiS5_IjLj3EEiiiiiiiiiiiliiliiiiil.num_named_barrier, 0
	.set _ZL15flash_attn_tileILi112ELi112ELi8ELi2ELb0EEvPKcS1_S1_S1_S1_PKiPfP15HIP_vector_typeIfLj2EEffffjfiS5_IjLj3EEiiiiiiiiiiiliiliiiiil.private_seg_size, 0
	.set _ZL15flash_attn_tileILi112ELi112ELi8ELi2ELb0EEvPKcS1_S1_S1_S1_PKiPfP15HIP_vector_typeIfLj2EEffffjfiS5_IjLj3EEiiiiiiiiiiiliiliiiiil.uses_vcc, 1
	.set _ZL15flash_attn_tileILi112ELi112ELi8ELi2ELb0EEvPKcS1_S1_S1_S1_PKiPfP15HIP_vector_typeIfLj2EEffffjfiS5_IjLj3EEiiiiiiiiiiiliiliiiiil.uses_flat_scratch, 0
	.set _ZL15flash_attn_tileILi112ELi112ELi8ELi2ELb0EEvPKcS1_S1_S1_S1_PKiPfP15HIP_vector_typeIfLj2EEffffjfiS5_IjLj3EEiiiiiiiiiiiliiliiiiil.has_dyn_sized_stack, 0
	.set _ZL15flash_attn_tileILi112ELi112ELi8ELi2ELb0EEvPKcS1_S1_S1_S1_PKiPfP15HIP_vector_typeIfLj2EEffffjfiS5_IjLj3EEiiiiiiiiiiiliiliiiiil.has_recursion, 0
	.set _ZL15flash_attn_tileILi112ELi112ELi8ELi2ELb0EEvPKcS1_S1_S1_S1_PKiPfP15HIP_vector_typeIfLj2EEffffjfiS5_IjLj3EEiiiiiiiiiiiliiliiiiil.has_indirect_call, 0
	.section	.AMDGPU.csdata,"",@progbits
; Kernel info:
; codeLenInByte = 8932
; TotalNumSgprs: 60
; NumVgprs: 118
; NumAgprs: 0
; TotalNumVgprs: 118
; ScratchSize: 0
; MemoryBound: 0
; FloatMode: 240
; IeeeMode: 1
; LDSByteSize: 8768 bytes/workgroup (compile time only)
; SGPRBlocks: 7
; VGPRBlocks: 14
; NumSGPRsForWavesPerEU: 60
; NumVGPRsForWavesPerEU: 118
; AccumOffset: 120
; Occupancy: 4
; WaveLimiterHint : 1
; COMPUTE_PGM_RSRC2:SCRATCH_EN: 0
; COMPUTE_PGM_RSRC2:USER_SGPR: 2
; COMPUTE_PGM_RSRC2:TRAP_HANDLER: 0
; COMPUTE_PGM_RSRC2:TGID_X_EN: 1
; COMPUTE_PGM_RSRC2:TGID_Y_EN: 1
; COMPUTE_PGM_RSRC2:TGID_Z_EN: 1
; COMPUTE_PGM_RSRC2:TIDIG_COMP_CNT: 1
; COMPUTE_PGM_RSRC3_GFX90A:ACCUM_OFFSET: 29
; COMPUTE_PGM_RSRC3_GFX90A:TG_SPLIT: 0
	.section	.text._ZL33flash_attn_stream_k_fixup_uniformILi112ELi8ELi2EEvPfPK15HIP_vector_typeIfLj2EEiiiiiiS1_IjLj3EES5_S5_,"axG",@progbits,_ZL33flash_attn_stream_k_fixup_uniformILi112ELi8ELi2EEvPfPK15HIP_vector_typeIfLj2EEiiiiiiS1_IjLj3EES5_S5_,comdat
	.globl	_ZL33flash_attn_stream_k_fixup_uniformILi112ELi8ELi2EEvPfPK15HIP_vector_typeIfLj2EEiiiiiiS1_IjLj3EES5_S5_ ; -- Begin function _ZL33flash_attn_stream_k_fixup_uniformILi112ELi8ELi2EEvPfPK15HIP_vector_typeIfLj2EEiiiiiiS1_IjLj3EES5_S5_
	.p2align	8
	.type	_ZL33flash_attn_stream_k_fixup_uniformILi112ELi8ELi2EEvPfPK15HIP_vector_typeIfLj2EEiiiiiiS1_IjLj3EES5_S5_,@function
_ZL33flash_attn_stream_k_fixup_uniformILi112ELi8ELi2EEvPfPK15HIP_vector_typeIfLj2EEiiiiiiS1_IjLj3EES5_S5_: ; @_ZL33flash_attn_stream_k_fixup_uniformILi112ELi8ELi2EEvPfPK15HIP_vector_typeIfLj2EEiiiiiiS1_IjLj3EES5_S5_
; %bb.0:
	s_load_dwordx8 s[8:15], s[0:1], 0x1c
	s_load_dwordx2 s[6:7], s[0:1], 0x10
	s_load_dwordx4 s[16:19], s[0:1], 0x3c
	s_waitcnt lgkmcnt(0)
	s_mul_hi_u32 s5, s11, s2
	s_add_i32 s5, s2, s5
	s_lshr_b32 s5, s5, s12
	s_mul_i32 s11, s5, s13
	s_sub_i32 s12, s2, s11
	s_mul_hi_u32 s11, s12, s14
	s_add_i32 s11, s12, s11
	s_lshr_b32 s11, s11, s15
	s_mul_i32 s13, s11, s16
	s_sub_i32 s12, s12, s13
	;; [unrolled: 5-line block ×3, first 2 shown]
	s_lshl_b32 s12, s16, 3
	s_lshl_b32 s17, s13, 1
	s_add_i32 s12, s12, s3
	s_cmp_lt_i32 s12, s6
	s_cselect_b64 s[12:13], -1, 0
	s_add_i32 s17, s17, s4
	s_cmp_lt_i32 s17, s9
	s_cselect_b64 s[14:15], -1, 0
	s_and_b64 s[12:13], s[12:13], s[14:15]
	s_andn2_b64 vcc, exec, s[12:13]
	s_cbranch_vccnz .LBB41_6
; %bb.1:
	s_load_dwordx4 s[12:15], s[0:1], 0x0
	s_mul_i32 s0, s5, s6
	s_mul_i32 s11, s11, s9
	s_add_i32 s0, s0, s3
	s_mul_i32 s0, s0, s7
	s_add_i32 s5, s17, s11
	s_mul_i32 s1, s7, s16
	s_add_i32 s0, s5, s0
	s_mulk_i32 s1, 0x380
	s_mulk_i32 s0, 0x70
	s_add_i32 s0, s0, s1
	v_add_u32_e32 v4, s0, v0
	s_waitcnt lgkmcnt(0)
	v_mov_b32_e32 v2, s12
	v_mov_b32_e32 v3, s13
	v_ashrrev_i32_e32 v5, 31, v4
	v_lshl_add_u64 v[2:3], v[4:5], 2, v[2:3]
	global_load_dword v5, v[2:3], off
	s_mul_i32 s5, s10, s2
	s_lshl_b32 s11, s3, 1
	s_add_i32 s9, s5, s10
	s_add_i32 s0, s11, s4
	s_lshl_b32 s1, s9, 4
	s_add_i32 s0, s0, s1
	s_add_i32 s0, s0, -16
	s_ashr_i32 s1, s0, 31
	s_lshl_b64 s[0:1], s[0:1], 3
	s_add_u32 s0, s14, s0
	s_addc_u32 s1, s15, s1
	s_load_dword s12, s[0:1], 0x4
	s_add_i32 s6, s9, -2
	s_cmp_lt_i32 s6, s5
	s_cbranch_scc1 .LBB41_4
; %bb.2:
	s_lshl_b32 s6, s8, 6
	s_ashr_i32 s7, s6, 31
	s_lshl_b64 s[6:7], s[6:7], 2
	s_add_u32 s6, s14, s6
	s_addc_u32 s7, s15, s7
	s_add_i32 s2, s2, 1
	s_load_dword s0, s[0:1], 0x0
	s_mul_i32 s1, s10, s2
	s_lshl_b32 s2, s1, 4
	s_add_i32 s2, s4, s2
	s_mulk_i32 s3, 0xe0
	s_mulk_i32 s4, 0x70
	s_lshl_b32 s8, s8, 4
	s_mulk_i32 s1, 0x700
	s_add_i32 s3, s4, s3
	s_add_i32 s2, s2, s8
	;; [unrolled: 1-line block ×4, first 2 shown]
	v_add_u32_e32 v0, s3, v0
	s_add_i32 s9, s9, -1
	s_sub_i32 s2, s2, 32
	v_add_u32_e32 v0, 0xfffff200, v0
	s_waitcnt lgkmcnt(0)
	v_mov_b32_e32 v7, s0
	v_mov_b32_e32 v4, s12
	s_mov_b32 s4, 0x3fb8aa3b
	s_mov_b32 s8, 0xc2ce8ed0
	;; [unrolled: 1-line block ×3, first 2 shown]
	v_mov_b32_e32 v6, 0x7f800000
	s_mov_b32 s11, 0xc1a00000
.LBB41_3:                               ; =>This Inner Loop Header: Depth=1
	v_ashrrev_i32_e32 v1, 31, v0
	v_lshl_add_u64 v[8:9], v[0:1], 2, s[6:7]
	global_load_dword v9, v[8:9], off
	s_ashr_i32 s3, s2, 31
	s_lshl_b64 s[0:1], s[2:3], 3
	s_add_u32 s0, s14, s0
	s_addc_u32 s1, s15, s1
	s_load_dwordx2 s[0:1], s[0:1], 0x0
	v_max_f32_e32 v1, v7, v7
	s_add_i32 s9, s9, -1
	s_add_i32 s2, s2, -16
	v_add_u32_e32 v0, 0xfffff900, v0
	s_waitcnt lgkmcnt(0)
	v_max_f32_e64 v10, s0, s0
	v_max_f32_e32 v1, v1, v10
	v_sub_f32_e32 v11, s0, v1
	v_sub_f32_e32 v10, v7, v1
	v_mul_f32_e32 v12, 0x3fb8aa3b, v11
	v_mov_b32_e32 v7, v1
	v_mul_f32_e32 v1, 0x3fb8aa3b, v10
	v_fma_f32 v15, v11, s4, -v12
	v_rndne_f32_e32 v16, v12
	v_fma_f32 v13, v10, s4, -v1
	v_rndne_f32_e32 v14, v1
	v_fmac_f32_e32 v15, 0x32a5705f, v11
	v_sub_f32_e32 v12, v12, v16
	v_fmac_f32_e32 v13, 0x32a5705f, v10
	v_sub_f32_e32 v1, v1, v14
	v_add_f32_e32 v12, v12, v15
	v_cvt_i32_f32_e32 v16, v16
	v_add_f32_e32 v1, v1, v13
	v_exp_f32_e32 v12, v12
	v_cvt_i32_f32_e32 v14, v14
	v_exp_f32_e32 v1, v1
	v_cmp_ngt_f32_e32 vcc, s8, v11
	v_ldexp_f32 v12, v12, v16
	v_mov_b32_e32 v8, s1
	v_ldexp_f32 v1, v1, v14
	v_cmp_ngt_f32_e64 s[0:1], s8, v10
	v_cndmask_b32_e32 v12, 0, v12, vcc
	v_cmp_nlt_f32_e32 vcc, s10, v11
	v_cndmask_b32_e64 v1, 0, v1, s[0:1]
	v_cmp_nlt_f32_e64 s[0:1], s10, v10
	v_cndmask_b32_e32 v12, v6, v12, vcc
	v_cmp_le_f32_e32 vcc, s11, v11
	v_cndmask_b32_e64 v1, v6, v1, s[0:1]
	v_cmp_le_f32_e64 s[0:1], s11, v10
	v_cndmask_b32_e32 v12, 0, v12, vcc
	s_cmp_le_i32 s9, s5
	v_cndmask_b32_e64 v10, 0, v1, s[0:1]
	s_waitcnt vmcnt(0)
	v_pk_mul_f32 v[8:9], v[8:9], v[12:13] op_sel_hi:[1,0]
	s_nop 0
	v_pk_fma_f32 v[4:5], v[4:5], v[10:11], v[8:9] op_sel_hi:[1,0,1]
	s_cbranch_scc0 .LBB41_3
	s_branch .LBB41_5
.LBB41_4:
	s_waitcnt lgkmcnt(0)
	v_mov_b32_e32 v4, s12
.LBB41_5:
	s_waitcnt vmcnt(0)
	v_div_scale_f32 v0, s[0:1], v4, v4, v5
	v_rcp_f32_e32 v1, v0
	v_div_scale_f32 v6, vcc, v5, v4, v5
	v_fma_f32 v7, -v0, v1, 1.0
	v_fmac_f32_e32 v1, v7, v1
	v_mul_f32_e32 v7, v6, v1
	v_fma_f32 v8, -v0, v7, v6
	v_fmac_f32_e32 v7, v8, v1
	v_fma_f32 v0, -v0, v7, v6
	v_div_fmas_f32 v0, v0, v1, v7
	v_div_fixup_f32 v0, v0, v4, v5
	global_store_dword v[2:3], v0, off
.LBB41_6:
	s_endpgm
	.section	.rodata,"a",@progbits
	.p2align	6, 0x0
	.amdhsa_kernel _ZL33flash_attn_stream_k_fixup_uniformILi112ELi8ELi2EEvPfPK15HIP_vector_typeIfLj2EEiiiiiiS1_IjLj3EES5_S5_
		.amdhsa_group_segment_fixed_size 0
		.amdhsa_private_segment_fixed_size 0
		.amdhsa_kernarg_size 76
		.amdhsa_user_sgpr_count 2
		.amdhsa_user_sgpr_dispatch_ptr 0
		.amdhsa_user_sgpr_queue_ptr 0
		.amdhsa_user_sgpr_kernarg_segment_ptr 1
		.amdhsa_user_sgpr_dispatch_id 0
		.amdhsa_user_sgpr_kernarg_preload_length 0
		.amdhsa_user_sgpr_kernarg_preload_offset 0
		.amdhsa_user_sgpr_private_segment_size 0
		.amdhsa_uses_dynamic_stack 0
		.amdhsa_enable_private_segment 0
		.amdhsa_system_sgpr_workgroup_id_x 1
		.amdhsa_system_sgpr_workgroup_id_y 1
		.amdhsa_system_sgpr_workgroup_id_z 1
		.amdhsa_system_sgpr_workgroup_info 0
		.amdhsa_system_vgpr_workitem_id 0
		.amdhsa_next_free_vgpr 17
		.amdhsa_next_free_sgpr 20
		.amdhsa_accum_offset 20
		.amdhsa_reserve_vcc 1
		.amdhsa_float_round_mode_32 0
		.amdhsa_float_round_mode_16_64 0
		.amdhsa_float_denorm_mode_32 3
		.amdhsa_float_denorm_mode_16_64 3
		.amdhsa_dx10_clamp 1
		.amdhsa_ieee_mode 1
		.amdhsa_fp16_overflow 0
		.amdhsa_tg_split 0
		.amdhsa_exception_fp_ieee_invalid_op 0
		.amdhsa_exception_fp_denorm_src 0
		.amdhsa_exception_fp_ieee_div_zero 0
		.amdhsa_exception_fp_ieee_overflow 0
		.amdhsa_exception_fp_ieee_underflow 0
		.amdhsa_exception_fp_ieee_inexact 0
		.amdhsa_exception_int_div_zero 0
	.end_amdhsa_kernel
	.section	.text._ZL33flash_attn_stream_k_fixup_uniformILi112ELi8ELi2EEvPfPK15HIP_vector_typeIfLj2EEiiiiiiS1_IjLj3EES5_S5_,"axG",@progbits,_ZL33flash_attn_stream_k_fixup_uniformILi112ELi8ELi2EEvPfPK15HIP_vector_typeIfLj2EEiiiiiiS1_IjLj3EES5_S5_,comdat
.Lfunc_end41:
	.size	_ZL33flash_attn_stream_k_fixup_uniformILi112ELi8ELi2EEvPfPK15HIP_vector_typeIfLj2EEiiiiiiS1_IjLj3EES5_S5_, .Lfunc_end41-_ZL33flash_attn_stream_k_fixup_uniformILi112ELi8ELi2EEvPfPK15HIP_vector_typeIfLj2EEiiiiiiS1_IjLj3EES5_S5_
                                        ; -- End function
	.set _ZL33flash_attn_stream_k_fixup_uniformILi112ELi8ELi2EEvPfPK15HIP_vector_typeIfLj2EEiiiiiiS1_IjLj3EES5_S5_.num_vgpr, 17
	.set _ZL33flash_attn_stream_k_fixup_uniformILi112ELi8ELi2EEvPfPK15HIP_vector_typeIfLj2EEiiiiiiS1_IjLj3EES5_S5_.num_agpr, 0
	.set _ZL33flash_attn_stream_k_fixup_uniformILi112ELi8ELi2EEvPfPK15HIP_vector_typeIfLj2EEiiiiiiS1_IjLj3EES5_S5_.numbered_sgpr, 20
	.set _ZL33flash_attn_stream_k_fixup_uniformILi112ELi8ELi2EEvPfPK15HIP_vector_typeIfLj2EEiiiiiiS1_IjLj3EES5_S5_.num_named_barrier, 0
	.set _ZL33flash_attn_stream_k_fixup_uniformILi112ELi8ELi2EEvPfPK15HIP_vector_typeIfLj2EEiiiiiiS1_IjLj3EES5_S5_.private_seg_size, 0
	.set _ZL33flash_attn_stream_k_fixup_uniformILi112ELi8ELi2EEvPfPK15HIP_vector_typeIfLj2EEiiiiiiS1_IjLj3EES5_S5_.uses_vcc, 1
	.set _ZL33flash_attn_stream_k_fixup_uniformILi112ELi8ELi2EEvPfPK15HIP_vector_typeIfLj2EEiiiiiiS1_IjLj3EES5_S5_.uses_flat_scratch, 0
	.set _ZL33flash_attn_stream_k_fixup_uniformILi112ELi8ELi2EEvPfPK15HIP_vector_typeIfLj2EEiiiiiiS1_IjLj3EES5_S5_.has_dyn_sized_stack, 0
	.set _ZL33flash_attn_stream_k_fixup_uniformILi112ELi8ELi2EEvPfPK15HIP_vector_typeIfLj2EEiiiiiiS1_IjLj3EES5_S5_.has_recursion, 0
	.set _ZL33flash_attn_stream_k_fixup_uniformILi112ELi8ELi2EEvPfPK15HIP_vector_typeIfLj2EEiiiiiiS1_IjLj3EES5_S5_.has_indirect_call, 0
	.section	.AMDGPU.csdata,"",@progbits
; Kernel info:
; codeLenInByte = 832
; TotalNumSgprs: 26
; NumVgprs: 17
; NumAgprs: 0
; TotalNumVgprs: 17
; ScratchSize: 0
; MemoryBound: 0
; FloatMode: 240
; IeeeMode: 1
; LDSByteSize: 0 bytes/workgroup (compile time only)
; SGPRBlocks: 3
; VGPRBlocks: 2
; NumSGPRsForWavesPerEU: 26
; NumVGPRsForWavesPerEU: 17
; AccumOffset: 20
; Occupancy: 8
; WaveLimiterHint : 0
; COMPUTE_PGM_RSRC2:SCRATCH_EN: 0
; COMPUTE_PGM_RSRC2:USER_SGPR: 2
; COMPUTE_PGM_RSRC2:TRAP_HANDLER: 0
; COMPUTE_PGM_RSRC2:TGID_X_EN: 1
; COMPUTE_PGM_RSRC2:TGID_Y_EN: 1
; COMPUTE_PGM_RSRC2:TGID_Z_EN: 1
; COMPUTE_PGM_RSRC2:TIDIG_COMP_CNT: 0
; COMPUTE_PGM_RSRC3_GFX90A:ACCUM_OFFSET: 4
; COMPUTE_PGM_RSRC3_GFX90A:TG_SPLIT: 0
	.section	.text._ZL33flash_attn_stream_k_fixup_generalILi112ELi8ELi2EEvPfPK15HIP_vector_typeIfLj2EEiiiiS1_IjLj3EES5_S5_S5_,"axG",@progbits,_ZL33flash_attn_stream_k_fixup_generalILi112ELi8ELi2EEvPfPK15HIP_vector_typeIfLj2EEiiiiS1_IjLj3EES5_S5_S5_,comdat
	.globl	_ZL33flash_attn_stream_k_fixup_generalILi112ELi8ELi2EEvPfPK15HIP_vector_typeIfLj2EEiiiiS1_IjLj3EES5_S5_S5_ ; -- Begin function _ZL33flash_attn_stream_k_fixup_generalILi112ELi8ELi2EEvPfPK15HIP_vector_typeIfLj2EEiiiiS1_IjLj3EES5_S5_S5_
	.p2align	8
	.type	_ZL33flash_attn_stream_k_fixup_generalILi112ELi8ELi2EEvPfPK15HIP_vector_typeIfLj2EEiiiiS1_IjLj3EES5_S5_S5_,@function
_ZL33flash_attn_stream_k_fixup_generalILi112ELi8ELi2EEvPfPK15HIP_vector_typeIfLj2EEiiiiS1_IjLj3EES5_S5_S5_: ; @_ZL33flash_attn_stream_k_fixup_generalILi112ELi8ELi2EEvPfPK15HIP_vector_typeIfLj2EEiiiiS1_IjLj3EES5_S5_S5_
; %bb.0:
	s_load_dwordx4 s[8:11], s[0:1], 0x10
	s_load_dword s22, s[0:1], 0x50
	s_mov_b32 s12, 0
	s_waitcnt lgkmcnt(0)
	s_mul_hi_i32 s13, s11, s2
	s_cmp_lg_u64 s[12:13], 0
	s_mul_i32 s5, s11, s2
	s_cbranch_scc0 .LBB42_20
; %bb.1:
	s_add_u32 s6, s22, 0
	s_addc_u32 s7, 0, 0
	s_xor_b64 s[6:7], s[6:7], 0
	v_cvt_f32_u32_e32 v1, s6
	v_cvt_f32_u32_e32 v2, s7
	s_sub_u32 s12, 0, s6
	s_subb_u32 s18, 0, s7
	v_fmamk_f32 v1, v2, 0x4f800000, v1
	v_rcp_f32_e32 v1, v1
	s_nop 0
	v_mul_f32_e32 v1, 0x5f7ffffc, v1
	v_mul_f32_e32 v2, 0x2f800000, v1
	v_trunc_f32_e32 v2, v2
	v_fmamk_f32 v1, v2, 0xcf800000, v1
	v_cvt_u32_f32_e32 v2, v2
	v_cvt_u32_f32_e32 v1, v1
	v_readfirstlane_b32 s19, v2
	v_readfirstlane_b32 s14, v1
	s_mul_i32 s15, s12, s19
	s_mul_hi_u32 s21, s12, s14
	s_mul_i32 s20, s18, s14
	s_add_i32 s15, s21, s15
	s_add_i32 s15, s15, s20
	s_mul_i32 s23, s12, s14
	s_mul_i32 s21, s14, s15
	s_mul_hi_u32 s24, s14, s23
	s_mul_hi_u32 s20, s14, s15
	s_add_u32 s21, s24, s21
	s_addc_u32 s20, 0, s20
	s_mul_hi_u32 s25, s19, s23
	s_mul_i32 s23, s19, s23
	s_add_u32 s21, s21, s23
	s_mul_hi_u32 s24, s19, s15
	s_addc_u32 s20, s20, s25
	s_addc_u32 s21, s24, 0
	s_mul_i32 s15, s19, s15
	s_add_u32 s15, s20, s15
	s_addc_u32 s20, 0, s21
	s_add_u32 s21, s14, s15
	s_cselect_b64 s[14:15], -1, 0
	s_cmp_lg_u64 s[14:15], 0
	s_addc_u32 s19, s19, s20
	s_mul_i32 s14, s12, s19
	s_mul_hi_u32 s15, s12, s21
	s_add_i32 s14, s15, s14
	s_mul_i32 s18, s18, s21
	s_add_i32 s14, s14, s18
	s_mul_i32 s12, s12, s21
	s_mul_hi_u32 s18, s19, s12
	s_mul_i32 s20, s19, s12
	s_mul_i32 s24, s21, s14
	s_mul_hi_u32 s12, s21, s12
	s_mul_hi_u32 s23, s21, s14
	s_add_u32 s12, s12, s24
	s_addc_u32 s23, 0, s23
	s_add_u32 s12, s12, s20
	s_mul_hi_u32 s15, s19, s14
	s_addc_u32 s12, s23, s18
	s_addc_u32 s15, s15, 0
	s_mul_i32 s14, s19, s14
	s_add_u32 s12, s12, s14
	s_addc_u32 s18, 0, s15
	s_add_u32 s20, s21, s12
	s_cselect_b64 s[14:15], -1, 0
	s_cmp_lg_u64 s[14:15], 0
	s_addc_u32 s18, s19, s18
	s_ashr_i32 s14, s13, 31
	s_add_u32 s12, s5, s14
	s_mov_b32 s15, s14
	s_addc_u32 s13, s13, s14
	s_xor_b64 s[12:13], s[12:13], s[14:15]
	s_mul_i32 s21, s12, s18
	s_mul_hi_u32 s23, s12, s20
	s_mul_hi_u32 s19, s12, s18
	s_add_u32 s21, s23, s21
	s_addc_u32 s19, 0, s19
	s_mul_hi_u32 s24, s13, s20
	s_mul_i32 s20, s13, s20
	s_add_u32 s20, s21, s20
	s_mul_hi_u32 s23, s13, s18
	s_addc_u32 s19, s19, s24
	s_addc_u32 s20, s23, 0
	s_mul_i32 s18, s13, s18
	s_add_u32 s23, s19, s18
	s_addc_u32 s24, 0, s20
	s_mul_i32 s18, s6, s24
	s_mul_hi_u32 s19, s6, s23
	s_add_i32 s18, s19, s18
	s_mul_i32 s19, s7, s23
	s_add_i32 s25, s18, s19
	s_sub_i32 s20, s13, s25
	s_mul_i32 s18, s6, s23
	s_sub_u32 s12, s12, s18
	s_cselect_b64 s[18:19], -1, 0
	s_cmp_lg_u64 s[18:19], 0
	s_subb_u32 s26, s20, s7
	s_sub_u32 s27, s12, s6
	s_cselect_b64 s[20:21], -1, 0
	s_cmp_lg_u64 s[20:21], 0
	s_subb_u32 s20, s26, 0
	s_cmp_ge_u32 s20, s7
	s_cselect_b32 s21, -1, 0
	s_cmp_ge_u32 s27, s6
	s_cselect_b32 s26, -1, 0
	s_cmp_eq_u32 s20, s7
	s_cselect_b32 s20, s26, s21
	s_add_u32 s21, s23, 1
	s_addc_u32 s26, s24, 0
	s_add_u32 s27, s23, 2
	s_addc_u32 s28, s24, 0
	s_cmp_lg_u32 s20, 0
	s_cselect_b32 s20, s27, s21
	s_cselect_b32 s21, s28, s26
	s_cmp_lg_u64 s[18:19], 0
	s_subb_u32 s13, s13, s25
	s_cmp_ge_u32 s13, s7
	s_cselect_b32 s18, -1, 0
	s_cmp_ge_u32 s12, s6
	s_cselect_b32 s6, -1, 0
	s_cmp_eq_u32 s13, s7
	s_cselect_b32 s6, s6, s18
	s_cmp_lg_u32 s6, 0
	s_cselect_b32 s7, s21, s24
	s_cselect_b32 s6, s20, s23
	s_xor_b64 s[12:13], s[14:15], 0
	s_xor_b64 s[6:7], s[6:7], s[12:13]
	s_sub_u32 s6, s6, s12
	s_load_dwordx4 s[12:15], s[0:1], 0x44
	s_cbranch_execnz .LBB42_3
.LBB42_2:
	v_cvt_f32_u32_e32 v1, s22
	s_sub_i32 s6, 0, s22
	v_rcp_iflag_f32_e32 v1, v1
	s_nop 0
	v_mul_f32_e32 v1, 0x4f7ffffe, v1
	v_cvt_u32_f32_e32 v1, v1
	s_nop 0
	v_readfirstlane_b32 s7, v1
	s_mul_i32 s6, s6, s7
	s_mul_hi_u32 s6, s7, s6
	s_add_i32 s7, s7, s6
	s_mul_hi_u32 s6, s5, s7
	s_waitcnt lgkmcnt(0)
	s_mul_i32 s15, s6, s22
	s_sub_i32 s5, s5, s15
	s_add_i32 s7, s6, 1
	s_sub_i32 s15, s5, s22
	s_cmp_ge_u32 s5, s22
	s_cselect_b32 s6, s7, s6
	s_cselect_b32 s5, s15, s5
	s_add_i32 s7, s6, 1
	s_cmp_ge_u32 s5, s22
	s_cselect_b32 s6, s7, s6
.LBB42_3:
	s_add_i32 s5, s2, 1
	s_mul_hi_i32 s21, s11, s5
	s_mov_b32 s20, 0
	s_cmp_lg_u64 s[20:21], 0
	s_mul_i32 s5, s11, s5
	s_cbranch_scc0 .LBB42_21
; %bb.4:
	s_add_u32 s16, s22, 0
	s_addc_u32 s17, 0, 0
	s_xor_b64 s[18:19], s[16:17], 0
	v_cvt_f32_u32_e32 v1, s18
	v_cvt_f32_u32_e32 v2, s19
	s_sub_u32 s7, 0, s18
	s_waitcnt lgkmcnt(0)
	s_subb_u32 s15, 0, s19
	v_fmamk_f32 v1, v2, 0x4f800000, v1
	v_rcp_f32_e32 v1, v1
	s_nop 0
	v_mul_f32_e32 v1, 0x5f7ffffc, v1
	v_mul_f32_e32 v2, 0x2f800000, v1
	v_trunc_f32_e32 v2, v2
	v_fmamk_f32 v1, v2, 0xcf800000, v1
	v_cvt_u32_f32_e32 v2, v2
	v_cvt_u32_f32_e32 v1, v1
	v_readfirstlane_b32 s20, v2
	v_readfirstlane_b32 s23, v1
	s_mul_i32 s24, s7, s20
	s_mul_hi_u32 s26, s7, s23
	s_mul_i32 s25, s15, s23
	s_add_i32 s24, s26, s24
	s_add_i32 s24, s24, s25
	s_mul_i32 s27, s7, s23
	s_mul_i32 s26, s23, s24
	s_mul_hi_u32 s28, s23, s27
	s_mul_hi_u32 s25, s23, s24
	s_add_u32 s26, s28, s26
	s_addc_u32 s25, 0, s25
	s_mul_hi_u32 s29, s20, s27
	s_mul_i32 s27, s20, s27
	s_add_u32 s26, s26, s27
	s_mul_hi_u32 s28, s20, s24
	s_addc_u32 s25, s25, s29
	s_addc_u32 s26, s28, 0
	s_mul_i32 s24, s20, s24
	s_add_u32 s24, s25, s24
	s_addc_u32 s26, 0, s26
	s_add_u32 s23, s23, s24
	s_cselect_b64 s[24:25], -1, 0
	s_cmp_lg_u64 s[24:25], 0
	s_addc_u32 s20, s20, s26
	s_mul_i32 s24, s7, s20
	s_mul_hi_u32 s25, s7, s23
	s_add_i32 s24, s25, s24
	s_mul_i32 s15, s15, s23
	s_add_i32 s24, s24, s15
	s_mul_i32 s7, s7, s23
	s_mul_hi_u32 s25, s20, s7
	s_mul_i32 s26, s20, s7
	s_mul_i32 s28, s23, s24
	s_mul_hi_u32 s7, s23, s7
	s_mul_hi_u32 s27, s23, s24
	s_add_u32 s7, s7, s28
	s_addc_u32 s27, 0, s27
	s_add_u32 s7, s7, s26
	s_mul_hi_u32 s15, s20, s24
	s_addc_u32 s7, s27, s25
	s_addc_u32 s15, s15, 0
	s_mul_i32 s24, s20, s24
	s_add_u32 s7, s7, s24
	s_addc_u32 s15, 0, s15
	s_add_u32 s7, s23, s7
	s_cselect_b64 s[24:25], -1, 0
	s_cmp_lg_u64 s[24:25], 0
	s_addc_u32 s15, s20, s15
	s_ashr_i32 s24, s21, 31
	s_add_u32 s20, s5, s24
	s_mov_b32 s25, s24
	s_addc_u32 s21, s21, s24
	s_xor_b64 s[20:21], s[20:21], s[24:25]
	s_mul_i32 s26, s20, s15
	s_mul_hi_u32 s27, s20, s7
	s_mul_hi_u32 s23, s20, s15
	s_add_u32 s26, s27, s26
	s_addc_u32 s23, 0, s23
	s_mul_hi_u32 s28, s21, s7
	s_mul_i32 s7, s21, s7
	s_add_u32 s7, s26, s7
	s_mul_hi_u32 s27, s21, s15
	s_addc_u32 s7, s23, s28
	s_addc_u32 s23, s27, 0
	s_mul_i32 s15, s21, s15
	s_add_u32 s7, s7, s15
	s_addc_u32 s15, 0, s23
	s_mul_i32 s23, s18, s15
	s_mul_hi_u32 s26, s18, s7
	s_add_i32 s23, s26, s23
	s_mul_i32 s26, s19, s7
	s_add_i32 s23, s23, s26
	s_sub_i32 s28, s21, s23
	s_mul_i32 s26, s18, s7
	s_sub_u32 s20, s20, s26
	s_cselect_b64 s[26:27], -1, 0
	s_cmp_lg_u64 s[26:27], 0
	s_subb_u32 s30, s28, s19
	s_sub_u32 s31, s20, s18
	s_cselect_b64 s[28:29], -1, 0
	s_cmp_lg_u64 s[28:29], 0
	s_subb_u32 s28, s30, 0
	s_cmp_ge_u32 s28, s19
	s_cselect_b32 s29, -1, 0
	s_cmp_ge_u32 s31, s18
	s_cselect_b32 s30, -1, 0
	s_cmp_eq_u32 s28, s19
	s_cselect_b32 s28, s30, s29
	s_add_u32 s29, s7, 1
	s_addc_u32 s30, s15, 0
	s_add_u32 s31, s7, 2
	s_addc_u32 s33, s15, 0
	s_cmp_lg_u32 s28, 0
	s_cselect_b32 s28, s31, s29
	s_cselect_b32 s29, s33, s30
	s_cmp_lg_u64 s[26:27], 0
	s_subb_u32 s21, s21, s23
	s_cmp_ge_u32 s21, s19
	s_cselect_b32 s23, -1, 0
	s_cmp_ge_u32 s20, s18
	s_cselect_b32 s18, -1, 0
	s_cmp_eq_u32 s21, s19
	s_cselect_b32 s18, s18, s23
	s_cmp_lg_u32 s18, 0
	s_cselect_b32 s19, s29, s15
	s_cselect_b32 s18, s28, s7
	s_xor_b64 s[20:21], s[24:25], 0
	s_xor_b64 s[18:19], s[18:19], s[20:21]
	s_sub_u32 s18, s18, s20
	s_cbranch_execnz .LBB42_6
.LBB42_5:
	v_cvt_f32_u32_e32 v1, s22
	s_sub_i32 s7, 0, s22
	v_rcp_iflag_f32_e32 v1, v1
	s_nop 0
	v_mul_f32_e32 v1, 0x4f7ffffe, v1
	v_cvt_u32_f32_e32 v1, v1
	s_waitcnt lgkmcnt(0)
	v_readfirstlane_b32 s15, v1
	s_mul_i32 s7, s7, s15
	s_mul_hi_u32 s7, s15, s7
	s_add_i32 s15, s15, s7
	s_mul_hi_u32 s7, s5, s15
	s_mul_i32 s16, s7, s22
	s_sub_i32 s5, s5, s16
	s_add_i32 s15, s7, 1
	s_sub_i32 s16, s5, s22
	s_cmp_ge_u32 s5, s22
	s_cselect_b32 s7, s15, s7
	s_cselect_b32 s5, s16, s5
	s_add_i32 s15, s7, 1
	s_cmp_ge_u32 s5, s22
	s_cselect_b32 s18, s15, s7
.LBB42_6:
	s_cmp_eq_u32 s6, s18
	s_waitcnt lgkmcnt(0)
	s_mul_hi_u32 s5, s6, s12
	s_cselect_b64 s[16:17], -1, 0
	s_add_i32 s5, s5, s6
	s_lshr_b32 s7, s5, s13
	s_mul_i32 s5, s7, s14
	s_cmp_eq_u32 s5, s6
	s_mul_hi_u32 s5, s18, s12
	s_cselect_b64 s[20:21], -1, 0
	s_add_i32 s5, s5, s18
	s_lshr_b32 s5, s5, s13
	s_cmp_eq_u32 s7, s5
	s_mul_i32 s5, s5, s14
	s_cselect_b64 s[24:25], -1, 0
	s_cmp_lg_u32 s5, s18
	s_cselect_b64 s[18:19], -1, 0
	s_and_b64 s[18:19], s[24:25], s[18:19]
	s_or_b64 s[16:17], s[16:17], s[20:21]
	s_or_b64 s[16:17], s[16:17], s[18:19]
	s_and_b64 vcc, exec, s[16:17]
	s_cbranch_vccnz .LBB42_23
; %bb.7:
	s_load_dwordx8 s[24:31], s[0:1], 0x20
	s_load_dword s5, s[0:1], 0x40
	s_waitcnt lgkmcnt(0)
	s_mul_hi_u32 s15, s6, s24
	s_add_i32 s15, s15, s6
	s_lshr_b32 s20, s15, s25
	s_mul_i32 s15, s20, s26
	s_sub_i32 s15, s6, s15
	s_mul_hi_u32 s16, s15, s27
	s_add_i32 s16, s15, s16
	s_lshr_b32 s21, s16, s28
	s_mul_i32 s16, s21, s29
	s_sub_i32 s15, s15, s16
	;; [unrolled: 5-line block ×3, first 2 shown]
	s_mul_hi_u32 s15, s5, s12
	s_add_i32 s5, s5, s15
	s_lshr_b32 s23, s5, s13
	s_lshl_b32 s5, s23, 3
	s_lshl_b32 s24, s16, 1
	s_add_i32 s5, s5, s3
	s_cmp_lt_i32 s5, s8
	s_cselect_b64 s[16:17], -1, 0
	s_add_i32 s24, s24, s4
	s_cmp_lt_i32 s24, s10
	s_cselect_b64 s[18:19], -1, 0
	s_and_b64 s[16:17], s[16:17], s[18:19]
	s_andn2_b64 vcc, exec, s[16:17]
	s_cbranch_vccnz .LBB42_23
; %bb.8:
	s_load_dwordx4 s[16:19], s[0:1], 0x0
	s_mov_b32 s0, 0
	s_lshl_b32 s15, s3, 1
	s_lshl_b32 s26, s22, 6
	s_mov_b32 s27, s0
	s_add_i32 s15, s15, s4
	s_lshl_b64 s[4:5], s[26:27], 2
	s_waitcnt lgkmcnt(0)
	s_add_u32 s4, s18, s4
	s_mul_i32 s1, s20, s8
	s_addc_u32 s5, s19, s5
	s_mul_i32 s21, s21, s10
	s_add_i32 s1, s1, s3
	s_mul_i32 s1, s1, s9
	s_add_i32 s3, s24, s21
	;; [unrolled: 2-line block ×3, first 2 shown]
	s_mulk_i32 s8, 0x380
	s_mulk_i32 s1, 0x70
	s_add_i32 s8, s8, s1
	v_add_u32_e32 v4, s8, v0
	v_mov_b32_e32 v2, s16
	v_mov_b32_e32 v3, s17
	v_ashrrev_i32_e32 v5, 31, v4
	v_lshl_add_u64 v[2:3], v[4:5], 2, v[2:3]
	global_load_dword v1, v[2:3], off
	v_cvt_f32_u32_e32 v4, s22
	s_lshl_b32 s1, s2, 4
	s_add_i32 s8, s15, s1
	s_ashr_i32 s9, s8, 31
	s_lshl_b64 s[8:9], s[8:9], 3
	v_rcp_iflag_f32_e32 v4, v4
	s_add_u32 s8, s18, s8
	s_addc_u32 s9, s19, s9
	s_load_dwordx2 s[8:9], s[8:9], 0x0
	v_mul_f32_e32 v4, 0x4f7ffffe, v4
	v_cvt_u32_f32_e32 v7, v4
	s_mul_i32 s1, s15, 0x70
	s_add_i32 s21, s2, -1
	v_add_u32_e32 v6, s1, v0
	s_waitcnt lgkmcnt(0)
	v_mov_b32_e32 v0, s9
	v_mov_b32_e32 v9, s8
	s_mov_b32 s10, 0x3fb8aa3b
	s_mov_b32 s20, 0xc2ce8ed0
	;; [unrolled: 1-line block ×4, first 2 shown]
	v_mov_b32_e32 v8, 0x7f800000
	s_mul_hi_i32 s1, s21, s11
	s_cmp_lg_u64 s[0:1], 0
	s_mul_i32 s16, s21, s11
	s_cbranch_scc0 .LBB42_19
.LBB42_9:
	s_add_u32 s2, s22, 0
	s_addc_u32 s3, 0, 0
	s_xor_b64 s[2:3], s[2:3], 0
	v_cvt_f32_u32_e32 v4, s2
	v_cvt_f32_u32_e32 v5, s3
	s_sub_u32 s17, 0, s2
	s_subb_u32 s25, 0, s3
	v_fmac_f32_e32 v4, 0x4f800000, v5
	v_rcp_f32_e32 v4, v4
	s_nop 0
	v_mul_f32_e32 v4, 0x5f7ffffc, v4
	v_mul_f32_e32 v5, 0x2f800000, v4
	v_trunc_f32_e32 v5, v5
	v_fmac_f32_e32 v4, 0xcf800000, v5
	v_cvt_u32_f32_e32 v5, v5
	v_cvt_u32_f32_e32 v4, v4
	v_readfirstlane_b32 s26, v5
	v_readfirstlane_b32 s8, v4
	s_mul_i32 s9, s17, s26
	s_mul_hi_u32 s28, s17, s8
	s_mul_i32 s27, s25, s8
	s_add_i32 s9, s28, s9
	s_mul_i32 s29, s17, s8
	s_add_i32 s9, s9, s27
	s_mul_i32 s28, s8, s9
	s_mul_hi_u32 s30, s8, s29
	s_mul_hi_u32 s27, s8, s9
	s_add_u32 s28, s30, s28
	s_addc_u32 s27, 0, s27
	s_mul_hi_u32 s31, s26, s29
	s_mul_i32 s29, s26, s29
	s_add_u32 s28, s28, s29
	s_mul_hi_u32 s30, s26, s9
	s_addc_u32 s27, s27, s31
	s_addc_u32 s28, s30, 0
	s_mul_i32 s9, s26, s9
	s_add_u32 s9, s27, s9
	s_addc_u32 s27, 0, s28
	s_add_u32 s28, s8, s9
	s_cselect_b64 s[8:9], -1, 0
	s_cmp_lg_u64 s[8:9], 0
	s_addc_u32 s26, s26, s27
	s_mul_i32 s8, s17, s26
	s_mul_hi_u32 s9, s17, s28
	s_add_i32 s8, s9, s8
	s_mul_i32 s25, s25, s28
	s_add_i32 s8, s8, s25
	s_mul_i32 s17, s17, s28
	s_mul_hi_u32 s25, s26, s17
	s_mul_i32 s27, s26, s17
	s_mul_i32 s30, s28, s8
	s_mul_hi_u32 s17, s28, s17
	s_mul_hi_u32 s29, s28, s8
	s_add_u32 s17, s17, s30
	s_addc_u32 s29, 0, s29
	s_add_u32 s17, s17, s27
	s_mul_hi_u32 s9, s26, s8
	s_addc_u32 s17, s29, s25
	s_addc_u32 s9, s9, 0
	s_mul_i32 s8, s26, s8
	s_add_u32 s8, s17, s8
	s_addc_u32 s17, 0, s9
	s_add_u32 s25, s28, s8
	s_cselect_b64 s[8:9], -1, 0
	s_cmp_lg_u64 s[8:9], 0
	s_addc_u32 s17, s26, s17
	s_ashr_i32 s8, s1, 31
	s_add_u32 s26, s16, s8
	s_mov_b32 s9, s8
	s_addc_u32 s27, s1, s8
	s_xor_b64 s[26:27], s[26:27], s[8:9]
	s_mul_i32 s28, s26, s17
	s_mul_hi_u32 s29, s26, s25
	s_mul_hi_u32 s1, s26, s17
	s_add_u32 s28, s29, s28
	s_addc_u32 s1, 0, s1
	s_mul_hi_u32 s30, s27, s25
	s_mul_i32 s25, s27, s25
	s_add_u32 s25, s28, s25
	s_mul_hi_u32 s29, s27, s17
	s_addc_u32 s1, s1, s30
	s_addc_u32 s25, s29, 0
	s_mul_i32 s17, s27, s17
	s_add_u32 s1, s1, s17
	s_addc_u32 s17, 0, s25
	s_mul_i32 s25, s2, s17
	s_mul_hi_u32 s28, s2, s1
	s_add_i32 s25, s28, s25
	s_mul_i32 s28, s3, s1
	s_add_i32 s25, s25, s28
	s_sub_i32 s30, s27, s25
	s_mul_i32 s28, s2, s1
	s_sub_u32 s26, s26, s28
	s_cselect_b64 s[28:29], -1, 0
	s_cmp_lg_u64 s[28:29], 0
	s_subb_u32 s33, s30, s3
	s_sub_u32 s34, s26, s2
	s_cselect_b64 s[30:31], -1, 0
	s_cmp_lg_u64 s[30:31], 0
	s_subb_u32 s30, s33, 0
	s_cmp_ge_u32 s30, s3
	s_cselect_b32 s31, -1, 0
	s_cmp_ge_u32 s34, s2
	s_cselect_b32 s33, -1, 0
	s_cmp_eq_u32 s30, s3
	s_cselect_b32 s30, s33, s31
	s_add_u32 s31, s1, 1
	s_addc_u32 s33, s17, 0
	s_add_u32 s34, s1, 2
	s_addc_u32 s35, s17, 0
	s_cmp_lg_u32 s30, 0
	s_cselect_b32 s30, s34, s31
	s_cselect_b32 s31, s35, s33
	s_cmp_lg_u64 s[28:29], 0
	s_subb_u32 s25, s27, s25
	s_cmp_ge_u32 s25, s3
	s_cselect_b32 s27, -1, 0
	s_cmp_ge_u32 s26, s2
	s_cselect_b32 s2, -1, 0
	s_cmp_eq_u32 s25, s3
	s_cselect_b32 s2, s2, s27
	s_cmp_lg_u32 s2, 0
	s_cselect_b32 s3, s31, s17
	s_cselect_b32 s2, s30, s1
	s_xor_b64 s[8:9], s[8:9], 0
	s_xor_b64 s[2:3], s[2:3], s[8:9]
	s_sub_u32 s8, s2, s8
	s_cbranch_execnz .LBB42_11
.LBB42_10:
	s_sub_i32 s1, 0, s22
	v_readfirstlane_b32 s2, v7
	s_mul_i32 s1, s1, s2
	s_mul_hi_u32 s1, s2, s1
	s_add_i32 s2, s2, s1
	s_mul_hi_u32 s1, s16, s2
	s_mul_i32 s3, s1, s22
	s_sub_i32 s3, s16, s3
	s_add_i32 s2, s1, 1
	s_sub_i32 s8, s3, s22
	s_cmp_ge_u32 s3, s22
	s_cselect_b32 s1, s2, s1
	s_cselect_b32 s3, s8, s3
	s_add_i32 s2, s1, 1
	s_cmp_ge_u32 s3, s22
	s_cselect_b32 s8, s2, s1
.LBB42_11:
	s_cmp_lg_u32 s6, s8
	s_cbranch_scc0 .LBB42_15
; %bb.12:
	s_add_i32 s1, s21, s22
	s_lshl_b32 s1, s1, 4
	s_add_i32 s2, s1, s15
	s_mov_b32 s3, s0
	s_lshl_b64 s[2:3], s[2:3], 3
	s_add_u32 s16, s18, s2
	s_mul_hi_u32 s1, s8, s12
	s_addc_u32 s17, s19, s3
	s_add_i32 s1, s1, s8
	s_lshr_b32 s1, s1, s13
	s_mul_i32 s2, s1, s14
	s_cmp_eq_u32 s2, s8
	s_cselect_b64 s[2:3], -1, 0
	s_cmp_lt_u32 s1, s7
	s_cselect_b64 s[26:27], -1, 0
	s_or_b64 s[26:27], s[26:27], s[2:3]
	s_mov_b64 s[2:3], -1
	s_and_b64 vcc, exec, s[26:27]
	s_mov_b32 s1, s21
	s_mov_b32 s25, s6
	s_cbranch_vccnz .LBB42_14
; %bb.13:
	s_add_i32 s1, s21, -1
	s_mov_b64 s[2:3], 0
	s_mov_b32 s25, s8
.LBB42_14:
	s_mul_i32 s8, s21, 0x700
	v_add_u32_e32 v4, s8, v6
	v_ashrrev_i32_e32 v5, 31, v4
	v_lshl_add_u64 v[4:5], v[4:5], 2, s[4:5]
	global_load_dword v5, v[4:5], off
	s_load_dwordx2 s[8:9], s[16:17], 0x0
	v_max_f32_e32 v4, v9, v9
	s_waitcnt lgkmcnt(0)
	v_max_f32_e64 v10, s8, s8
	v_max_f32_e32 v10, v4, v10
	v_sub_f32_e32 v11, v9, v10
	v_sub_f32_e32 v13, s8, v10
	v_mul_f32_e32 v4, 0x3fb8aa3b, v11
	v_mul_f32_e32 v12, 0x3fb8aa3b, v13
	v_fma_f32 v14, v11, s10, -v4
	v_rndne_f32_e32 v15, v4
	v_fma_f32 v16, v13, s10, -v12
	v_rndne_f32_e32 v17, v12
	v_fmac_f32_e32 v14, 0x32a5705f, v11
	v_sub_f32_e32 v4, v4, v15
	v_fmac_f32_e32 v16, 0x32a5705f, v13
	v_sub_f32_e32 v12, v12, v17
	v_add_f32_e32 v4, v4, v14
	v_cvt_i32_f32_e32 v15, v15
	v_add_f32_e32 v12, v12, v16
	v_exp_f32_e32 v14, v4
	v_cvt_i32_f32_e32 v17, v17
	v_exp_f32_e32 v12, v12
	v_cmp_ngt_f32_e32 vcc, s20, v11
	v_ldexp_f32 v14, v14, v15
	v_mov_b32_e32 v4, s9
	v_ldexp_f32 v12, v12, v17
	v_cndmask_b32_e32 v14, 0, v14, vcc
	v_cmp_ngt_f32_e32 vcc, s20, v13
	s_nop 1
	v_cndmask_b32_e32 v12, 0, v12, vcc
	v_cmp_nlt_f32_e32 vcc, s23, v11
	s_nop 1
	v_cndmask_b32_e32 v14, v8, v14, vcc
	v_cmp_nlt_f32_e32 vcc, s23, v13
	s_nop 1
	v_cndmask_b32_e32 v15, v8, v12, vcc
	v_cmp_le_f32_e32 vcc, s24, v11
	s_nop 1
	v_cndmask_b32_e32 v12, 0, v14, vcc
	v_cmp_le_f32_e32 vcc, s24, v13
	s_nop 1
	v_cndmask_b32_e32 v14, 0, v15, vcc
	s_waitcnt vmcnt(0)
	v_pk_mul_f32 v[4:5], v[4:5], v[14:15] op_sel_hi:[1,0]
	s_nop 0
	v_pk_fma_f32 v[4:5], v[0:1], v[12:13], v[4:5] op_sel_hi:[1,0,1]
	s_cbranch_execz .LBB42_16
	s_branch .LBB42_17
.LBB42_15:
                                        ; implicit-def: $vgpr4_vgpr5
                                        ; implicit-def: $sgpr2_sgpr3
                                        ; implicit-def: $vgpr10
                                        ; implicit-def: $sgpr1
                                        ; implicit-def: $sgpr25
.LBB42_16:
	s_add_i32 s1, s21, -1
	s_mov_b64 s[2:3], 0
	s_mov_b32 s25, s6
	v_mov_b32_e32 v10, v9
	s_waitcnt vmcnt(0)
	v_mov_b64_e32 v[4:5], v[0:1]
.LBB42_17:
	s_andn2_b64 vcc, exec, s[2:3]
	s_cbranch_vccz .LBB42_22
; %bb.18:
	s_mov_b32 s6, s25
	s_mov_b32 s21, s1
	v_mov_b32_e32 v9, v10
	s_waitcnt vmcnt(0)
	v_mov_b64_e32 v[0:1], v[4:5]
	s_mul_hi_i32 s1, s21, s11
	s_cmp_lg_u64 s[0:1], 0
	s_mul_i32 s16, s21, s11
	s_cbranch_scc1 .LBB42_9
.LBB42_19:
                                        ; implicit-def: $sgpr8_sgpr9
	s_branch .LBB42_10
.LBB42_20:
                                        ; implicit-def: $sgpr6_sgpr7
	s_load_dwordx4 s[12:15], s[0:1], 0x44
	s_branch .LBB42_2
.LBB42_21:
                                        ; implicit-def: $sgpr18_sgpr19
	s_branch .LBB42_5
.LBB42_22:
	v_div_scale_f32 v0, s[0:1], v4, v4, v5
	s_waitcnt vmcnt(0)
	v_rcp_f32_e32 v1, v0
	v_div_scale_f32 v6, vcc, v5, v4, v5
	v_fma_f32 v7, -v0, v1, 1.0
	v_fmac_f32_e32 v1, v7, v1
	v_mul_f32_e32 v7, v6, v1
	v_fma_f32 v8, -v0, v7, v6
	v_fmac_f32_e32 v7, v8, v1
	v_fma_f32 v0, -v0, v7, v6
	v_div_fmas_f32 v0, v0, v1, v7
	v_div_fixup_f32 v0, v0, v4, v5
	global_store_dword v[2:3], v0, off
.LBB42_23:
	s_endpgm
	.section	.rodata,"a",@progbits
	.p2align	6, 0x0
	.amdhsa_kernel _ZL33flash_attn_stream_k_fixup_generalILi112ELi8ELi2EEvPfPK15HIP_vector_typeIfLj2EEiiiiS1_IjLj3EES5_S5_S5_
		.amdhsa_group_segment_fixed_size 0
		.amdhsa_private_segment_fixed_size 0
		.amdhsa_kernarg_size 336
		.amdhsa_user_sgpr_count 2
		.amdhsa_user_sgpr_dispatch_ptr 0
		.amdhsa_user_sgpr_queue_ptr 0
		.amdhsa_user_sgpr_kernarg_segment_ptr 1
		.amdhsa_user_sgpr_dispatch_id 0
		.amdhsa_user_sgpr_kernarg_preload_length 0
		.amdhsa_user_sgpr_kernarg_preload_offset 0
		.amdhsa_user_sgpr_private_segment_size 0
		.amdhsa_uses_dynamic_stack 0
		.amdhsa_enable_private_segment 0
		.amdhsa_system_sgpr_workgroup_id_x 1
		.amdhsa_system_sgpr_workgroup_id_y 1
		.amdhsa_system_sgpr_workgroup_id_z 1
		.amdhsa_system_sgpr_workgroup_info 0
		.amdhsa_system_vgpr_workitem_id 0
		.amdhsa_next_free_vgpr 18
		.amdhsa_next_free_sgpr 36
		.amdhsa_accum_offset 20
		.amdhsa_reserve_vcc 1
		.amdhsa_float_round_mode_32 0
		.amdhsa_float_round_mode_16_64 0
		.amdhsa_float_denorm_mode_32 3
		.amdhsa_float_denorm_mode_16_64 3
		.amdhsa_dx10_clamp 1
		.amdhsa_ieee_mode 1
		.amdhsa_fp16_overflow 0
		.amdhsa_tg_split 0
		.amdhsa_exception_fp_ieee_invalid_op 0
		.amdhsa_exception_fp_denorm_src 0
		.amdhsa_exception_fp_ieee_div_zero 0
		.amdhsa_exception_fp_ieee_overflow 0
		.amdhsa_exception_fp_ieee_underflow 0
		.amdhsa_exception_fp_ieee_inexact 0
		.amdhsa_exception_int_div_zero 0
	.end_amdhsa_kernel
	.section	.text._ZL33flash_attn_stream_k_fixup_generalILi112ELi8ELi2EEvPfPK15HIP_vector_typeIfLj2EEiiiiS1_IjLj3EES5_S5_S5_,"axG",@progbits,_ZL33flash_attn_stream_k_fixup_generalILi112ELi8ELi2EEvPfPK15HIP_vector_typeIfLj2EEiiiiS1_IjLj3EES5_S5_S5_,comdat
.Lfunc_end42:
	.size	_ZL33flash_attn_stream_k_fixup_generalILi112ELi8ELi2EEvPfPK15HIP_vector_typeIfLj2EEiiiiS1_IjLj3EES5_S5_S5_, .Lfunc_end42-_ZL33flash_attn_stream_k_fixup_generalILi112ELi8ELi2EEvPfPK15HIP_vector_typeIfLj2EEiiiiS1_IjLj3EES5_S5_S5_
                                        ; -- End function
	.set _ZL33flash_attn_stream_k_fixup_generalILi112ELi8ELi2EEvPfPK15HIP_vector_typeIfLj2EEiiiiS1_IjLj3EES5_S5_S5_.num_vgpr, 18
	.set _ZL33flash_attn_stream_k_fixup_generalILi112ELi8ELi2EEvPfPK15HIP_vector_typeIfLj2EEiiiiS1_IjLj3EES5_S5_S5_.num_agpr, 0
	.set _ZL33flash_attn_stream_k_fixup_generalILi112ELi8ELi2EEvPfPK15HIP_vector_typeIfLj2EEiiiiS1_IjLj3EES5_S5_S5_.numbered_sgpr, 36
	.set _ZL33flash_attn_stream_k_fixup_generalILi112ELi8ELi2EEvPfPK15HIP_vector_typeIfLj2EEiiiiS1_IjLj3EES5_S5_S5_.num_named_barrier, 0
	.set _ZL33flash_attn_stream_k_fixup_generalILi112ELi8ELi2EEvPfPK15HIP_vector_typeIfLj2EEiiiiS1_IjLj3EES5_S5_S5_.private_seg_size, 0
	.set _ZL33flash_attn_stream_k_fixup_generalILi112ELi8ELi2EEvPfPK15HIP_vector_typeIfLj2EEiiiiS1_IjLj3EES5_S5_S5_.uses_vcc, 1
	.set _ZL33flash_attn_stream_k_fixup_generalILi112ELi8ELi2EEvPfPK15HIP_vector_typeIfLj2EEiiiiS1_IjLj3EES5_S5_S5_.uses_flat_scratch, 0
	.set _ZL33flash_attn_stream_k_fixup_generalILi112ELi8ELi2EEvPfPK15HIP_vector_typeIfLj2EEiiiiS1_IjLj3EES5_S5_S5_.has_dyn_sized_stack, 0
	.set _ZL33flash_attn_stream_k_fixup_generalILi112ELi8ELi2EEvPfPK15HIP_vector_typeIfLj2EEiiiiS1_IjLj3EES5_S5_S5_.has_recursion, 0
	.set _ZL33flash_attn_stream_k_fixup_generalILi112ELi8ELi2EEvPfPK15HIP_vector_typeIfLj2EEiiiiS1_IjLj3EES5_S5_S5_.has_indirect_call, 0
	.section	.AMDGPU.csdata,"",@progbits
; Kernel info:
; codeLenInByte = 2944
; TotalNumSgprs: 42
; NumVgprs: 18
; NumAgprs: 0
; TotalNumVgprs: 18
; ScratchSize: 0
; MemoryBound: 0
; FloatMode: 240
; IeeeMode: 1
; LDSByteSize: 0 bytes/workgroup (compile time only)
; SGPRBlocks: 5
; VGPRBlocks: 2
; NumSGPRsForWavesPerEU: 42
; NumVGPRsForWavesPerEU: 18
; AccumOffset: 20
; Occupancy: 8
; WaveLimiterHint : 0
; COMPUTE_PGM_RSRC2:SCRATCH_EN: 0
; COMPUTE_PGM_RSRC2:USER_SGPR: 2
; COMPUTE_PGM_RSRC2:TRAP_HANDLER: 0
; COMPUTE_PGM_RSRC2:TGID_X_EN: 1
; COMPUTE_PGM_RSRC2:TGID_Y_EN: 1
; COMPUTE_PGM_RSRC2:TGID_Z_EN: 1
; COMPUTE_PGM_RSRC2:TIDIG_COMP_CNT: 0
; COMPUTE_PGM_RSRC3_GFX90A:ACCUM_OFFSET: 4
; COMPUTE_PGM_RSRC3_GFX90A:TG_SPLIT: 0
	.section	.text._ZL15flash_attn_tileILi112ELi112ELi4ELi2ELb0EEvPKcS1_S1_S1_S1_PKiPfP15HIP_vector_typeIfLj2EEffffjfiS5_IjLj3EEiiiiiiiiiiiliiliiiiil,"axG",@progbits,_ZL15flash_attn_tileILi112ELi112ELi4ELi2ELb0EEvPKcS1_S1_S1_S1_PKiPfP15HIP_vector_typeIfLj2EEffffjfiS5_IjLj3EEiiiiiiiiiiiliiliiiiil,comdat
	.globl	_ZL15flash_attn_tileILi112ELi112ELi4ELi2ELb0EEvPKcS1_S1_S1_S1_PKiPfP15HIP_vector_typeIfLj2EEffffjfiS5_IjLj3EEiiiiiiiiiiiliiliiiiil ; -- Begin function _ZL15flash_attn_tileILi112ELi112ELi4ELi2ELb0EEvPKcS1_S1_S1_S1_PKiPfP15HIP_vector_typeIfLj2EEffffjfiS5_IjLj3EEiiiiiiiiiiiliiliiiiil
	.p2align	8
	.type	_ZL15flash_attn_tileILi112ELi112ELi4ELi2ELb0EEvPKcS1_S1_S1_S1_PKiPfP15HIP_vector_typeIfLj2EEffffjfiS5_IjLj3EEiiiiiiiiiiiliiliiiiil,@function
_ZL15flash_attn_tileILi112ELi112ELi4ELi2ELb0EEvPKcS1_S1_S1_S1_PKiPfP15HIP_vector_typeIfLj2EEffffjfiS5_IjLj3EEiiiiiiiiiiiliiliiiiil: ; @_ZL15flash_attn_tileILi112ELi112ELi4ELi2ELb0EEvPKcS1_S1_S1_S1_PKiPfP15HIP_vector_typeIfLj2EEffffjfiS5_IjLj3EEiiiiiiiiiiiliiliiiiil
; %bb.0:
	s_load_dwordx4 s[28:31], s[0:1], 0x5c
	s_load_dwordx2 s[34:35], s[0:1], 0x80
	s_load_dwordx16 s[12:27], s[0:1], 0x0
	s_mov_b64 s[36:37], 0
	s_waitcnt lgkmcnt(0)
	s_lshr_b32 s5, s31, 31
	s_add_i32 s5, s31, s5
	s_ashr_i32 s5, s5, 1
	v_cvt_f32_u32_e32 v1, s5
	s_sub_i32 s6, 0, s5
	v_rcp_iflag_f32_e32 v1, v1
	s_nop 0
	v_mul_f32_e32 v1, 0x4f7ffffe, v1
	v_cvt_u32_f32_e32 v1, v1
	s_nop 0
	v_readfirstlane_b32 s7, v1
	s_mul_i32 s6, s6, s7
	s_mul_hi_u32 s6, s7, s6
	s_add_i32 s7, s7, s6
	s_mul_hi_u32 s6, s4, s7
	s_mul_i32 s7, s6, s5
	s_sub_i32 s7, s4, s7
	s_add_i32 s8, s6, 1
	s_sub_i32 s9, s7, s5
	s_cmp_ge_u32 s7, s5
	s_cselect_b32 s6, s8, s6
	s_cselect_b32 s7, s9, s7
	s_add_i32 s8, s6, 1
	s_cmp_ge_u32 s7, s5
	s_cselect_b32 s33, s8, s6
	s_abs_i32 s5, s35
	v_cvt_f32_u32_e32 v1, s5
	s_sub_i32 s8, 0, s5
	s_abs_i32 s7, s31
	s_lshl_b32 s6, s4, 1
	v_rcp_iflag_f32_e32 v1, v1
	s_xor_b32 s4, s31, s35
	s_ashr_i32 s4, s4, 31
	v_mul_f32_e32 v1, 0x4f7ffffe, v1
	v_cvt_u32_f32_e32 v1, v1
	s_nop 0
	v_readfirstlane_b32 s9, v1
	s_mul_i32 s8, s8, s9
	s_mul_hi_u32 s8, s9, s8
	s_add_i32 s9, s9, s8
	s_mul_hi_u32 s8, s7, s9
	s_mul_i32 s9, s8, s5
	s_sub_i32 s7, s7, s9
	s_add_i32 s10, s8, 1
	s_sub_i32 s9, s7, s5
	s_cmp_ge_u32 s7, s5
	s_cselect_b32 s8, s10, s8
	s_cselect_b32 s7, s9, s7
	s_add_i32 s9, s8, 1
	s_cmp_ge_u32 s7, s5
	s_cselect_b32 s5, s9, s8
	s_xor_b32 s5, s5, s4
	s_sub_i32 s9, s5, s4
	s_abs_i32 s8, s9
	v_cvt_f32_u32_e32 v1, s8
	s_load_dwordx2 s[4:5], s[0:1], 0xb8
	s_mul_i32 s7, s33, s31
	s_cmp_eq_u64 s[18:19], 0
	v_rcp_iflag_f32_e32 v1, v1
	s_nop 0
	v_mul_f32_e32 v1, 0x4f7ffffe, v1
	v_cvt_u32_f32_e32 v1, v1
	s_nop 0
	v_readfirstlane_b32 s10, v1
	s_cbranch_scc1 .LBB43_2
; %bb.1:
	s_waitcnt lgkmcnt(0)
	s_abs_i32 s4, s4
	v_cvt_f32_u32_e32 v1, s4
	s_sub_i32 s38, 0, s4
	s_abs_i32 s35, s33
	s_ashr_i32 s11, s33, 31
	v_rcp_iflag_f32_e32 v1, v1
	s_load_dwordx2 s[36:37], s[0:1], 0xc8
	v_mul_f32_e32 v1, 0x4f7ffffe, v1
	v_cvt_u32_f32_e32 v1, v1
	s_nop 0
	v_readfirstlane_b32 s39, v1
	s_mul_i32 s38, s38, s39
	s_mul_hi_u32 s38, s39, s38
	s_add_i32 s39, s39, s38
	s_mul_hi_u32 s38, s35, s39
	s_mul_i32 s38, s38, s4
	s_sub_i32 s35, s35, s38
	s_sub_i32 s38, s35, s4
	s_cmp_ge_u32 s35, s4
	s_cselect_b32 s35, s38, s35
	s_sub_i32 s38, s35, s4
	s_cmp_ge_u32 s35, s4
	s_cselect_b32 s4, s38, s35
	s_xor_b32 s4, s4, s11
	s_sub_i32 s4, s4, s11
	s_ashr_i32 s11, s4, 31
	s_waitcnt lgkmcnt(0)
	s_mul_hi_u32 s35, s36, s4
	s_mul_i32 s11, s36, s11
	s_mul_i32 s37, s37, s4
	s_add_i32 s11, s35, s11
	s_add_i32 s11, s11, s37
	s_mul_i32 s4, s36, s4
	s_add_u32 s36, s18, s4
	s_addc_u32 s37, s19, s11
.LBB43_2:
	v_bfe_u32 v1, v0, 10, 10
	v_and_b32_e32 v40, 0x3ff, v0
	s_waitcnt lgkmcnt(0)
	s_movk_i32 s4, 0xe0
	v_mov_b32_e32 v0, 0x1040
	s_sub_i32 s35, s6, s7
	s_lshl_b32 s40, s2, 2
	v_cmp_gt_u32_e64 s[18:19], 28, v40
	v_mad_u32_u24 v63, v1, s4, v0
	v_lshlrev_b32_e32 v66, 3, v40
	v_and_b32_e32 v41, 1, v1
	v_lshrrev_b32_e32 v57, 1, v1
	s_and_saveexec_b64 s[6:7], s[18:19]
	s_cbranch_execz .LBB43_4
; %bb.3:
	s_load_dwordx4 s[44:47], s[0:1], 0x70
	v_add_u32_e32 v0, s40, v57
	v_mul_hi_u32 v4, s28, v0
	v_add_u32_e32 v4, v0, v4
	v_lshrrev_b32_e32 v4, s29, v4
	s_waitcnt lgkmcnt(0)
	s_mul_i32 s4, s33, s46
	s_ashr_i32 s39, s4, 31
	s_mul_i32 s11, s35, s45
	s_add_u32 s4, s12, s4
	s_addc_u32 s13, s13, s39
	s_ashr_i32 s39, s11, 31
	s_add_u32 s12, s4, s11
	s_mov_b32 s38, s45
	s_addc_u32 s13, s13, s39
	s_ashr_i32 s39, s45, 31
	s_lshr_b64 s[42:43], s[38:39], 2
	s_lshr_b32 s4, s39, 2
	v_mul_lo_u32 v3, s4, v41
	v_mul_lo_u32 v2, s42, v41
	s_ashr_i32 s45, s44, 31
	v_mul_lo_u32 v4, v4, s30
	v_lshl_add_u64 v[2:3], v[2:3], 2, s[12:13]
	s_lshr_b64 s[12:13], s[44:45], 2
	v_sub_u32_e32 v6, v0, v4
	v_mad_u64_u32 v[4:5], s[12:13], s12, v6, 0
	v_mov_b32_e32 v0, v5
	s_lshr_b32 s4, s45, 2
	v_mad_u64_u32 v[6:7], s[12:13], s4, v6, v[0:1]
	v_mov_b32_e32 v5, v6
	v_lshl_add_u64 v[2:3], v[4:5], 2, v[2:3]
	v_lshlrev_b32_e32 v4, 4, v40
	v_mov_b32_e32 v5, 0
	v_lshl_add_u64 v[2:3], v[2:3], 0, v[4:5]
	global_load_dwordx4 v[2:5], v[2:3], off
	s_load_dword s4, s[0:1], 0x40
	v_add_u32_e32 v0, v63, v66
	s_waitcnt vmcnt(0) lgkmcnt(0)
	v_fma_mixlo_f16 v6, s4, v2, 0
	v_mov_b32_e32 v2, v5
	v_pk_mul_f32 v[2:3], s[4:5], v[2:3] op_sel_hi:[0,1]
	v_cvt_pk_f16_f32 v2, v2, v3
	v_fma_mixlo_f16 v4, s4, v4, 0
	v_and_b32_e32 v5, 0xffff, v6
	v_lshlrev_b32_e32 v3, 16, v2
	v_and_b32_e32 v2, 0xffff0000, v2
	v_and_b32_e32 v4, 0xffff, v4
	v_or_b32_e32 v2, v2, v5
	v_or3_b32 v3, v3, v4, 0
	v_or3_b32 v2, 0, 0, v2
	ds_write_b64 v0, v[2:3]
.LBB43_4:
	s_or_b64 exec, exec, s[6:7]
	s_cmp_eq_u64 s[22:23], 0
	s_waitcnt lgkmcnt(0)
	s_barrier
	s_cbranch_scc1 .LBB43_6
; %bb.5:
	s_load_dword s4, s[0:1], 0xd0
	s_mov_b32 s7, 0
	s_waitcnt lgkmcnt(0)
	s_mul_i32 s4, s4, s33
	s_add_i32 s6, s4, s2
	s_lshl_b64 s[6:7], s[6:7], 2
	s_add_u32 s6, s22, s6
	s_addc_u32 s7, s23, s7
	s_load_dword s34, s[6:7], 0x0
.LBB43_6:
	s_lshl_b32 s2, s3, 5
	s_waitcnt lgkmcnt(0)
	s_cmp_lt_i32 s2, s34
	v_mbcnt_lo_u32_b32 v0, -1, 0
	s_cbranch_scc1 .LBB43_12
; %bb.7:
	v_mbcnt_hi_u32_b32 v51, -1, v0
	v_and_b32_e32 v2, 0x60, v51
	v_add_u32_e32 v80, 32, v2
	v_xor_b32_e32 v81, 16, v51
	v_xor_b32_e32 v82, 8, v51
	;; [unrolled: 1-line block ×5, first 2 shown]
	s_cbranch_execz .LBB43_13
; %bb.8:
	v_mov_b32_e32 v67, 0
	v_mov_b32_e32 v86, 0
	;; [unrolled: 1-line block ×4, first 2 shown]
.LBB43_9:
	v_cmp_lt_i32_e32 vcc, v81, v80
	s_cmp_lg_u64 s[20:21], 0
	s_cselect_b64 s[4:5], -1, 0
	v_cndmask_b32_e32 v0, v51, v81, vcc
	v_lshlrev_b32_e32 v0, 2, v0
	ds_bpermute_b32 v0, v0, v86
	v_cmp_lt_i32_e32 vcc, v82, v80
	s_cmp_eq_u32 s3, 0
	s_cselect_b64 s[6:7], -1, 0
	v_cndmask_b32_e32 v1, v51, v82, vcc
	v_lshlrev_b32_e32 v1, 2, v1
	s_waitcnt lgkmcnt(0)
	v_add_f32_e32 v0, v86, v0
	ds_bpermute_b32 v1, v1, v0
	v_cmp_lt_i32_e32 vcc, v83, v80
	s_and_b64 s[4:5], s[6:7], s[4:5]
	s_waitcnt lgkmcnt(0)
	v_add_f32_e32 v0, v0, v1
	v_cndmask_b32_e32 v2, v51, v83, vcc
	v_lshlrev_b32_e32 v2, 2, v2
	ds_bpermute_b32 v1, v2, v0
	v_cmp_lt_i32_e32 vcc, v84, v80
	s_waitcnt lgkmcnt(0)
	v_add_f32_e32 v0, v0, v1
	v_cndmask_b32_e32 v2, v51, v84, vcc
	v_lshlrev_b32_e32 v2, 2, v2
	ds_bpermute_b32 v1, v2, v0
	v_cmp_lt_i32_e32 vcc, v85, v80
	s_waitcnt lgkmcnt(0)
	v_add_f32_e32 v0, v0, v1
	v_cndmask_b32_e32 v2, v51, v85, vcc
	v_lshlrev_b32_e32 v2, 2, v2
	ds_bpermute_b32 v1, v2, v0
	s_and_b64 vcc, exec, s[4:5]
	s_waitcnt lgkmcnt(0)
	v_add_f32_e32 v63, v0, v1
	s_cbranch_vccz .LBB43_40
; %bb.10:
	v_add_u32_e32 v0, s35, v41
	v_ashrrev_i32_e32 v1, 31, v0
	v_lshl_add_u64 v[0:1], v[0:1], 2, s[20:21]
	global_load_dword v1, v[0:1], off
	v_max_f32_e32 v0, v62, v62
	s_mov_b32 s2, 0x3fb8aa3b
	s_mov_b32 s4, 0xc2ce8ed0
	s_waitcnt vmcnt(0)
	v_max_f32_e32 v2, v1, v1
	v_max_f32_e32 v0, v0, v2
	v_sub_f32_e32 v2, v62, v0
	v_sub_f32_e32 v1, v1, v0
	v_mul_f32_e32 v3, 0x3fb8aa3b, v2
	v_mul_f32_e32 v4, 0x3fb8aa3b, v1
	v_fma_f32 v5, v2, s2, -v3
	v_rndne_f32_e32 v6, v3
	v_fma_f32 v7, v1, s2, -v4
	v_rndne_f32_e32 v8, v4
	v_fmac_f32_e32 v5, 0x32a5705f, v2
	v_sub_f32_e32 v3, v3, v6
	v_fmac_f32_e32 v7, 0x32a5705f, v1
	v_sub_f32_e32 v4, v4, v8
	v_add_f32_e32 v3, v3, v5
	v_cvt_i32_f32_e32 v6, v6
	v_add_f32_e32 v4, v4, v7
	v_exp_f32_e32 v3, v3
	v_cvt_i32_f32_e32 v8, v8
	v_exp_f32_e32 v4, v4
	v_cmp_ngt_f32_e32 vcc, s4, v2
	v_ldexp_f32 v3, v3, v6
	s_mov_b32 s2, 0x42b17218
	v_ldexp_f32 v4, v4, v8
	v_cndmask_b32_e32 v3, 0, v3, vcc
	v_cmp_ngt_f32_e32 vcc, s4, v1
	v_mov_b32_e32 v5, 0x7f800000
	s_nop 0
	v_cndmask_b32_e32 v4, 0, v4, vcc
	v_cmp_nlt_f32_e32 vcc, s2, v2
	s_nop 1
	v_cndmask_b32_e32 v2, v5, v3, vcc
	v_cvt_f16_f32_e32 v3, v2
	v_cmp_nlt_f32_e32 vcc, s2, v1
	s_nop 1
	v_cndmask_b32_e32 v1, v5, v4, vcc
	v_fmac_f32_e32 v1, v63, v2
	v_mul_u32_u24_e32 v2, 0x10001, v3
	v_pk_mul_f16 v68, v68, v2
	v_pk_mul_f16 v67, v67, v2
	v_mov_b64_e32 v[62:63], v[0:1]
	v_add_u32_e32 v0, s40, v57
	v_cmp_gt_i32_e32 vcc, s30, v0
	s_and_saveexec_b64 s[4:5], vcc
	s_cbranch_execnz .LBB43_41
.LBB43_11:
	s_endpgm
.LBB43_12:
                                        ; implicit-def: $vgpr51
                                        ; implicit-def: $vgpr80
                                        ; implicit-def: $vgpr81
                                        ; implicit-def: $vgpr82
                                        ; implicit-def: $vgpr83
                                        ; implicit-def: $vgpr84
                                        ; implicit-def: $vgpr85
.LBB43_13:
	s_load_dwordx2 s[6:7], s[0:1], 0x8c
	s_load_dwordx4 s[44:47], s[0:1], 0x98
	s_sub_i32 s4, 0, s8
	s_ashr_i32 s22, s5, 1
	s_ashr_i32 s5, s33, 31
	s_mul_i32 s4, s4, s10
	s_waitcnt lgkmcnt(0)
	s_ashr_i32 s42, s6, 2
	s_mul_hi_u32 s6, s44, s33
	s_mul_i32 s23, s44, s5
	s_mul_hi_u32 s4, s10, s4
	s_add_i32 s6, s6, s23
	s_mul_i32 s23, s45, s33
	s_abs_i32 s12, s35
	s_add_i32 s10, s10, s4
	s_ashr_i32 s13, s35, 31
	s_ashr_i32 s9, s9, 31
	;; [unrolled: 1-line block ×3, first 2 shown]
	s_add_i32 s6, s6, s23
	s_mul_i32 s23, s44, s33
	s_mul_hi_u32 s4, s12, s10
	s_add_u32 s14, s14, s23
	s_addc_u32 s6, s15, s6
	s_xor_b32 s9, s13, s9
	s_mul_i32 s13, s4, s8
	s_sub_i32 s12, s12, s13
	s_add_i32 s13, s4, 1
	s_sub_i32 s15, s12, s8
	s_cmp_ge_u32 s12, s8
	s_cselect_b32 s4, s13, s4
	s_cselect_b32 s12, s15, s12
	s_add_i32 s13, s4, 1
	s_cmp_ge_u32 s12, s8
	s_cselect_b32 s4, s13, s4
	s_load_dwordx2 s[10:11], s[0:1], 0xa8
	s_xor_b32 s4, s4, s9
	s_sub_i32 s4, s4, s9
	s_mul_i32 s7, s4, s7
	s_ashr_i32 s8, s7, 31
	v_add_u32_e32 v9, s40, v57
	s_add_u32 s43, s14, s7
	v_mul_hi_u32 v10, s28, v9
	s_addc_u32 s44, s6, s8
	s_waitcnt lgkmcnt(0)
	s_mul_hi_u32 s6, s10, s33
	s_mul_i32 s5, s10, s5
	v_add_u32_e32 v10, v9, v10
	s_add_i32 s5, s6, s5
	s_mul_i32 s6, s11, s33
	v_lshrrev_b32_e32 v10, s29, v10
	s_add_i32 s5, s5, s6
	s_mul_i32 s6, s10, s33
	v_lshl_add_u32 v2, v1, 5, v40
	v_lshrrev_b32_e32 v3, 1, v40
	v_lshlrev_b32_e32 v6, 2, v40
	v_mul_lo_u32 v10, v10, s30
	s_add_u32 s6, s16, s6
	s_mul_i32 s4, s4, s47
	v_cmp_gt_u32_e32 vcc, 32, v2
	v_lshl_add_u32 v3, v1, 4, v3
	v_lshrrev_b32_e32 v4, 2, v40
	v_mul_lo_u32 v42, s42, v2
	v_and_b32_e32 v2, 4, v6
	v_sub_u32_e32 v9, v9, v10
	s_addc_u32 s5, s17, s5
	s_ashr_i32 s7, s4, 31
	v_lshl_add_u32 v5, v1, 3, v4
	v_lshlrev_b32_e32 v4, 7, v3
	v_lshlrev_b32_e32 v7, 2, v2
	v_mad_u64_u32 v[50:51], s[8:9], v9, s22, v[40:41]
	v_mov_b32_e32 v9, 0x1740
	s_add_u32 s45, s6, s4
	v_or3_b32 v71, v4, v7, 64
	v_and_b32_e32 v4, 12, v6
	v_lshl_add_u32 v73, v1, 6, v9
	v_lshrrev_b32_e32 v9, 3, v40
	s_addc_u32 s46, s5, s7
	v_cmp_gt_u32_e64 s[4:5], 32, v3
	v_mul_lo_u32 v44, s42, v3
	v_lshlrev_b32_e32 v8, 2, v4
	v_cmp_gt_u32_e64 s[8:9], 16, v3
	v_lshl_add_u32 v1, v1, 2, v9
	v_mul_u32_u24_e32 v9, 0xe0, v3
	v_mul_lo_u32 v52, s41, v3
	v_mul_u32_u24_e32 v3, 0xe0, v5
	s_movk_i32 s15, 0x80
	v_and_b32_e32 v56, 28, v6
	v_lshlrev_b32_e32 v69, 7, v40
	v_mov_b32_e32 v47, 0
	v_mul_lo_u32 v48, s42, v5
	s_movk_i32 s14, 0xe0
	v_or_b32_e32 v7, v9, v7
	v_add3_u32 v76, v3, v8, s15
	v_mul_lo_u32 v54, s41, v5
	v_lshlrev_b32_e32 v3, 2, v56
	v_mul_lo_u32 v58, s41, v1
	s_add_u32 s22, s0, 0xd0
	v_cmp_gt_u32_e64 s[6:7], 32, v5
	v_or_b32_e32 v70, 0x60, v69
	v_ashrrev_i32_e32 v43, 31, v42
	v_ashrrev_i32_e32 v45, 31, v44
	v_lshl_or_b32 v72, v5, 7, v8
	v_ashrrev_i32_e32 v49, 31, v48
	v_lshl_add_u32 v74, v40, 1, v73
	v_cmp_gt_u32_e64 s[10:11], 16, v5
	v_cmp_gt_u32_e64 s[12:13], 16, v1
	v_add_u32_e32 v75, 0xc0, v7
	v_ashrrev_i32_e32 v53, 31, v52
	v_ashrrev_i32_e32 v55, 31, v54
	v_mad_u32_u24 v77, v1, s14, v3
	v_ashrrev_i32_e32 v59, 31, v58
	s_addc_u32 s23, s1, 0
	v_mov_b32_e32 v6, 0xfeffffff
	s_mov_b32 s47, 0x3fb8aa3b
	s_mov_b32 s48, 0xc2ce8ed0
	;; [unrolled: 1-line block ×4, first 2 shown]
	v_lshlrev_b32_e32 v46, 2, v2
	v_lshlrev_b32_e32 v60, 2, v4
	v_mbcnt_hi_u32_b32 v51, -1, v0
	v_mov_b32_e32 v78, 0x7f800000
	v_mov_b32_e32 v68, v47
	;; [unrolled: 1-line block ×4, first 2 shown]
.LBB43_14:                              ; =>This Inner Loop Header: Depth=1
	s_mul_hi_i32 s15, s2, s42
	s_mul_i32 s14, s2, s42
	s_lshl_b64 s[14:15], s[14:15], 2
	s_add_u32 s14, s43, s14
	s_addc_u32 s15, s44, s15
	v_lshl_add_u64 v[4:5], v[42:43], 2, s[14:15]
	s_and_saveexec_b64 s[16:17], vcc
	s_cbranch_execnz .LBB43_32
; %bb.15:                               ;   in Loop: Header=BB43_14 Depth=1
	s_or_b64 exec, exec, s[16:17]
	v_lshl_add_u64 v[0:1], v[44:45], 2, s[14:15]
	s_and_saveexec_b64 s[16:17], s[4:5]
	s_cbranch_execnz .LBB43_33
.LBB43_16:                              ;   in Loop: Header=BB43_14 Depth=1
	s_or_b64 exec, exec, s[16:17]
	v_lshl_add_u64 v[2:3], v[48:49], 2, s[14:15]
	s_and_saveexec_b64 s[14:15], s[6:7]
	s_cbranch_execz .LBB43_18
.LBB43_17:                              ;   in Loop: Header=BB43_14 Depth=1
	v_mov_b32_e32 v61, v47
	v_lshl_add_u64 v[8:9], v[2:3], 0, v[60:61]
	global_load_dwordx4 v[8:11], v[8:9], off
	s_waitcnt vmcnt(0)
	ds_write_b128 v72, v[8:11]
.LBB43_18:                              ;   in Loop: Header=BB43_14 Depth=1
	s_or_b64 exec, exec, s[14:15]
	s_waitcnt lgkmcnt(0)
	s_barrier
	ds_read_b128 v[8:11], v69
	ds_read_b128 v[12:15], v63
	v_mov_b32_e32 v7, 0
	s_waitcnt lgkmcnt(0)
	;;#ASMSTART
	v_dot2_f32_f16 v7, v8, v12, v7
	;;#ASMEND
	s_nop 0
	;;#ASMSTART
	v_dot2_f32_f16 v7, v9, v13, v7
	;;#ASMEND
	s_nop 0
	;;#ASMSTART
	v_dot2_f32_f16 v7, v10, v14, v7
	;;#ASMEND
	s_nop 0
	;;#ASMSTART
	v_dot2_f32_f16 v7, v11, v15, v7
	;;#ASMEND
	ds_read_b128 v[8:11], v69 offset:16
	ds_read_b128 v[12:15], v63 offset:16
	s_waitcnt lgkmcnt(0)
	;;#ASMSTART
	v_dot2_f32_f16 v7, v8, v12, v7
	;;#ASMEND
	s_nop 0
	;;#ASMSTART
	v_dot2_f32_f16 v7, v9, v13, v7
	;;#ASMEND
	s_nop 0
	;;#ASMSTART
	v_dot2_f32_f16 v7, v10, v14, v7
	;;#ASMEND
	s_nop 0
	;;#ASMSTART
	v_dot2_f32_f16 v7, v11, v15, v7
	;;#ASMEND
	ds_read_b128 v[8:11], v69 offset:32
	ds_read_b128 v[12:15], v63 offset:32
	;; [unrolled: 18-line block ×6, first 2 shown]
	s_waitcnt lgkmcnt(0)
	;;#ASMSTART
	v_dot2_f32_f16 v7, v8, v12, v7
	;;#ASMEND
	s_nop 0
	;;#ASMSTART
	v_dot2_f32_f16 v7, v9, v13, v7
	;;#ASMEND
	s_nop 0
	;; [unrolled: 4-line block ×3, first 2 shown]
	;;#ASMSTART
	v_dot2_f32_f16 v7, v11, v15, v7
	;;#ASMEND
	s_barrier
	s_and_saveexec_b64 s[14:15], vcc
	s_cbranch_execnz .LBB43_34
; %bb.19:                               ;   in Loop: Header=BB43_14 Depth=1
	s_or_b64 exec, exec, s[14:15]
	s_and_saveexec_b64 s[14:15], s[4:5]
	s_cbranch_execnz .LBB43_35
.LBB43_20:                              ;   in Loop: Header=BB43_14 Depth=1
	s_or_b64 exec, exec, s[14:15]
	s_and_saveexec_b64 s[14:15], s[6:7]
	s_cbranch_execz .LBB43_22
.LBB43_21:                              ;   in Loop: Header=BB43_14 Depth=1
	v_mov_b32_e32 v61, v47
	v_lshl_add_u64 v[0:1], v[2:3], 0, v[60:61]
	global_load_dwordx4 v[0:3], v[0:1], off offset:112
	s_waitcnt vmcnt(0)
	ds_write_b128 v72, v[0:3]
.LBB43_22:                              ;   in Loop: Header=BB43_14 Depth=1
	s_or_b64 exec, exec, s[14:15]
	s_waitcnt lgkmcnt(0)
	s_barrier
	ds_read_b128 v[0:3], v69
	ds_read_b128 v[8:11], v63 offset:112
	v_add_u32_e32 v4, s2, v50
	s_waitcnt lgkmcnt(0)
	;;#ASMSTART
	v_dot2_f32_f16 v7, v0, v8, v7
	;;#ASMEND
	s_nop 0
	;;#ASMSTART
	v_dot2_f32_f16 v7, v1, v9, v7
	;;#ASMEND
	v_ashrrev_i32_e32 v5, 31, v4
	;;#ASMSTART
	v_dot2_f32_f16 v7, v2, v10, v7
	;;#ASMEND
	v_lshl_add_u64 v[4:5], v[4:5], 1, s[36:37]
	;;#ASMSTART
	v_dot2_f32_f16 v7, v3, v11, v7
	;;#ASMEND
	ds_read_b128 v[0:3], v69 offset:16
	ds_read_b128 v[8:11], v63 offset:128
	s_waitcnt lgkmcnt(0)
	;;#ASMSTART
	v_dot2_f32_f16 v7, v0, v8, v7
	;;#ASMEND
	s_nop 0
	;;#ASMSTART
	v_dot2_f32_f16 v7, v1, v9, v7
	;;#ASMEND
	v_xor_b32_e32 v81, 16, v51
	;;#ASMSTART
	v_dot2_f32_f16 v7, v2, v10, v7
	;;#ASMEND
	v_xor_b32_e32 v82, 8, v51
	;;#ASMSTART
	v_dot2_f32_f16 v7, v3, v11, v7
	;;#ASMEND
	ds_read_b128 v[0:3], v69 offset:32
	ds_read_b128 v[8:11], v63 offset:144
	s_waitcnt lgkmcnt(0)
	;;#ASMSTART
	v_dot2_f32_f16 v7, v0, v8, v7
	;;#ASMEND
	s_nop 0
	;;#ASMSTART
	v_dot2_f32_f16 v7, v1, v9, v7
	;;#ASMEND
	v_xor_b32_e32 v83, 4, v51
	;;#ASMSTART
	v_dot2_f32_f16 v7, v2, v10, v7
	;;#ASMEND
	v_xor_b32_e32 v84, 2, v51
	;;#ASMSTART
	v_dot2_f32_f16 v7, v3, v11, v7
	;;#ASMEND
	ds_read_b128 v[0:3], v69 offset:48
	ds_read_b128 v[8:11], v63 offset:160
	s_waitcnt lgkmcnt(0)
	;;#ASMSTART
	v_dot2_f32_f16 v7, v0, v8, v7
	;;#ASMEND
	s_nop 0
	;;#ASMSTART
	v_dot2_f32_f16 v7, v1, v9, v7
	;;#ASMEND
	v_xor_b32_e32 v85, 1, v51
	;;#ASMSTART
	v_dot2_f32_f16 v7, v2, v10, v7
	;;#ASMEND
	s_nop 0
	;;#ASMSTART
	v_dot2_f32_f16 v7, v3, v11, v7
	;;#ASMEND
	ds_read_b128 v[0:3], v69 offset:64
	ds_read_b128 v[8:11], v63 offset:176
	s_waitcnt lgkmcnt(0)
	;;#ASMSTART
	v_dot2_f32_f16 v7, v0, v8, v7
	;;#ASMEND
	s_nop 0
	;;#ASMSTART
	v_dot2_f32_f16 v7, v1, v9, v7
	;;#ASMEND
	s_nop 0
	;; [unrolled: 4-line block ×3, first 2 shown]
	;;#ASMSTART
	v_dot2_f32_f16 v7, v3, v11, v7
	;;#ASMEND
	ds_read_b128 v[0:3], v69 offset:80
	ds_read_b128 v[8:11], v63 offset:192
	s_waitcnt lgkmcnt(0)
	;;#ASMSTART
	v_dot2_f32_f16 v7, v0, v8, v7
	;;#ASMEND
	s_nop 0
	;;#ASMSTART
	v_dot2_f32_f16 v7, v1, v9, v7
	;;#ASMEND
	s_nop 0
	;; [unrolled: 4-line block ×3, first 2 shown]
	;;#ASMSTART
	v_dot2_f32_f16 v7, v3, v11, v7
	;;#ASMEND
	ds_read_b128 v[0:3], v69 offset:96
	ds_read_b128 v[8:11], v63 offset:208
	s_waitcnt lgkmcnt(0)
	;;#ASMSTART
	v_dot2_f32_f16 v7, v0, v8, v7
	;;#ASMEND
	s_nop 0
	;;#ASMSTART
	v_dot2_f32_f16 v7, v1, v9, v7
	;;#ASMEND
	v_and_b32_e32 v1, 0x60, v51
	;;#ASMSTART
	v_dot2_f32_f16 v7, v2, v10, v7
	;;#ASMEND
	v_add_u32_e32 v80, 32, v1
	;;#ASMSTART
	v_dot2_f32_f16 v7, v3, v11, v7
	;;#ASMEND
	global_load_ushort v0, v[4:5], off
	v_cmp_lt_i32_e64 s[14:15], v81, v80
	v_max_f32_e32 v2, v6, v6
	s_nop 0
	v_cndmask_b32_e64 v1, v51, v81, s[14:15]
	v_lshlrev_b32_e32 v1, 2, v1
	v_cmp_lt_i32_e64 s[14:15], v82, v80
	s_barrier
	s_waitcnt vmcnt(0)
	v_cvt_f32_f16_e32 v0, v0
	v_add_f32_e32 v0, v7, v0
	v_add_f32_e32 v3, 0x40051340, v0
	v_max_f32_e32 v2, v2, v3
	ds_bpermute_b32 v1, v1, v2
	v_cndmask_b32_e64 v3, v51, v82, s[14:15]
	v_lshlrev_b32_e32 v3, 2, v3
	v_cmp_lt_i32_e64 s[14:15], v83, v80
	s_waitcnt lgkmcnt(0)
	v_max_f32_e32 v1, v1, v1
	v_max_f32_e32 v1, v2, v1
	ds_bpermute_b32 v2, v3, v1
	v_cndmask_b32_e64 v3, v51, v83, s[14:15]
	v_lshlrev_b32_e32 v3, 2, v3
	v_cmp_lt_i32_e64 s[14:15], v84, v80
	s_waitcnt lgkmcnt(0)
	v_max_f32_e32 v2, v2, v2
	;; [unrolled: 7-line block ×3, first 2 shown]
	v_max_f32_e32 v1, v1, v2
	ds_bpermute_b32 v2, v3, v1
	v_cndmask_b32_e64 v3, v51, v85, s[14:15]
	v_lshlrev_b32_e32 v3, 2, v3
	s_mul_hi_i32 s15, s2, s41
	s_mul_i32 s14, s2, s41
	s_waitcnt lgkmcnt(0)
	v_max_f32_e32 v2, v2, v2
	v_max_f32_e32 v1, v1, v2
	ds_bpermute_b32 v2, v3, v1
	s_lshl_b64 s[16:17], s[14:15], 2
	s_add_u32 s16, s45, s16
	s_addc_u32 s17, s46, s17
	s_waitcnt lgkmcnt(0)
	v_max_f32_e32 v2, v2, v2
	v_max_f32_e32 v62, v1, v2
	v_sub_f32_e32 v0, v0, v62
	v_mul_f32_e32 v1, 0x3fb8aa3b, v0
	v_fma_f32 v2, v0, s47, -v1
	v_rndne_f32_e32 v3, v1
	v_fmac_f32_e32 v2, 0x32a5705f, v0
	v_sub_f32_e32 v1, v1, v3
	v_add_f32_e32 v1, v1, v2
	v_cvt_i32_f32_e32 v3, v3
	v_exp_f32_e32 v1, v1
	v_cmp_ngt_f32_e64 s[14:15], s48, v0
	v_ldexp_f32 v1, v1, v3
	s_nop 0
	v_cndmask_b32_e64 v1, 0, v1, s[14:15]
	v_cmp_nlt_f32_e64 s[14:15], s49, v0
	s_nop 1
	v_cndmask_b32_e64 v86, v78, v1, s[14:15]
	v_cvt_f16_f32_e32 v0, v86
	ds_write_b16 v74, v0
	s_and_saveexec_b64 s[14:15], s[8:9]
	s_cbranch_execnz .LBB43_36
; %bb.23:                               ;   in Loop: Header=BB43_14 Depth=1
	s_or_b64 exec, exec, s[14:15]
	s_and_saveexec_b64 s[14:15], s[10:11]
	s_cbranch_execnz .LBB43_37
.LBB43_24:                              ;   in Loop: Header=BB43_14 Depth=1
	s_or_b64 exec, exec, s[14:15]
	v_lshlrev_b32_e32 v64, 2, v56
	s_and_saveexec_b64 s[14:15], s[12:13]
	s_cbranch_execz .LBB43_26
.LBB43_25:                              ;   in Loop: Header=BB43_14 Depth=1
	v_lshl_add_u64 v[0:1], v[58:59], 2, s[16:17]
	v_mov_b32_e32 v65, v47
	v_lshl_add_u64 v[0:1], v[0:1], 0, v[64:65]
	global_load_dwordx4 v[0:3], v[0:1], off
	s_waitcnt vmcnt(0)
	ds_write_b128 v77, v[0:3]
.LBB43_26:                              ;   in Loop: Header=BB43_14 Depth=1
	s_or_b64 exec, exec, s[14:15]
	s_waitcnt lgkmcnt(0)
	s_barrier
	ds_read2_b64 v[20:23], v66 offset1:28
	ds_read_b128 v[36:39], v73
	ds_read_b128 v[32:35], v73 offset:16
	ds_read2_b64 v[28:31], v66 offset0:56 offset1:84
	ds_read2_b64 v[24:27], v66 offset0:112 offset1:140
	ds_read2_b64 v[16:19], v66 offset0:168 offset1:196
	ds_read2_b64 v[8:11], v66 offset0:224 offset1:252
	v_add_u32_e32 v87, 0x800, v66
	v_sub_f32_e32 v88, v6, v62
	ds_read2_b64 v[12:15], v87 offset0:24 offset1:52
	ds_read2_b64 v[4:7], v87 offset0:80 offset1:108
	;; [unrolled: 1-line block ×3, first 2 shown]
	s_or_b32 s28, s2, 16
	s_mul_hi_i32 s29, s28, s41
	s_mul_i32 s28, s28, s41
	s_lshl_b64 s[28:29], s[28:29], 2
	s_add_u32 s28, s45, s28
	v_cmp_ngt_f32_e64 s[14:15], s48, v88
	v_cmp_nlt_f32_e64 s[16:17], s49, v88
	s_addc_u32 s29, s46, s29
	s_waitcnt lgkmcnt(0)
	s_barrier
	s_and_saveexec_b64 s[38:39], s[8:9]
	s_cbranch_execnz .LBB43_38
; %bb.27:                               ;   in Loop: Header=BB43_14 Depth=1
	s_or_b64 exec, exec, s[38:39]
	s_and_saveexec_b64 s[38:39], s[10:11]
	s_cbranch_execnz .LBB43_39
.LBB43_28:                              ;   in Loop: Header=BB43_14 Depth=1
	s_or_b64 exec, exec, s[38:39]
	s_and_saveexec_b64 s[38:39], s[12:13]
	s_cbranch_execz .LBB43_30
.LBB43_29:                              ;   in Loop: Header=BB43_14 Depth=1
	v_lshl_add_u64 v[90:91], v[58:59], 2, s[28:29]
	v_mov_b32_e32 v65, v47
	v_lshl_add_u64 v[64:65], v[90:91], 0, v[64:65]
	global_load_dwordx4 v[90:93], v[64:65], off
	s_waitcnt vmcnt(0)
	ds_write_b128 v77, v[90:93]
.LBB43_30:                              ;   in Loop: Header=BB43_14 Depth=1
	s_or_b64 exec, exec, s[38:39]
	v_mul_f32_e32 v61, 0x3fb8aa3b, v88
	v_fma_f32 v64, v88, s47, -v61
	v_rndne_f32_e32 v65, v61
	v_fmac_f32_e32 v64, 0x32a5705f, v88
	v_sub_f32_e32 v61, v61, v65
	v_add_f32_e32 v61, v61, v64
	v_cvt_i32_f32_e32 v64, v65
	v_exp_f32_e32 v61, v61
	v_mul_u32_u24_sdwa v65, v36, s50 dst_sel:DWORD dst_unused:UNUSED_PAD src0_sel:WORD_0 src1_sel:DWORD
	v_pk_mul_f16 v20, v20, v65
	v_pk_mul_f16 v21, v21, v65
	v_ldexp_f32 v61, v61, v64
	v_cndmask_b32_e64 v61, 0, v61, s[14:15]
	v_cndmask_b32_e64 v61, v78, v61, s[16:17]
	v_cvt_f16_f32_e32 v64, v61
	v_mul_u32_u24_sdwa v36, v36, s50 dst_sel:DWORD dst_unused:UNUSED_PAD src0_sel:WORD_1 src1_sel:DWORD
	v_mul_u32_u24_sdwa v88, v37, s50 dst_sel:DWORD dst_unused:UNUSED_PAD src0_sel:WORD_0 src1_sel:DWORD
	v_mul_u32_u24_sdwa v37, v37, s50 dst_sel:DWORD dst_unused:UNUSED_PAD src0_sel:WORD_1 src1_sel:DWORD
	v_mul_u32_u24_e32 v64, 0x10001, v64
	v_pk_fma_f16 v20, v68, v64, v20
	v_pk_fma_f16 v21, v67, v64, v21
	;; [unrolled: 1-line block ×6, first 2 shown]
	v_mul_u32_u24_sdwa v89, v38, s50 dst_sel:DWORD dst_unused:UNUSED_PAD src0_sel:WORD_0 src1_sel:DWORD
	v_pk_fma_f16 v20, v30, v37, v20
	v_pk_fma_f16 v21, v31, v37, v21
	v_mul_u32_u24_sdwa v38, v38, s50 dst_sel:DWORD dst_unused:UNUSED_PAD src0_sel:WORD_1 src1_sel:DWORD
	v_pk_fma_f16 v20, v24, v89, v20
	v_pk_fma_f16 v21, v25, v89, v21
	v_mul_u32_u24_sdwa v90, v39, s50 dst_sel:DWORD dst_unused:UNUSED_PAD src0_sel:WORD_0 src1_sel:DWORD
	v_pk_fma_f16 v20, v26, v38, v20
	v_pk_fma_f16 v21, v27, v38, v21
	v_mul_u32_u24_sdwa v39, v39, s50 dst_sel:DWORD dst_unused:UNUSED_PAD src0_sel:WORD_1 src1_sel:DWORD
	v_pk_fma_f16 v16, v16, v90, v20
	v_pk_fma_f16 v17, v17, v90, v21
	;; [unrolled: 6-line block ×5, first 2 shown]
	v_mul_u32_u24_sdwa v94, v35, s50 dst_sel:DWORD dst_unused:UNUSED_PAD src0_sel:WORD_0 src1_sel:DWORD
	v_pk_fma_f16 v4, v6, v34, v4
	v_pk_fma_f16 v5, v7, v34, v5
	;; [unrolled: 1-line block ×4, first 2 shown]
	s_waitcnt lgkmcnt(0)
	s_barrier
	ds_read_b128 v[4:7], v73 offset:32
	ds_read2_b64 v[8:11], v66 offset1:28
	v_mul_u32_u24_sdwa v35, v35, s50 dst_sel:DWORD dst_unused:UNUSED_PAD src0_sel:WORD_1 src1_sel:DWORD
	v_pk_fma_f16 v12, v2, v35, v0
	v_pk_fma_f16 v13, v3, v35, v1
	s_waitcnt lgkmcnt(1)
	v_mul_u32_u24_sdwa v14, v4, s50 dst_sel:DWORD dst_unused:UNUSED_PAD src0_sel:WORD_0 src1_sel:DWORD
	s_waitcnt lgkmcnt(0)
	v_pk_fma_f16 v8, v8, v14, v12
	v_pk_fma_f16 v9, v9, v14, v13
	ds_read2_b64 v[12:15], v66 offset0:56 offset1:84
	v_mul_u32_u24_sdwa v4, v4, s50 dst_sel:DWORD dst_unused:UNUSED_PAD src0_sel:WORD_1 src1_sel:DWORD
	v_pk_fma_f16 v8, v10, v4, v8
	v_pk_fma_f16 v4, v11, v4, v9
	v_mul_u32_u24_sdwa v9, v5, s50 dst_sel:DWORD dst_unused:UNUSED_PAD src0_sel:WORD_0 src1_sel:DWORD
	s_waitcnt lgkmcnt(0)
	v_pk_fma_f16 v12, v12, v9, v8
	v_pk_fma_f16 v4, v13, v9, v4
	ds_read2_b64 v[8:11], v66 offset0:112 offset1:140
	v_mul_u32_u24_sdwa v5, v5, s50 dst_sel:DWORD dst_unused:UNUSED_PAD src0_sel:WORD_1 src1_sel:DWORD
	v_pk_fma_f16 v12, v14, v5, v12
	v_pk_fma_f16 v4, v15, v5, v4
	v_mul_u32_u24_sdwa v5, v6, s50 dst_sel:DWORD dst_unused:UNUSED_PAD src0_sel:WORD_0 src1_sel:DWORD
	s_waitcnt lgkmcnt(0)
	v_pk_fma_f16 v8, v8, v5, v12
	ds_read2_b64 v[12:15], v66 offset0:168 offset1:196
	ds_read_b128 v[0:3], v73 offset:48
	v_pk_fma_f16 v4, v9, v5, v4
	v_mul_u32_u24_sdwa v5, v6, s50 dst_sel:DWORD dst_unused:UNUSED_PAD src0_sel:WORD_1 src1_sel:DWORD
	v_pk_fma_f16 v6, v10, v5, v8
	v_pk_fma_f16 v4, v11, v5, v4
	ds_read2_b64 v[8:11], v66 offset0:224 offset1:252
	v_mul_u32_u24_sdwa v5, v7, s50 dst_sel:DWORD dst_unused:UNUSED_PAD src0_sel:WORD_0 src1_sel:DWORD
	s_waitcnt lgkmcnt(2)
	v_pk_fma_f16 v6, v12, v5, v6
	v_pk_fma_f16 v4, v13, v5, v4
	v_mul_u32_u24_sdwa v5, v7, s50 dst_sel:DWORD dst_unused:UNUSED_PAD src0_sel:WORD_1 src1_sel:DWORD
	v_pk_fma_f16 v6, v14, v5, v6
	v_pk_fma_f16 v4, v15, v5, v4
	s_waitcnt lgkmcnt(1)
	v_mul_u32_u24_sdwa v5, v0, s50 dst_sel:DWORD dst_unused:UNUSED_PAD src0_sel:WORD_0 src1_sel:DWORD
	s_waitcnt lgkmcnt(0)
	v_pk_fma_f16 v8, v8, v5, v6
	v_pk_fma_f16 v9, v9, v5, v4
	ds_read2_b64 v[4:7], v87 offset0:24 offset1:52
	v_mul_u32_u24_sdwa v0, v0, s50 dst_sel:DWORD dst_unused:UNUSED_PAD src0_sel:WORD_1 src1_sel:DWORD
	v_pk_fma_f16 v8, v10, v0, v8
	v_pk_fma_f16 v0, v11, v0, v9
	v_mul_u32_u24_sdwa v9, v1, s50 dst_sel:DWORD dst_unused:UNUSED_PAD src0_sel:WORD_0 src1_sel:DWORD
	s_waitcnt lgkmcnt(0)
	v_pk_fma_f16 v4, v4, v9, v8
	v_pk_fma_f16 v0, v5, v9, v0
	ds_read2_b64 v[8:11], v87 offset0:80 offset1:108
	v_mul_u32_u24_sdwa v1, v1, s50 dst_sel:DWORD dst_unused:UNUSED_PAD src0_sel:WORD_1 src1_sel:DWORD
	v_pk_fma_f16 v4, v6, v1, v4
	v_pk_fma_f16 v0, v7, v1, v0
	v_mul_u32_u24_sdwa v1, v2, s50 dst_sel:DWORD dst_unused:UNUSED_PAD src0_sel:WORD_0 src1_sel:DWORD
	s_waitcnt lgkmcnt(0)
	v_pk_fma_f16 v4, v8, v1, v4
	v_pk_fma_f16 v0, v9, v1, v0
	v_mul_u32_u24_sdwa v1, v2, s50 dst_sel:DWORD dst_unused:UNUSED_PAD src0_sel:WORD_1 src1_sel:DWORD
	v_pk_fma_f16 v2, v10, v1, v4
	ds_read2_b64 v[4:7], v87 offset0:136 offset1:164
	s_waitcnt lgkmcnt(0)
	s_barrier
	s_load_dword s14, s[22:23], 0x4
	v_pk_fma_f16 v0, v11, v1, v0
	v_mul_u32_u24_sdwa v1, v3, s50 dst_sel:DWORD dst_unused:UNUSED_PAD src0_sel:WORD_0 src1_sel:DWORD
	v_pk_fma_f16 v2, v4, v1, v2
	v_pk_fma_f16 v0, v5, v1, v0
	s_waitcnt lgkmcnt(0)
	s_lshl_b32 s14, s14, 5
	v_mul_u32_u24_sdwa v1, v3, s50 dst_sel:DWORD dst_unused:UNUSED_PAD src0_sel:WORD_1 src1_sel:DWORD
	s_add_i32 s2, s14, s2
	v_fmac_f32_e32 v86, v79, v61
	v_pk_fma_f16 v68, v6, v1, v2
	s_cmp_ge_i32 s2, s34
	v_pk_fma_f16 v67, v7, v1, v0
	s_cbranch_scc1 .LBB43_9
; %bb.31:                               ;   in Loop: Header=BB43_14 Depth=1
	v_mov_b32_e32 v6, v62
	v_mov_b32_e32 v79, v86
	s_branch .LBB43_14
.LBB43_32:                              ;   in Loop: Header=BB43_14 Depth=1
	global_load_dwordx4 v[0:3], v[4:5], off offset:96
	s_waitcnt vmcnt(0)
	ds_write_b128 v70, v[0:3]
	s_or_b64 exec, exec, s[16:17]
	v_lshl_add_u64 v[0:1], v[44:45], 2, s[14:15]
	s_and_saveexec_b64 s[16:17], s[4:5]
	s_cbranch_execz .LBB43_16
.LBB43_33:                              ;   in Loop: Header=BB43_14 Depth=1
	v_lshl_add_u64 v[2:3], v[0:1], 0, v[46:47]
	global_load_dwordx4 v[8:11], v[2:3], off offset:64
	s_waitcnt vmcnt(0)
	ds_write_b128 v71, v[8:11]
	s_or_b64 exec, exec, s[16:17]
	v_lshl_add_u64 v[2:3], v[48:49], 2, s[14:15]
	s_and_saveexec_b64 s[14:15], s[6:7]
	s_cbranch_execnz .LBB43_17
	s_branch .LBB43_18
.LBB43_34:                              ;   in Loop: Header=BB43_14 Depth=1
	global_load_dwordx4 v[8:11], v[4:5], off offset:208
	s_waitcnt vmcnt(0)
	ds_write_b128 v70, v[8:11]
	s_or_b64 exec, exec, s[14:15]
	s_and_saveexec_b64 s[14:15], s[4:5]
	s_cbranch_execz .LBB43_20
.LBB43_35:                              ;   in Loop: Header=BB43_14 Depth=1
	v_lshl_add_u64 v[0:1], v[0:1], 0, v[46:47]
	global_load_dwordx4 v[8:11], v[0:1], off offset:176
	s_waitcnt vmcnt(0)
	ds_write_b128 v71, v[8:11]
	s_or_b64 exec, exec, s[14:15]
	s_and_saveexec_b64 s[14:15], s[6:7]
	s_cbranch_execnz .LBB43_21
	s_branch .LBB43_22
.LBB43_36:                              ;   in Loop: Header=BB43_14 Depth=1
	v_lshl_add_u64 v[0:1], v[52:53], 2, s[16:17]
	v_lshl_add_u64 v[0:1], v[0:1], 0, v[46:47]
	global_load_dwordx4 v[0:3], v[0:1], off offset:192
	s_waitcnt vmcnt(0)
	ds_write_b128 v75, v[0:3]
	s_or_b64 exec, exec, s[14:15]
	s_and_saveexec_b64 s[14:15], s[10:11]
	s_cbranch_execz .LBB43_24
.LBB43_37:                              ;   in Loop: Header=BB43_14 Depth=1
	v_lshl_add_u64 v[0:1], v[54:55], 2, s[16:17]
	v_mov_b32_e32 v61, v47
	v_lshl_add_u64 v[0:1], v[0:1], 0, v[60:61]
	global_load_dwordx4 v[0:3], v[0:1], off offset:128
	s_waitcnt vmcnt(0)
	ds_write_b128 v76, v[0:3]
	s_or_b64 exec, exec, s[14:15]
	v_lshlrev_b32_e32 v64, 2, v56
	s_and_saveexec_b64 s[14:15], s[12:13]
	s_cbranch_execnz .LBB43_25
	s_branch .LBB43_26
.LBB43_38:                              ;   in Loop: Header=BB43_14 Depth=1
	v_lshl_add_u64 v[90:91], v[52:53], 2, s[28:29]
	v_lshl_add_u64 v[90:91], v[90:91], 0, v[46:47]
	global_load_dwordx4 v[90:93], v[90:91], off offset:192
	s_waitcnt vmcnt(0)
	ds_write_b128 v75, v[90:93]
	s_or_b64 exec, exec, s[38:39]
	s_and_saveexec_b64 s[38:39], s[10:11]
	s_cbranch_execz .LBB43_28
.LBB43_39:                              ;   in Loop: Header=BB43_14 Depth=1
	v_lshl_add_u64 v[90:91], v[54:55], 2, s[28:29]
	v_mov_b32_e32 v61, v47
	v_lshl_add_u64 v[90:91], v[90:91], 0, v[60:61]
	global_load_dwordx4 v[90:93], v[90:91], off offset:128
	s_waitcnt vmcnt(0)
	ds_write_b128 v76, v[90:93]
	s_or_b64 exec, exec, s[38:39]
	s_and_saveexec_b64 s[38:39], s[12:13]
	s_cbranch_execnz .LBB43_29
	s_branch .LBB43_30
.LBB43_40:
	v_mov_b32_e32 v1, v63
	v_add_u32_e32 v0, s40, v57
	v_cmp_gt_i32_e32 vcc, s30, v0
	s_and_saveexec_b64 s[4:5], vcc
	s_cbranch_execz .LBB43_11
.LBB43_41:
	s_load_dword s2, s[0:1], 0xd4
	s_mul_i32 s33, s33, s30
	v_add_u32_e32 v0, s33, v0
	v_mul_lo_u32 v0, v0, s31
	v_add3_u32 v0, s35, v41, v0
	s_waitcnt lgkmcnt(0)
	s_cmp_lg_u32 s2, 1
	v_mul_lo_u32 v0, s2, v0
	s_cselect_b64 s[0:1], -1, 0
	v_add_u32_e32 v0, s3, v0
	s_and_saveexec_b64 s[2:3], s[18:19]
	s_cbranch_execz .LBB43_43
; %bb.42:
	v_div_scale_f32 v4, s[4:5], v1, v1, 1.0
	v_rcp_f32_e32 v5, v4
	v_cvt_f32_f16_sdwa v9, v68 dst_sel:DWORD dst_unused:UNUSED_PAD src0_sel:WORD_1
	v_cvt_f32_f16_sdwa v11, v67 dst_sel:DWORD dst_unused:UNUSED_PAD src0_sel:WORD_1
	v_cvt_f32_f16_e32 v10, v67
	v_fma_f32 v6, -v4, v5, 1.0
	v_fmac_f32_e32 v5, v6, v5
	v_div_scale_f32 v6, vcc, 1.0, v1, 1.0
	v_mul_f32_e32 v7, v6, v5
	v_fma_f32 v8, -v4, v7, v6
	v_fmac_f32_e32 v7, v8, v5
	v_fma_f32 v4, -v4, v7, v6
	v_div_fmas_f32 v4, v4, v5, v7
	v_cvt_f32_f16_e32 v8, v68
	v_div_fixup_f32 v1, v4, v1, 1.0
	s_movk_i32 s4, 0x70
	v_cndmask_b32_e64 v4, v1, 1.0, s[0:1]
	v_mul_lo_u32 v1, v0, s4
	v_mov_b32_e32 v2, s24
	v_mov_b32_e32 v3, s25
	v_lshl_add_u32 v6, v40, 2, v1
	v_mov_b32_e32 v7, 0
	v_lshl_add_u64 v[6:7], v[6:7], 2, v[2:3]
	v_pk_mul_f32 v[2:3], v[4:5], v[8:9] op_sel_hi:[0,1]
	v_pk_mul_f32 v[4:5], v[4:5], v[10:11] op_sel_hi:[0,1]
	global_store_dwordx4 v[6:7], v[2:5], off
.LBB43_43:
	s_or_b64 exec, exec, s[2:3]
	v_cmp_eq_u32_e32 vcc, 0, v40
	s_and_b64 s[0:1], vcc, s[0:1]
	s_and_b64 exec, exec, s[0:1]
	s_cbranch_execz .LBB43_11
; %bb.44:
	v_mov_b32_e32 v2, s26
	v_mov_b32_e32 v3, s27
	v_ashrrev_i32_e32 v1, 31, v0
	v_lshl_add_u64 v[0:1], v[0:1], 3, v[2:3]
	global_store_dwordx2 v[0:1], v[62:63], off
	s_endpgm
	.section	.rodata,"a",@progbits
	.p2align	6, 0x0
	.amdhsa_kernel _ZL15flash_attn_tileILi112ELi112ELi4ELi2ELb0EEvPKcS1_S1_S1_S1_PKiPfP15HIP_vector_typeIfLj2EEffffjfiS5_IjLj3EEiiiiiiiiiiiliiliiiiil
		.amdhsa_group_segment_fixed_size 6464
		.amdhsa_private_segment_fixed_size 0
		.amdhsa_kernarg_size 464
		.amdhsa_user_sgpr_count 2
		.amdhsa_user_sgpr_dispatch_ptr 0
		.amdhsa_user_sgpr_queue_ptr 0
		.amdhsa_user_sgpr_kernarg_segment_ptr 1
		.amdhsa_user_sgpr_dispatch_id 0
		.amdhsa_user_sgpr_kernarg_preload_length 0
		.amdhsa_user_sgpr_kernarg_preload_offset 0
		.amdhsa_user_sgpr_private_segment_size 0
		.amdhsa_uses_dynamic_stack 0
		.amdhsa_enable_private_segment 0
		.amdhsa_system_sgpr_workgroup_id_x 1
		.amdhsa_system_sgpr_workgroup_id_y 1
		.amdhsa_system_sgpr_workgroup_id_z 1
		.amdhsa_system_sgpr_workgroup_info 0
		.amdhsa_system_vgpr_workitem_id 1
		.amdhsa_next_free_vgpr 95
		.amdhsa_next_free_sgpr 51
		.amdhsa_accum_offset 96
		.amdhsa_reserve_vcc 1
		.amdhsa_float_round_mode_32 0
		.amdhsa_float_round_mode_16_64 0
		.amdhsa_float_denorm_mode_32 3
		.amdhsa_float_denorm_mode_16_64 3
		.amdhsa_dx10_clamp 1
		.amdhsa_ieee_mode 1
		.amdhsa_fp16_overflow 0
		.amdhsa_tg_split 0
		.amdhsa_exception_fp_ieee_invalid_op 0
		.amdhsa_exception_fp_denorm_src 0
		.amdhsa_exception_fp_ieee_div_zero 0
		.amdhsa_exception_fp_ieee_overflow 0
		.amdhsa_exception_fp_ieee_underflow 0
		.amdhsa_exception_fp_ieee_inexact 0
		.amdhsa_exception_int_div_zero 0
	.end_amdhsa_kernel
	.section	.text._ZL15flash_attn_tileILi112ELi112ELi4ELi2ELb0EEvPKcS1_S1_S1_S1_PKiPfP15HIP_vector_typeIfLj2EEffffjfiS5_IjLj3EEiiiiiiiiiiiliiliiiiil,"axG",@progbits,_ZL15flash_attn_tileILi112ELi112ELi4ELi2ELb0EEvPKcS1_S1_S1_S1_PKiPfP15HIP_vector_typeIfLj2EEffffjfiS5_IjLj3EEiiiiiiiiiiiliiliiiiil,comdat
.Lfunc_end43:
	.size	_ZL15flash_attn_tileILi112ELi112ELi4ELi2ELb0EEvPKcS1_S1_S1_S1_PKiPfP15HIP_vector_typeIfLj2EEffffjfiS5_IjLj3EEiiiiiiiiiiiliiliiiiil, .Lfunc_end43-_ZL15flash_attn_tileILi112ELi112ELi4ELi2ELb0EEvPKcS1_S1_S1_S1_PKiPfP15HIP_vector_typeIfLj2EEffffjfiS5_IjLj3EEiiiiiiiiiiiliiliiiiil
                                        ; -- End function
	.set _ZL15flash_attn_tileILi112ELi112ELi4ELi2ELb0EEvPKcS1_S1_S1_S1_PKiPfP15HIP_vector_typeIfLj2EEffffjfiS5_IjLj3EEiiiiiiiiiiiliiliiiiil.num_vgpr, 95
	.set _ZL15flash_attn_tileILi112ELi112ELi4ELi2ELb0EEvPKcS1_S1_S1_S1_PKiPfP15HIP_vector_typeIfLj2EEffffjfiS5_IjLj3EEiiiiiiiiiiiliiliiiiil.num_agpr, 0
	.set _ZL15flash_attn_tileILi112ELi112ELi4ELi2ELb0EEvPKcS1_S1_S1_S1_PKiPfP15HIP_vector_typeIfLj2EEffffjfiS5_IjLj3EEiiiiiiiiiiiliiliiiiil.numbered_sgpr, 51
	.set _ZL15flash_attn_tileILi112ELi112ELi4ELi2ELb0EEvPKcS1_S1_S1_S1_PKiPfP15HIP_vector_typeIfLj2EEffffjfiS5_IjLj3EEiiiiiiiiiiiliiliiiiil.num_named_barrier, 0
	.set _ZL15flash_attn_tileILi112ELi112ELi4ELi2ELb0EEvPKcS1_S1_S1_S1_PKiPfP15HIP_vector_typeIfLj2EEffffjfiS5_IjLj3EEiiiiiiiiiiiliiliiiiil.private_seg_size, 0
	.set _ZL15flash_attn_tileILi112ELi112ELi4ELi2ELb0EEvPKcS1_S1_S1_S1_PKiPfP15HIP_vector_typeIfLj2EEffffjfiS5_IjLj3EEiiiiiiiiiiiliiliiiiil.uses_vcc, 1
	.set _ZL15flash_attn_tileILi112ELi112ELi4ELi2ELb0EEvPKcS1_S1_S1_S1_PKiPfP15HIP_vector_typeIfLj2EEffffjfiS5_IjLj3EEiiiiiiiiiiiliiliiiiil.uses_flat_scratch, 0
	.set _ZL15flash_attn_tileILi112ELi112ELi4ELi2ELb0EEvPKcS1_S1_S1_S1_PKiPfP15HIP_vector_typeIfLj2EEffffjfiS5_IjLj3EEiiiiiiiiiiiliiliiiiil.has_dyn_sized_stack, 0
	.set _ZL15flash_attn_tileILi112ELi112ELi4ELi2ELb0EEvPKcS1_S1_S1_S1_PKiPfP15HIP_vector_typeIfLj2EEffffjfiS5_IjLj3EEiiiiiiiiiiiliiliiiiil.has_recursion, 0
	.set _ZL15flash_attn_tileILi112ELi112ELi4ELi2ELb0EEvPKcS1_S1_S1_S1_PKiPfP15HIP_vector_typeIfLj2EEffffjfiS5_IjLj3EEiiiiiiiiiiiliiliiiiil.has_indirect_call, 0
	.section	.AMDGPU.csdata,"",@progbits
; Kernel info:
; codeLenInByte = 6048
; TotalNumSgprs: 57
; NumVgprs: 95
; NumAgprs: 0
; TotalNumVgprs: 95
; ScratchSize: 0
; MemoryBound: 0
; FloatMode: 240
; IeeeMode: 1
; LDSByteSize: 6464 bytes/workgroup (compile time only)
; SGPRBlocks: 7
; VGPRBlocks: 11
; NumSGPRsForWavesPerEU: 57
; NumVGPRsForWavesPerEU: 95
; AccumOffset: 96
; Occupancy: 5
; WaveLimiterHint : 1
; COMPUTE_PGM_RSRC2:SCRATCH_EN: 0
; COMPUTE_PGM_RSRC2:USER_SGPR: 2
; COMPUTE_PGM_RSRC2:TRAP_HANDLER: 0
; COMPUTE_PGM_RSRC2:TGID_X_EN: 1
; COMPUTE_PGM_RSRC2:TGID_Y_EN: 1
; COMPUTE_PGM_RSRC2:TGID_Z_EN: 1
; COMPUTE_PGM_RSRC2:TIDIG_COMP_CNT: 1
; COMPUTE_PGM_RSRC3_GFX90A:ACCUM_OFFSET: 23
; COMPUTE_PGM_RSRC3_GFX90A:TG_SPLIT: 0
	.section	.text._ZL33flash_attn_stream_k_fixup_uniformILi112ELi4ELi2EEvPfPK15HIP_vector_typeIfLj2EEiiiiiiS1_IjLj3EES5_S5_,"axG",@progbits,_ZL33flash_attn_stream_k_fixup_uniformILi112ELi4ELi2EEvPfPK15HIP_vector_typeIfLj2EEiiiiiiS1_IjLj3EES5_S5_,comdat
	.globl	_ZL33flash_attn_stream_k_fixup_uniformILi112ELi4ELi2EEvPfPK15HIP_vector_typeIfLj2EEiiiiiiS1_IjLj3EES5_S5_ ; -- Begin function _ZL33flash_attn_stream_k_fixup_uniformILi112ELi4ELi2EEvPfPK15HIP_vector_typeIfLj2EEiiiiiiS1_IjLj3EES5_S5_
	.p2align	8
	.type	_ZL33flash_attn_stream_k_fixup_uniformILi112ELi4ELi2EEvPfPK15HIP_vector_typeIfLj2EEiiiiiiS1_IjLj3EES5_S5_,@function
_ZL33flash_attn_stream_k_fixup_uniformILi112ELi4ELi2EEvPfPK15HIP_vector_typeIfLj2EEiiiiiiS1_IjLj3EES5_S5_: ; @_ZL33flash_attn_stream_k_fixup_uniformILi112ELi4ELi2EEvPfPK15HIP_vector_typeIfLj2EEiiiiiiS1_IjLj3EES5_S5_
; %bb.0:
	s_load_dwordx8 s[8:15], s[0:1], 0x1c
	s_load_dwordx2 s[6:7], s[0:1], 0x10
	s_load_dwordx4 s[16:19], s[0:1], 0x3c
	s_waitcnt lgkmcnt(0)
	s_mul_hi_u32 s5, s11, s2
	s_add_i32 s5, s2, s5
	s_lshr_b32 s5, s5, s12
	s_mul_i32 s11, s5, s13
	s_sub_i32 s12, s2, s11
	s_mul_hi_u32 s11, s12, s14
	s_add_i32 s11, s12, s11
	s_lshr_b32 s11, s11, s15
	s_mul_i32 s13, s11, s16
	s_sub_i32 s12, s12, s13
	s_mul_hi_u32 s13, s12, s17
	s_add_i32 s13, s12, s13
	s_lshr_b32 s13, s13, s18
	s_mul_i32 s14, s13, s19
	s_sub_i32 s16, s12, s14
	s_lshl_b32 s12, s16, 2
	s_lshl_b32 s17, s13, 1
	s_add_i32 s12, s12, s3
	s_cmp_lt_i32 s12, s6
	s_cselect_b64 s[12:13], -1, 0
	s_add_i32 s17, s17, s4
	s_cmp_lt_i32 s17, s9
	s_cselect_b64 s[14:15], -1, 0
	s_and_b64 s[12:13], s[12:13], s[14:15]
	s_andn2_b64 vcc, exec, s[12:13]
	s_cbranch_vccnz .LBB44_6
; %bb.1:
	s_load_dwordx4 s[12:15], s[0:1], 0x0
	s_mul_i32 s0, s5, s6
	s_mul_i32 s11, s11, s9
	s_add_i32 s0, s0, s3
	s_mul_i32 s0, s0, s7
	s_add_i32 s5, s17, s11
	;; [unrolled: 2-line block ×3, first 2 shown]
	s_mulk_i32 s1, 0x1c0
	s_mulk_i32 s0, 0x70
	s_add_i32 s0, s0, s1
	v_add_u32_e32 v4, s0, v0
	s_waitcnt lgkmcnt(0)
	v_mov_b32_e32 v2, s12
	v_mov_b32_e32 v3, s13
	v_ashrrev_i32_e32 v5, 31, v4
	v_lshl_add_u64 v[2:3], v[4:5], 2, v[2:3]
	global_load_dword v5, v[2:3], off
	s_mul_i32 s5, s10, s2
	s_lshl_b32 s11, s3, 1
	s_add_i32 s9, s5, s10
	s_add_i32 s0, s11, s4
	s_lshl_b32 s1, s9, 3
	s_add_i32 s0, s0, s1
	s_add_i32 s0, s0, -8
	s_ashr_i32 s1, s0, 31
	s_lshl_b64 s[0:1], s[0:1], 3
	s_add_u32 s0, s14, s0
	s_addc_u32 s1, s15, s1
	s_load_dword s12, s[0:1], 0x4
	s_add_i32 s6, s9, -2
	s_cmp_lt_i32 s6, s5
	s_cbranch_scc1 .LBB44_4
; %bb.2:
	s_lshl_b32 s6, s8, 5
	s_ashr_i32 s7, s6, 31
	s_lshl_b64 s[6:7], s[6:7], 2
	s_add_u32 s6, s14, s6
	s_addc_u32 s7, s15, s7
	s_add_i32 s2, s2, 1
	s_load_dword s0, s[0:1], 0x0
	s_mul_i32 s1, s10, s2
	s_lshl_b32 s2, s1, 3
	s_add_i32 s2, s4, s2
	s_mulk_i32 s3, 0xe0
	s_mulk_i32 s4, 0x70
	s_lshl_b32 s8, s8, 3
	s_mulk_i32 s1, 0x380
	s_add_i32 s3, s4, s3
	s_add_i32 s2, s2, s8
	;; [unrolled: 1-line block ×4, first 2 shown]
	v_add_u32_e32 v0, s3, v0
	s_add_i32 s9, s9, -1
	s_add_i32 s2, s2, -16
	v_add_u32_e32 v0, 0xfffff900, v0
	s_waitcnt lgkmcnt(0)
	v_mov_b32_e32 v7, s0
	v_mov_b32_e32 v4, s12
	s_mov_b32 s4, 0x3fb8aa3b
	s_mov_b32 s8, 0xc2ce8ed0
	;; [unrolled: 1-line block ×3, first 2 shown]
	v_mov_b32_e32 v6, 0x7f800000
	s_mov_b32 s11, 0xc1a00000
.LBB44_3:                               ; =>This Inner Loop Header: Depth=1
	v_ashrrev_i32_e32 v1, 31, v0
	v_lshl_add_u64 v[8:9], v[0:1], 2, s[6:7]
	global_load_dword v9, v[8:9], off
	s_ashr_i32 s3, s2, 31
	s_lshl_b64 s[0:1], s[2:3], 3
	s_add_u32 s0, s14, s0
	s_addc_u32 s1, s15, s1
	s_load_dwordx2 s[0:1], s[0:1], 0x0
	v_max_f32_e32 v1, v7, v7
	s_add_i32 s9, s9, -1
	s_add_i32 s2, s2, -8
	v_add_u32_e32 v0, 0xfffffc80, v0
	s_waitcnt lgkmcnt(0)
	v_max_f32_e64 v10, s0, s0
	v_max_f32_e32 v1, v1, v10
	v_sub_f32_e32 v11, s0, v1
	v_sub_f32_e32 v10, v7, v1
	v_mul_f32_e32 v12, 0x3fb8aa3b, v11
	v_mov_b32_e32 v7, v1
	v_mul_f32_e32 v1, 0x3fb8aa3b, v10
	v_fma_f32 v15, v11, s4, -v12
	v_rndne_f32_e32 v16, v12
	v_fma_f32 v13, v10, s4, -v1
	v_rndne_f32_e32 v14, v1
	v_fmac_f32_e32 v15, 0x32a5705f, v11
	v_sub_f32_e32 v12, v12, v16
	v_fmac_f32_e32 v13, 0x32a5705f, v10
	v_sub_f32_e32 v1, v1, v14
	v_add_f32_e32 v12, v12, v15
	v_cvt_i32_f32_e32 v16, v16
	v_add_f32_e32 v1, v1, v13
	v_exp_f32_e32 v12, v12
	v_cvt_i32_f32_e32 v14, v14
	v_exp_f32_e32 v1, v1
	v_cmp_ngt_f32_e32 vcc, s8, v11
	v_ldexp_f32 v12, v12, v16
	v_mov_b32_e32 v8, s1
	v_ldexp_f32 v1, v1, v14
	v_cmp_ngt_f32_e64 s[0:1], s8, v10
	v_cndmask_b32_e32 v12, 0, v12, vcc
	v_cmp_nlt_f32_e32 vcc, s10, v11
	v_cndmask_b32_e64 v1, 0, v1, s[0:1]
	v_cmp_nlt_f32_e64 s[0:1], s10, v10
	v_cndmask_b32_e32 v12, v6, v12, vcc
	v_cmp_le_f32_e32 vcc, s11, v11
	v_cndmask_b32_e64 v1, v6, v1, s[0:1]
	v_cmp_le_f32_e64 s[0:1], s11, v10
	v_cndmask_b32_e32 v12, 0, v12, vcc
	s_cmp_le_i32 s9, s5
	v_cndmask_b32_e64 v10, 0, v1, s[0:1]
	s_waitcnt vmcnt(0)
	v_pk_mul_f32 v[8:9], v[8:9], v[12:13] op_sel_hi:[1,0]
	s_nop 0
	v_pk_fma_f32 v[4:5], v[4:5], v[10:11], v[8:9] op_sel_hi:[1,0,1]
	s_cbranch_scc0 .LBB44_3
	s_branch .LBB44_5
.LBB44_4:
	s_waitcnt lgkmcnt(0)
	v_mov_b32_e32 v4, s12
.LBB44_5:
	s_waitcnt vmcnt(0)
	v_div_scale_f32 v0, s[0:1], v4, v4, v5
	v_rcp_f32_e32 v1, v0
	v_div_scale_f32 v6, vcc, v5, v4, v5
	v_fma_f32 v7, -v0, v1, 1.0
	v_fmac_f32_e32 v1, v7, v1
	v_mul_f32_e32 v7, v6, v1
	v_fma_f32 v8, -v0, v7, v6
	v_fmac_f32_e32 v7, v8, v1
	v_fma_f32 v0, -v0, v7, v6
	v_div_fmas_f32 v0, v0, v1, v7
	v_div_fixup_f32 v0, v0, v4, v5
	global_store_dword v[2:3], v0, off
.LBB44_6:
	s_endpgm
	.section	.rodata,"a",@progbits
	.p2align	6, 0x0
	.amdhsa_kernel _ZL33flash_attn_stream_k_fixup_uniformILi112ELi4ELi2EEvPfPK15HIP_vector_typeIfLj2EEiiiiiiS1_IjLj3EES5_S5_
		.amdhsa_group_segment_fixed_size 0
		.amdhsa_private_segment_fixed_size 0
		.amdhsa_kernarg_size 76
		.amdhsa_user_sgpr_count 2
		.amdhsa_user_sgpr_dispatch_ptr 0
		.amdhsa_user_sgpr_queue_ptr 0
		.amdhsa_user_sgpr_kernarg_segment_ptr 1
		.amdhsa_user_sgpr_dispatch_id 0
		.amdhsa_user_sgpr_kernarg_preload_length 0
		.amdhsa_user_sgpr_kernarg_preload_offset 0
		.amdhsa_user_sgpr_private_segment_size 0
		.amdhsa_uses_dynamic_stack 0
		.amdhsa_enable_private_segment 0
		.amdhsa_system_sgpr_workgroup_id_x 1
		.amdhsa_system_sgpr_workgroup_id_y 1
		.amdhsa_system_sgpr_workgroup_id_z 1
		.amdhsa_system_sgpr_workgroup_info 0
		.amdhsa_system_vgpr_workitem_id 0
		.amdhsa_next_free_vgpr 17
		.amdhsa_next_free_sgpr 20
		.amdhsa_accum_offset 20
		.amdhsa_reserve_vcc 1
		.amdhsa_float_round_mode_32 0
		.amdhsa_float_round_mode_16_64 0
		.amdhsa_float_denorm_mode_32 3
		.amdhsa_float_denorm_mode_16_64 3
		.amdhsa_dx10_clamp 1
		.amdhsa_ieee_mode 1
		.amdhsa_fp16_overflow 0
		.amdhsa_tg_split 0
		.amdhsa_exception_fp_ieee_invalid_op 0
		.amdhsa_exception_fp_denorm_src 0
		.amdhsa_exception_fp_ieee_div_zero 0
		.amdhsa_exception_fp_ieee_overflow 0
		.amdhsa_exception_fp_ieee_underflow 0
		.amdhsa_exception_fp_ieee_inexact 0
		.amdhsa_exception_int_div_zero 0
	.end_amdhsa_kernel
	.section	.text._ZL33flash_attn_stream_k_fixup_uniformILi112ELi4ELi2EEvPfPK15HIP_vector_typeIfLj2EEiiiiiiS1_IjLj3EES5_S5_,"axG",@progbits,_ZL33flash_attn_stream_k_fixup_uniformILi112ELi4ELi2EEvPfPK15HIP_vector_typeIfLj2EEiiiiiiS1_IjLj3EES5_S5_,comdat
.Lfunc_end44:
	.size	_ZL33flash_attn_stream_k_fixup_uniformILi112ELi4ELi2EEvPfPK15HIP_vector_typeIfLj2EEiiiiiiS1_IjLj3EES5_S5_, .Lfunc_end44-_ZL33flash_attn_stream_k_fixup_uniformILi112ELi4ELi2EEvPfPK15HIP_vector_typeIfLj2EEiiiiiiS1_IjLj3EES5_S5_
                                        ; -- End function
	.set _ZL33flash_attn_stream_k_fixup_uniformILi112ELi4ELi2EEvPfPK15HIP_vector_typeIfLj2EEiiiiiiS1_IjLj3EES5_S5_.num_vgpr, 17
	.set _ZL33flash_attn_stream_k_fixup_uniformILi112ELi4ELi2EEvPfPK15HIP_vector_typeIfLj2EEiiiiiiS1_IjLj3EES5_S5_.num_agpr, 0
	.set _ZL33flash_attn_stream_k_fixup_uniformILi112ELi4ELi2EEvPfPK15HIP_vector_typeIfLj2EEiiiiiiS1_IjLj3EES5_S5_.numbered_sgpr, 20
	.set _ZL33flash_attn_stream_k_fixup_uniformILi112ELi4ELi2EEvPfPK15HIP_vector_typeIfLj2EEiiiiiiS1_IjLj3EES5_S5_.num_named_barrier, 0
	.set _ZL33flash_attn_stream_k_fixup_uniformILi112ELi4ELi2EEvPfPK15HIP_vector_typeIfLj2EEiiiiiiS1_IjLj3EES5_S5_.private_seg_size, 0
	.set _ZL33flash_attn_stream_k_fixup_uniformILi112ELi4ELi2EEvPfPK15HIP_vector_typeIfLj2EEiiiiiiS1_IjLj3EES5_S5_.uses_vcc, 1
	.set _ZL33flash_attn_stream_k_fixup_uniformILi112ELi4ELi2EEvPfPK15HIP_vector_typeIfLj2EEiiiiiiS1_IjLj3EES5_S5_.uses_flat_scratch, 0
	.set _ZL33flash_attn_stream_k_fixup_uniformILi112ELi4ELi2EEvPfPK15HIP_vector_typeIfLj2EEiiiiiiS1_IjLj3EES5_S5_.has_dyn_sized_stack, 0
	.set _ZL33flash_attn_stream_k_fixup_uniformILi112ELi4ELi2EEvPfPK15HIP_vector_typeIfLj2EEiiiiiiS1_IjLj3EES5_S5_.has_recursion, 0
	.set _ZL33flash_attn_stream_k_fixup_uniformILi112ELi4ELi2EEvPfPK15HIP_vector_typeIfLj2EEiiiiiiS1_IjLj3EES5_S5_.has_indirect_call, 0
	.section	.AMDGPU.csdata,"",@progbits
; Kernel info:
; codeLenInByte = 832
; TotalNumSgprs: 26
; NumVgprs: 17
; NumAgprs: 0
; TotalNumVgprs: 17
; ScratchSize: 0
; MemoryBound: 0
; FloatMode: 240
; IeeeMode: 1
; LDSByteSize: 0 bytes/workgroup (compile time only)
; SGPRBlocks: 3
; VGPRBlocks: 2
; NumSGPRsForWavesPerEU: 26
; NumVGPRsForWavesPerEU: 17
; AccumOffset: 20
; Occupancy: 8
; WaveLimiterHint : 0
; COMPUTE_PGM_RSRC2:SCRATCH_EN: 0
; COMPUTE_PGM_RSRC2:USER_SGPR: 2
; COMPUTE_PGM_RSRC2:TRAP_HANDLER: 0
; COMPUTE_PGM_RSRC2:TGID_X_EN: 1
; COMPUTE_PGM_RSRC2:TGID_Y_EN: 1
; COMPUTE_PGM_RSRC2:TGID_Z_EN: 1
; COMPUTE_PGM_RSRC2:TIDIG_COMP_CNT: 0
; COMPUTE_PGM_RSRC3_GFX90A:ACCUM_OFFSET: 4
; COMPUTE_PGM_RSRC3_GFX90A:TG_SPLIT: 0
	.section	.text._ZL33flash_attn_stream_k_fixup_generalILi112ELi4ELi2EEvPfPK15HIP_vector_typeIfLj2EEiiiiS1_IjLj3EES5_S5_S5_,"axG",@progbits,_ZL33flash_attn_stream_k_fixup_generalILi112ELi4ELi2EEvPfPK15HIP_vector_typeIfLj2EEiiiiS1_IjLj3EES5_S5_S5_,comdat
	.globl	_ZL33flash_attn_stream_k_fixup_generalILi112ELi4ELi2EEvPfPK15HIP_vector_typeIfLj2EEiiiiS1_IjLj3EES5_S5_S5_ ; -- Begin function _ZL33flash_attn_stream_k_fixup_generalILi112ELi4ELi2EEvPfPK15HIP_vector_typeIfLj2EEiiiiS1_IjLj3EES5_S5_S5_
	.p2align	8
	.type	_ZL33flash_attn_stream_k_fixup_generalILi112ELi4ELi2EEvPfPK15HIP_vector_typeIfLj2EEiiiiS1_IjLj3EES5_S5_S5_,@function
_ZL33flash_attn_stream_k_fixup_generalILi112ELi4ELi2EEvPfPK15HIP_vector_typeIfLj2EEiiiiS1_IjLj3EES5_S5_S5_: ; @_ZL33flash_attn_stream_k_fixup_generalILi112ELi4ELi2EEvPfPK15HIP_vector_typeIfLj2EEiiiiS1_IjLj3EES5_S5_S5_
; %bb.0:
	s_load_dwordx4 s[8:11], s[0:1], 0x10
	s_load_dword s22, s[0:1], 0x50
	s_mov_b32 s12, 0
	s_waitcnt lgkmcnt(0)
	s_mul_hi_i32 s13, s11, s2
	s_cmp_lg_u64 s[12:13], 0
	s_mul_i32 s5, s11, s2
	s_cbranch_scc0 .LBB45_20
; %bb.1:
	s_add_u32 s6, s22, 0
	s_addc_u32 s7, 0, 0
	s_xor_b64 s[6:7], s[6:7], 0
	v_cvt_f32_u32_e32 v1, s6
	v_cvt_f32_u32_e32 v2, s7
	s_sub_u32 s12, 0, s6
	s_subb_u32 s18, 0, s7
	v_fmamk_f32 v1, v2, 0x4f800000, v1
	v_rcp_f32_e32 v1, v1
	s_nop 0
	v_mul_f32_e32 v1, 0x5f7ffffc, v1
	v_mul_f32_e32 v2, 0x2f800000, v1
	v_trunc_f32_e32 v2, v2
	v_fmamk_f32 v1, v2, 0xcf800000, v1
	v_cvt_u32_f32_e32 v2, v2
	v_cvt_u32_f32_e32 v1, v1
	v_readfirstlane_b32 s19, v2
	v_readfirstlane_b32 s14, v1
	s_mul_i32 s15, s12, s19
	s_mul_hi_u32 s21, s12, s14
	s_mul_i32 s20, s18, s14
	s_add_i32 s15, s21, s15
	s_add_i32 s15, s15, s20
	s_mul_i32 s23, s12, s14
	s_mul_i32 s21, s14, s15
	s_mul_hi_u32 s24, s14, s23
	s_mul_hi_u32 s20, s14, s15
	s_add_u32 s21, s24, s21
	s_addc_u32 s20, 0, s20
	s_mul_hi_u32 s25, s19, s23
	s_mul_i32 s23, s19, s23
	s_add_u32 s21, s21, s23
	s_mul_hi_u32 s24, s19, s15
	s_addc_u32 s20, s20, s25
	s_addc_u32 s21, s24, 0
	s_mul_i32 s15, s19, s15
	s_add_u32 s15, s20, s15
	s_addc_u32 s20, 0, s21
	s_add_u32 s21, s14, s15
	s_cselect_b64 s[14:15], -1, 0
	s_cmp_lg_u64 s[14:15], 0
	s_addc_u32 s19, s19, s20
	s_mul_i32 s14, s12, s19
	s_mul_hi_u32 s15, s12, s21
	s_add_i32 s14, s15, s14
	s_mul_i32 s18, s18, s21
	s_add_i32 s14, s14, s18
	s_mul_i32 s12, s12, s21
	s_mul_hi_u32 s18, s19, s12
	s_mul_i32 s20, s19, s12
	s_mul_i32 s24, s21, s14
	s_mul_hi_u32 s12, s21, s12
	s_mul_hi_u32 s23, s21, s14
	s_add_u32 s12, s12, s24
	s_addc_u32 s23, 0, s23
	s_add_u32 s12, s12, s20
	s_mul_hi_u32 s15, s19, s14
	s_addc_u32 s12, s23, s18
	s_addc_u32 s15, s15, 0
	s_mul_i32 s14, s19, s14
	s_add_u32 s12, s12, s14
	s_addc_u32 s18, 0, s15
	s_add_u32 s20, s21, s12
	s_cselect_b64 s[14:15], -1, 0
	s_cmp_lg_u64 s[14:15], 0
	s_addc_u32 s18, s19, s18
	s_ashr_i32 s14, s13, 31
	s_add_u32 s12, s5, s14
	s_mov_b32 s15, s14
	s_addc_u32 s13, s13, s14
	s_xor_b64 s[12:13], s[12:13], s[14:15]
	s_mul_i32 s21, s12, s18
	s_mul_hi_u32 s23, s12, s20
	s_mul_hi_u32 s19, s12, s18
	s_add_u32 s21, s23, s21
	s_addc_u32 s19, 0, s19
	s_mul_hi_u32 s24, s13, s20
	s_mul_i32 s20, s13, s20
	s_add_u32 s20, s21, s20
	s_mul_hi_u32 s23, s13, s18
	s_addc_u32 s19, s19, s24
	s_addc_u32 s20, s23, 0
	s_mul_i32 s18, s13, s18
	s_add_u32 s23, s19, s18
	s_addc_u32 s24, 0, s20
	s_mul_i32 s18, s6, s24
	s_mul_hi_u32 s19, s6, s23
	s_add_i32 s18, s19, s18
	s_mul_i32 s19, s7, s23
	s_add_i32 s25, s18, s19
	s_sub_i32 s20, s13, s25
	s_mul_i32 s18, s6, s23
	s_sub_u32 s12, s12, s18
	s_cselect_b64 s[18:19], -1, 0
	s_cmp_lg_u64 s[18:19], 0
	s_subb_u32 s26, s20, s7
	s_sub_u32 s27, s12, s6
	s_cselect_b64 s[20:21], -1, 0
	s_cmp_lg_u64 s[20:21], 0
	s_subb_u32 s20, s26, 0
	s_cmp_ge_u32 s20, s7
	s_cselect_b32 s21, -1, 0
	s_cmp_ge_u32 s27, s6
	s_cselect_b32 s26, -1, 0
	s_cmp_eq_u32 s20, s7
	s_cselect_b32 s20, s26, s21
	s_add_u32 s21, s23, 1
	s_addc_u32 s26, s24, 0
	s_add_u32 s27, s23, 2
	s_addc_u32 s28, s24, 0
	s_cmp_lg_u32 s20, 0
	s_cselect_b32 s20, s27, s21
	s_cselect_b32 s21, s28, s26
	s_cmp_lg_u64 s[18:19], 0
	s_subb_u32 s13, s13, s25
	s_cmp_ge_u32 s13, s7
	s_cselect_b32 s18, -1, 0
	s_cmp_ge_u32 s12, s6
	s_cselect_b32 s6, -1, 0
	s_cmp_eq_u32 s13, s7
	s_cselect_b32 s6, s6, s18
	s_cmp_lg_u32 s6, 0
	s_cselect_b32 s7, s21, s24
	s_cselect_b32 s6, s20, s23
	s_xor_b64 s[12:13], s[14:15], 0
	s_xor_b64 s[6:7], s[6:7], s[12:13]
	s_sub_u32 s6, s6, s12
	s_load_dwordx4 s[12:15], s[0:1], 0x44
	s_cbranch_execnz .LBB45_3
.LBB45_2:
	v_cvt_f32_u32_e32 v1, s22
	s_sub_i32 s6, 0, s22
	v_rcp_iflag_f32_e32 v1, v1
	s_nop 0
	v_mul_f32_e32 v1, 0x4f7ffffe, v1
	v_cvt_u32_f32_e32 v1, v1
	s_nop 0
	v_readfirstlane_b32 s7, v1
	s_mul_i32 s6, s6, s7
	s_mul_hi_u32 s6, s7, s6
	s_add_i32 s7, s7, s6
	s_mul_hi_u32 s6, s5, s7
	s_waitcnt lgkmcnt(0)
	s_mul_i32 s15, s6, s22
	s_sub_i32 s5, s5, s15
	s_add_i32 s7, s6, 1
	s_sub_i32 s15, s5, s22
	s_cmp_ge_u32 s5, s22
	s_cselect_b32 s6, s7, s6
	s_cselect_b32 s5, s15, s5
	s_add_i32 s7, s6, 1
	s_cmp_ge_u32 s5, s22
	s_cselect_b32 s6, s7, s6
.LBB45_3:
	s_add_i32 s5, s2, 1
	s_mul_hi_i32 s21, s11, s5
	s_mov_b32 s20, 0
	s_cmp_lg_u64 s[20:21], 0
	s_mul_i32 s5, s11, s5
	s_cbranch_scc0 .LBB45_21
; %bb.4:
	s_add_u32 s16, s22, 0
	s_addc_u32 s17, 0, 0
	s_xor_b64 s[18:19], s[16:17], 0
	v_cvt_f32_u32_e32 v1, s18
	v_cvt_f32_u32_e32 v2, s19
	s_sub_u32 s7, 0, s18
	s_waitcnt lgkmcnt(0)
	s_subb_u32 s15, 0, s19
	v_fmamk_f32 v1, v2, 0x4f800000, v1
	v_rcp_f32_e32 v1, v1
	s_nop 0
	v_mul_f32_e32 v1, 0x5f7ffffc, v1
	v_mul_f32_e32 v2, 0x2f800000, v1
	v_trunc_f32_e32 v2, v2
	v_fmamk_f32 v1, v2, 0xcf800000, v1
	v_cvt_u32_f32_e32 v2, v2
	v_cvt_u32_f32_e32 v1, v1
	v_readfirstlane_b32 s20, v2
	v_readfirstlane_b32 s23, v1
	s_mul_i32 s24, s7, s20
	s_mul_hi_u32 s26, s7, s23
	s_mul_i32 s25, s15, s23
	s_add_i32 s24, s26, s24
	s_add_i32 s24, s24, s25
	s_mul_i32 s27, s7, s23
	s_mul_i32 s26, s23, s24
	s_mul_hi_u32 s28, s23, s27
	s_mul_hi_u32 s25, s23, s24
	s_add_u32 s26, s28, s26
	s_addc_u32 s25, 0, s25
	s_mul_hi_u32 s29, s20, s27
	s_mul_i32 s27, s20, s27
	s_add_u32 s26, s26, s27
	s_mul_hi_u32 s28, s20, s24
	s_addc_u32 s25, s25, s29
	s_addc_u32 s26, s28, 0
	s_mul_i32 s24, s20, s24
	s_add_u32 s24, s25, s24
	s_addc_u32 s26, 0, s26
	s_add_u32 s23, s23, s24
	s_cselect_b64 s[24:25], -1, 0
	s_cmp_lg_u64 s[24:25], 0
	s_addc_u32 s20, s20, s26
	s_mul_i32 s24, s7, s20
	s_mul_hi_u32 s25, s7, s23
	s_add_i32 s24, s25, s24
	s_mul_i32 s15, s15, s23
	s_add_i32 s24, s24, s15
	s_mul_i32 s7, s7, s23
	s_mul_hi_u32 s25, s20, s7
	s_mul_i32 s26, s20, s7
	s_mul_i32 s28, s23, s24
	s_mul_hi_u32 s7, s23, s7
	s_mul_hi_u32 s27, s23, s24
	s_add_u32 s7, s7, s28
	s_addc_u32 s27, 0, s27
	s_add_u32 s7, s7, s26
	s_mul_hi_u32 s15, s20, s24
	s_addc_u32 s7, s27, s25
	s_addc_u32 s15, s15, 0
	s_mul_i32 s24, s20, s24
	s_add_u32 s7, s7, s24
	s_addc_u32 s15, 0, s15
	s_add_u32 s7, s23, s7
	s_cselect_b64 s[24:25], -1, 0
	s_cmp_lg_u64 s[24:25], 0
	s_addc_u32 s15, s20, s15
	s_ashr_i32 s24, s21, 31
	s_add_u32 s20, s5, s24
	s_mov_b32 s25, s24
	s_addc_u32 s21, s21, s24
	s_xor_b64 s[20:21], s[20:21], s[24:25]
	s_mul_i32 s26, s20, s15
	s_mul_hi_u32 s27, s20, s7
	s_mul_hi_u32 s23, s20, s15
	s_add_u32 s26, s27, s26
	s_addc_u32 s23, 0, s23
	s_mul_hi_u32 s28, s21, s7
	s_mul_i32 s7, s21, s7
	s_add_u32 s7, s26, s7
	s_mul_hi_u32 s27, s21, s15
	s_addc_u32 s7, s23, s28
	s_addc_u32 s23, s27, 0
	s_mul_i32 s15, s21, s15
	s_add_u32 s7, s7, s15
	s_addc_u32 s15, 0, s23
	s_mul_i32 s23, s18, s15
	s_mul_hi_u32 s26, s18, s7
	s_add_i32 s23, s26, s23
	s_mul_i32 s26, s19, s7
	s_add_i32 s23, s23, s26
	s_sub_i32 s28, s21, s23
	s_mul_i32 s26, s18, s7
	s_sub_u32 s20, s20, s26
	s_cselect_b64 s[26:27], -1, 0
	s_cmp_lg_u64 s[26:27], 0
	s_subb_u32 s30, s28, s19
	s_sub_u32 s31, s20, s18
	s_cselect_b64 s[28:29], -1, 0
	s_cmp_lg_u64 s[28:29], 0
	s_subb_u32 s28, s30, 0
	s_cmp_ge_u32 s28, s19
	s_cselect_b32 s29, -1, 0
	s_cmp_ge_u32 s31, s18
	s_cselect_b32 s30, -1, 0
	s_cmp_eq_u32 s28, s19
	s_cselect_b32 s28, s30, s29
	s_add_u32 s29, s7, 1
	s_addc_u32 s30, s15, 0
	s_add_u32 s31, s7, 2
	s_addc_u32 s33, s15, 0
	s_cmp_lg_u32 s28, 0
	s_cselect_b32 s28, s31, s29
	s_cselect_b32 s29, s33, s30
	s_cmp_lg_u64 s[26:27], 0
	s_subb_u32 s21, s21, s23
	s_cmp_ge_u32 s21, s19
	s_cselect_b32 s23, -1, 0
	s_cmp_ge_u32 s20, s18
	s_cselect_b32 s18, -1, 0
	s_cmp_eq_u32 s21, s19
	s_cselect_b32 s18, s18, s23
	s_cmp_lg_u32 s18, 0
	s_cselect_b32 s19, s29, s15
	s_cselect_b32 s18, s28, s7
	s_xor_b64 s[20:21], s[24:25], 0
	s_xor_b64 s[18:19], s[18:19], s[20:21]
	s_sub_u32 s18, s18, s20
	s_cbranch_execnz .LBB45_6
.LBB45_5:
	v_cvt_f32_u32_e32 v1, s22
	s_sub_i32 s7, 0, s22
	v_rcp_iflag_f32_e32 v1, v1
	s_nop 0
	v_mul_f32_e32 v1, 0x4f7ffffe, v1
	v_cvt_u32_f32_e32 v1, v1
	s_waitcnt lgkmcnt(0)
	v_readfirstlane_b32 s15, v1
	s_mul_i32 s7, s7, s15
	s_mul_hi_u32 s7, s15, s7
	s_add_i32 s15, s15, s7
	s_mul_hi_u32 s7, s5, s15
	s_mul_i32 s16, s7, s22
	s_sub_i32 s5, s5, s16
	s_add_i32 s15, s7, 1
	s_sub_i32 s16, s5, s22
	s_cmp_ge_u32 s5, s22
	s_cselect_b32 s7, s15, s7
	s_cselect_b32 s5, s16, s5
	s_add_i32 s15, s7, 1
	s_cmp_ge_u32 s5, s22
	s_cselect_b32 s18, s15, s7
.LBB45_6:
	s_cmp_eq_u32 s6, s18
	s_waitcnt lgkmcnt(0)
	s_mul_hi_u32 s5, s6, s12
	s_cselect_b64 s[16:17], -1, 0
	s_add_i32 s5, s5, s6
	s_lshr_b32 s7, s5, s13
	s_mul_i32 s5, s7, s14
	s_cmp_eq_u32 s5, s6
	s_mul_hi_u32 s5, s18, s12
	s_cselect_b64 s[20:21], -1, 0
	s_add_i32 s5, s5, s18
	s_lshr_b32 s5, s5, s13
	s_cmp_eq_u32 s7, s5
	s_mul_i32 s5, s5, s14
	s_cselect_b64 s[24:25], -1, 0
	s_cmp_lg_u32 s5, s18
	s_cselect_b64 s[18:19], -1, 0
	s_and_b64 s[18:19], s[24:25], s[18:19]
	s_or_b64 s[16:17], s[16:17], s[20:21]
	s_or_b64 s[16:17], s[16:17], s[18:19]
	s_and_b64 vcc, exec, s[16:17]
	s_cbranch_vccnz .LBB45_23
; %bb.7:
	s_load_dwordx8 s[24:31], s[0:1], 0x20
	s_load_dword s5, s[0:1], 0x40
	s_waitcnt lgkmcnt(0)
	s_mul_hi_u32 s15, s6, s24
	s_add_i32 s15, s15, s6
	s_lshr_b32 s20, s15, s25
	s_mul_i32 s15, s20, s26
	s_sub_i32 s15, s6, s15
	s_mul_hi_u32 s16, s15, s27
	s_add_i32 s16, s15, s16
	s_lshr_b32 s21, s16, s28
	s_mul_i32 s16, s21, s29
	s_sub_i32 s15, s15, s16
	s_mul_hi_u32 s16, s15, s30
	s_add_i32 s16, s15, s16
	s_lshr_b32 s16, s16, s31
	s_mul_i32 s5, s16, s5
	s_sub_i32 s5, s15, s5
	s_mul_hi_u32 s15, s5, s12
	s_add_i32 s5, s5, s15
	s_lshr_b32 s23, s5, s13
	s_lshl_b32 s5, s23, 2
	s_lshl_b32 s24, s16, 1
	s_add_i32 s5, s5, s3
	s_cmp_lt_i32 s5, s8
	s_cselect_b64 s[16:17], -1, 0
	s_add_i32 s24, s24, s4
	s_cmp_lt_i32 s24, s10
	s_cselect_b64 s[18:19], -1, 0
	s_and_b64 s[16:17], s[16:17], s[18:19]
	s_andn2_b64 vcc, exec, s[16:17]
	s_cbranch_vccnz .LBB45_23
; %bb.8:
	s_load_dwordx4 s[16:19], s[0:1], 0x0
	s_mov_b32 s0, 0
	s_lshl_b32 s15, s3, 1
	s_lshl_b32 s26, s22, 5
	s_mov_b32 s27, s0
	s_add_i32 s15, s15, s4
	s_lshl_b64 s[4:5], s[26:27], 2
	s_waitcnt lgkmcnt(0)
	s_add_u32 s4, s18, s4
	s_mul_i32 s1, s20, s8
	s_addc_u32 s5, s19, s5
	s_mul_i32 s21, s21, s10
	s_add_i32 s1, s1, s3
	s_mul_i32 s1, s1, s9
	s_add_i32 s3, s24, s21
	;; [unrolled: 2-line block ×3, first 2 shown]
	s_mulk_i32 s8, 0x1c0
	s_mulk_i32 s1, 0x70
	s_add_i32 s8, s8, s1
	v_add_u32_e32 v4, s8, v0
	v_mov_b32_e32 v2, s16
	v_mov_b32_e32 v3, s17
	v_ashrrev_i32_e32 v5, 31, v4
	v_lshl_add_u64 v[2:3], v[4:5], 2, v[2:3]
	global_load_dword v1, v[2:3], off
	v_cvt_f32_u32_e32 v4, s22
	s_lshl_b32 s1, s2, 3
	s_add_i32 s8, s15, s1
	s_ashr_i32 s9, s8, 31
	s_lshl_b64 s[8:9], s[8:9], 3
	v_rcp_iflag_f32_e32 v4, v4
	s_add_u32 s8, s18, s8
	s_addc_u32 s9, s19, s9
	s_load_dwordx2 s[8:9], s[8:9], 0x0
	v_mul_f32_e32 v4, 0x4f7ffffe, v4
	v_cvt_u32_f32_e32 v7, v4
	s_mul_i32 s1, s15, 0x70
	s_add_i32 s21, s2, -1
	v_add_u32_e32 v6, s1, v0
	s_waitcnt lgkmcnt(0)
	v_mov_b32_e32 v0, s9
	v_mov_b32_e32 v9, s8
	s_mov_b32 s10, 0x3fb8aa3b
	s_mov_b32 s20, 0xc2ce8ed0
	s_mov_b32 s23, 0x42b17218
	s_mov_b32 s24, 0xc1a00000
	v_mov_b32_e32 v8, 0x7f800000
	s_mul_hi_i32 s1, s21, s11
	s_cmp_lg_u64 s[0:1], 0
	s_mul_i32 s16, s21, s11
	s_cbranch_scc0 .LBB45_19
.LBB45_9:
	s_add_u32 s2, s22, 0
	s_addc_u32 s3, 0, 0
	s_xor_b64 s[2:3], s[2:3], 0
	v_cvt_f32_u32_e32 v4, s2
	v_cvt_f32_u32_e32 v5, s3
	s_sub_u32 s17, 0, s2
	s_subb_u32 s25, 0, s3
	v_fmac_f32_e32 v4, 0x4f800000, v5
	v_rcp_f32_e32 v4, v4
	s_nop 0
	v_mul_f32_e32 v4, 0x5f7ffffc, v4
	v_mul_f32_e32 v5, 0x2f800000, v4
	v_trunc_f32_e32 v5, v5
	v_fmac_f32_e32 v4, 0xcf800000, v5
	v_cvt_u32_f32_e32 v5, v5
	v_cvt_u32_f32_e32 v4, v4
	v_readfirstlane_b32 s26, v5
	v_readfirstlane_b32 s8, v4
	s_mul_i32 s9, s17, s26
	s_mul_hi_u32 s28, s17, s8
	s_mul_i32 s27, s25, s8
	s_add_i32 s9, s28, s9
	s_mul_i32 s29, s17, s8
	s_add_i32 s9, s9, s27
	s_mul_i32 s28, s8, s9
	s_mul_hi_u32 s30, s8, s29
	s_mul_hi_u32 s27, s8, s9
	s_add_u32 s28, s30, s28
	s_addc_u32 s27, 0, s27
	s_mul_hi_u32 s31, s26, s29
	s_mul_i32 s29, s26, s29
	s_add_u32 s28, s28, s29
	s_mul_hi_u32 s30, s26, s9
	s_addc_u32 s27, s27, s31
	s_addc_u32 s28, s30, 0
	s_mul_i32 s9, s26, s9
	s_add_u32 s9, s27, s9
	s_addc_u32 s27, 0, s28
	s_add_u32 s28, s8, s9
	s_cselect_b64 s[8:9], -1, 0
	s_cmp_lg_u64 s[8:9], 0
	s_addc_u32 s26, s26, s27
	s_mul_i32 s8, s17, s26
	s_mul_hi_u32 s9, s17, s28
	s_add_i32 s8, s9, s8
	s_mul_i32 s25, s25, s28
	s_add_i32 s8, s8, s25
	s_mul_i32 s17, s17, s28
	s_mul_hi_u32 s25, s26, s17
	s_mul_i32 s27, s26, s17
	s_mul_i32 s30, s28, s8
	s_mul_hi_u32 s17, s28, s17
	s_mul_hi_u32 s29, s28, s8
	s_add_u32 s17, s17, s30
	s_addc_u32 s29, 0, s29
	s_add_u32 s17, s17, s27
	s_mul_hi_u32 s9, s26, s8
	s_addc_u32 s17, s29, s25
	s_addc_u32 s9, s9, 0
	s_mul_i32 s8, s26, s8
	s_add_u32 s8, s17, s8
	s_addc_u32 s17, 0, s9
	s_add_u32 s25, s28, s8
	s_cselect_b64 s[8:9], -1, 0
	s_cmp_lg_u64 s[8:9], 0
	s_addc_u32 s17, s26, s17
	s_ashr_i32 s8, s1, 31
	s_add_u32 s26, s16, s8
	s_mov_b32 s9, s8
	s_addc_u32 s27, s1, s8
	s_xor_b64 s[26:27], s[26:27], s[8:9]
	s_mul_i32 s28, s26, s17
	s_mul_hi_u32 s29, s26, s25
	s_mul_hi_u32 s1, s26, s17
	s_add_u32 s28, s29, s28
	s_addc_u32 s1, 0, s1
	s_mul_hi_u32 s30, s27, s25
	s_mul_i32 s25, s27, s25
	s_add_u32 s25, s28, s25
	s_mul_hi_u32 s29, s27, s17
	s_addc_u32 s1, s1, s30
	s_addc_u32 s25, s29, 0
	s_mul_i32 s17, s27, s17
	s_add_u32 s1, s1, s17
	s_addc_u32 s17, 0, s25
	s_mul_i32 s25, s2, s17
	s_mul_hi_u32 s28, s2, s1
	s_add_i32 s25, s28, s25
	s_mul_i32 s28, s3, s1
	s_add_i32 s25, s25, s28
	s_sub_i32 s30, s27, s25
	s_mul_i32 s28, s2, s1
	s_sub_u32 s26, s26, s28
	s_cselect_b64 s[28:29], -1, 0
	s_cmp_lg_u64 s[28:29], 0
	s_subb_u32 s33, s30, s3
	s_sub_u32 s34, s26, s2
	s_cselect_b64 s[30:31], -1, 0
	s_cmp_lg_u64 s[30:31], 0
	s_subb_u32 s30, s33, 0
	s_cmp_ge_u32 s30, s3
	s_cselect_b32 s31, -1, 0
	s_cmp_ge_u32 s34, s2
	s_cselect_b32 s33, -1, 0
	s_cmp_eq_u32 s30, s3
	s_cselect_b32 s30, s33, s31
	s_add_u32 s31, s1, 1
	s_addc_u32 s33, s17, 0
	s_add_u32 s34, s1, 2
	s_addc_u32 s35, s17, 0
	s_cmp_lg_u32 s30, 0
	s_cselect_b32 s30, s34, s31
	s_cselect_b32 s31, s35, s33
	s_cmp_lg_u64 s[28:29], 0
	s_subb_u32 s25, s27, s25
	s_cmp_ge_u32 s25, s3
	s_cselect_b32 s27, -1, 0
	s_cmp_ge_u32 s26, s2
	s_cselect_b32 s2, -1, 0
	s_cmp_eq_u32 s25, s3
	s_cselect_b32 s2, s2, s27
	s_cmp_lg_u32 s2, 0
	s_cselect_b32 s3, s31, s17
	s_cselect_b32 s2, s30, s1
	s_xor_b64 s[8:9], s[8:9], 0
	s_xor_b64 s[2:3], s[2:3], s[8:9]
	s_sub_u32 s8, s2, s8
	s_cbranch_execnz .LBB45_11
.LBB45_10:
	s_sub_i32 s1, 0, s22
	v_readfirstlane_b32 s2, v7
	s_mul_i32 s1, s1, s2
	s_mul_hi_u32 s1, s2, s1
	s_add_i32 s2, s2, s1
	s_mul_hi_u32 s1, s16, s2
	s_mul_i32 s3, s1, s22
	s_sub_i32 s3, s16, s3
	s_add_i32 s2, s1, 1
	s_sub_i32 s8, s3, s22
	s_cmp_ge_u32 s3, s22
	s_cselect_b32 s1, s2, s1
	s_cselect_b32 s3, s8, s3
	s_add_i32 s2, s1, 1
	s_cmp_ge_u32 s3, s22
	s_cselect_b32 s8, s2, s1
.LBB45_11:
	s_cmp_lg_u32 s6, s8
	s_cbranch_scc0 .LBB45_15
; %bb.12:
	s_add_i32 s1, s21, s22
	s_lshl_b32 s1, s1, 3
	s_add_i32 s2, s1, s15
	s_mov_b32 s3, s0
	s_lshl_b64 s[2:3], s[2:3], 3
	s_add_u32 s16, s18, s2
	s_mul_hi_u32 s1, s8, s12
	s_addc_u32 s17, s19, s3
	s_add_i32 s1, s1, s8
	s_lshr_b32 s1, s1, s13
	s_mul_i32 s2, s1, s14
	s_cmp_eq_u32 s2, s8
	s_cselect_b64 s[2:3], -1, 0
	s_cmp_lt_u32 s1, s7
	s_cselect_b64 s[26:27], -1, 0
	s_or_b64 s[26:27], s[26:27], s[2:3]
	s_mov_b64 s[2:3], -1
	s_and_b64 vcc, exec, s[26:27]
	s_mov_b32 s1, s21
	s_mov_b32 s25, s6
	s_cbranch_vccnz .LBB45_14
; %bb.13:
	s_add_i32 s1, s21, -1
	s_mov_b64 s[2:3], 0
	s_mov_b32 s25, s8
.LBB45_14:
	s_mul_i32 s8, s21, 0x380
	v_add_u32_e32 v4, s8, v6
	v_ashrrev_i32_e32 v5, 31, v4
	v_lshl_add_u64 v[4:5], v[4:5], 2, s[4:5]
	global_load_dword v5, v[4:5], off
	s_load_dwordx2 s[8:9], s[16:17], 0x0
	v_max_f32_e32 v4, v9, v9
	s_waitcnt lgkmcnt(0)
	v_max_f32_e64 v10, s8, s8
	v_max_f32_e32 v10, v4, v10
	v_sub_f32_e32 v11, v9, v10
	v_sub_f32_e32 v13, s8, v10
	v_mul_f32_e32 v4, 0x3fb8aa3b, v11
	v_mul_f32_e32 v12, 0x3fb8aa3b, v13
	v_fma_f32 v14, v11, s10, -v4
	v_rndne_f32_e32 v15, v4
	v_fma_f32 v16, v13, s10, -v12
	v_rndne_f32_e32 v17, v12
	v_fmac_f32_e32 v14, 0x32a5705f, v11
	v_sub_f32_e32 v4, v4, v15
	v_fmac_f32_e32 v16, 0x32a5705f, v13
	v_sub_f32_e32 v12, v12, v17
	v_add_f32_e32 v4, v4, v14
	v_cvt_i32_f32_e32 v15, v15
	v_add_f32_e32 v12, v12, v16
	v_exp_f32_e32 v14, v4
	v_cvt_i32_f32_e32 v17, v17
	v_exp_f32_e32 v12, v12
	v_cmp_ngt_f32_e32 vcc, s20, v11
	v_ldexp_f32 v14, v14, v15
	v_mov_b32_e32 v4, s9
	v_ldexp_f32 v12, v12, v17
	v_cndmask_b32_e32 v14, 0, v14, vcc
	v_cmp_ngt_f32_e32 vcc, s20, v13
	s_nop 1
	v_cndmask_b32_e32 v12, 0, v12, vcc
	v_cmp_nlt_f32_e32 vcc, s23, v11
	s_nop 1
	v_cndmask_b32_e32 v14, v8, v14, vcc
	v_cmp_nlt_f32_e32 vcc, s23, v13
	s_nop 1
	v_cndmask_b32_e32 v15, v8, v12, vcc
	v_cmp_le_f32_e32 vcc, s24, v11
	s_nop 1
	v_cndmask_b32_e32 v12, 0, v14, vcc
	v_cmp_le_f32_e32 vcc, s24, v13
	s_nop 1
	v_cndmask_b32_e32 v14, 0, v15, vcc
	s_waitcnt vmcnt(0)
	v_pk_mul_f32 v[4:5], v[4:5], v[14:15] op_sel_hi:[1,0]
	s_nop 0
	v_pk_fma_f32 v[4:5], v[0:1], v[12:13], v[4:5] op_sel_hi:[1,0,1]
	s_cbranch_execz .LBB45_16
	s_branch .LBB45_17
.LBB45_15:
                                        ; implicit-def: $vgpr4_vgpr5
                                        ; implicit-def: $sgpr2_sgpr3
                                        ; implicit-def: $vgpr10
                                        ; implicit-def: $sgpr1
                                        ; implicit-def: $sgpr25
.LBB45_16:
	s_add_i32 s1, s21, -1
	s_mov_b64 s[2:3], 0
	s_mov_b32 s25, s6
	v_mov_b32_e32 v10, v9
	s_waitcnt vmcnt(0)
	v_mov_b64_e32 v[4:5], v[0:1]
.LBB45_17:
	s_andn2_b64 vcc, exec, s[2:3]
	s_cbranch_vccz .LBB45_22
; %bb.18:
	s_mov_b32 s6, s25
	s_mov_b32 s21, s1
	v_mov_b32_e32 v9, v10
	s_waitcnt vmcnt(0)
	v_mov_b64_e32 v[0:1], v[4:5]
	s_mul_hi_i32 s1, s21, s11
	s_cmp_lg_u64 s[0:1], 0
	s_mul_i32 s16, s21, s11
	s_cbranch_scc1 .LBB45_9
.LBB45_19:
                                        ; implicit-def: $sgpr8_sgpr9
	s_branch .LBB45_10
.LBB45_20:
                                        ; implicit-def: $sgpr6_sgpr7
	s_load_dwordx4 s[12:15], s[0:1], 0x44
	s_branch .LBB45_2
.LBB45_21:
                                        ; implicit-def: $sgpr18_sgpr19
	s_branch .LBB45_5
.LBB45_22:
	v_div_scale_f32 v0, s[0:1], v4, v4, v5
	s_waitcnt vmcnt(0)
	v_rcp_f32_e32 v1, v0
	v_div_scale_f32 v6, vcc, v5, v4, v5
	v_fma_f32 v7, -v0, v1, 1.0
	v_fmac_f32_e32 v1, v7, v1
	v_mul_f32_e32 v7, v6, v1
	v_fma_f32 v8, -v0, v7, v6
	v_fmac_f32_e32 v7, v8, v1
	v_fma_f32 v0, -v0, v7, v6
	v_div_fmas_f32 v0, v0, v1, v7
	v_div_fixup_f32 v0, v0, v4, v5
	global_store_dword v[2:3], v0, off
.LBB45_23:
	s_endpgm
	.section	.rodata,"a",@progbits
	.p2align	6, 0x0
	.amdhsa_kernel _ZL33flash_attn_stream_k_fixup_generalILi112ELi4ELi2EEvPfPK15HIP_vector_typeIfLj2EEiiiiS1_IjLj3EES5_S5_S5_
		.amdhsa_group_segment_fixed_size 0
		.amdhsa_private_segment_fixed_size 0
		.amdhsa_kernarg_size 336
		.amdhsa_user_sgpr_count 2
		.amdhsa_user_sgpr_dispatch_ptr 0
		.amdhsa_user_sgpr_queue_ptr 0
		.amdhsa_user_sgpr_kernarg_segment_ptr 1
		.amdhsa_user_sgpr_dispatch_id 0
		.amdhsa_user_sgpr_kernarg_preload_length 0
		.amdhsa_user_sgpr_kernarg_preload_offset 0
		.amdhsa_user_sgpr_private_segment_size 0
		.amdhsa_uses_dynamic_stack 0
		.amdhsa_enable_private_segment 0
		.amdhsa_system_sgpr_workgroup_id_x 1
		.amdhsa_system_sgpr_workgroup_id_y 1
		.amdhsa_system_sgpr_workgroup_id_z 1
		.amdhsa_system_sgpr_workgroup_info 0
		.amdhsa_system_vgpr_workitem_id 0
		.amdhsa_next_free_vgpr 18
		.amdhsa_next_free_sgpr 36
		.amdhsa_accum_offset 20
		.amdhsa_reserve_vcc 1
		.amdhsa_float_round_mode_32 0
		.amdhsa_float_round_mode_16_64 0
		.amdhsa_float_denorm_mode_32 3
		.amdhsa_float_denorm_mode_16_64 3
		.amdhsa_dx10_clamp 1
		.amdhsa_ieee_mode 1
		.amdhsa_fp16_overflow 0
		.amdhsa_tg_split 0
		.amdhsa_exception_fp_ieee_invalid_op 0
		.amdhsa_exception_fp_denorm_src 0
		.amdhsa_exception_fp_ieee_div_zero 0
		.amdhsa_exception_fp_ieee_overflow 0
		.amdhsa_exception_fp_ieee_underflow 0
		.amdhsa_exception_fp_ieee_inexact 0
		.amdhsa_exception_int_div_zero 0
	.end_amdhsa_kernel
	.section	.text._ZL33flash_attn_stream_k_fixup_generalILi112ELi4ELi2EEvPfPK15HIP_vector_typeIfLj2EEiiiiS1_IjLj3EES5_S5_S5_,"axG",@progbits,_ZL33flash_attn_stream_k_fixup_generalILi112ELi4ELi2EEvPfPK15HIP_vector_typeIfLj2EEiiiiS1_IjLj3EES5_S5_S5_,comdat
.Lfunc_end45:
	.size	_ZL33flash_attn_stream_k_fixup_generalILi112ELi4ELi2EEvPfPK15HIP_vector_typeIfLj2EEiiiiS1_IjLj3EES5_S5_S5_, .Lfunc_end45-_ZL33flash_attn_stream_k_fixup_generalILi112ELi4ELi2EEvPfPK15HIP_vector_typeIfLj2EEiiiiS1_IjLj3EES5_S5_S5_
                                        ; -- End function
	.set _ZL33flash_attn_stream_k_fixup_generalILi112ELi4ELi2EEvPfPK15HIP_vector_typeIfLj2EEiiiiS1_IjLj3EES5_S5_S5_.num_vgpr, 18
	.set _ZL33flash_attn_stream_k_fixup_generalILi112ELi4ELi2EEvPfPK15HIP_vector_typeIfLj2EEiiiiS1_IjLj3EES5_S5_S5_.num_agpr, 0
	.set _ZL33flash_attn_stream_k_fixup_generalILi112ELi4ELi2EEvPfPK15HIP_vector_typeIfLj2EEiiiiS1_IjLj3EES5_S5_S5_.numbered_sgpr, 36
	.set _ZL33flash_attn_stream_k_fixup_generalILi112ELi4ELi2EEvPfPK15HIP_vector_typeIfLj2EEiiiiS1_IjLj3EES5_S5_S5_.num_named_barrier, 0
	.set _ZL33flash_attn_stream_k_fixup_generalILi112ELi4ELi2EEvPfPK15HIP_vector_typeIfLj2EEiiiiS1_IjLj3EES5_S5_S5_.private_seg_size, 0
	.set _ZL33flash_attn_stream_k_fixup_generalILi112ELi4ELi2EEvPfPK15HIP_vector_typeIfLj2EEiiiiS1_IjLj3EES5_S5_S5_.uses_vcc, 1
	.set _ZL33flash_attn_stream_k_fixup_generalILi112ELi4ELi2EEvPfPK15HIP_vector_typeIfLj2EEiiiiS1_IjLj3EES5_S5_S5_.uses_flat_scratch, 0
	.set _ZL33flash_attn_stream_k_fixup_generalILi112ELi4ELi2EEvPfPK15HIP_vector_typeIfLj2EEiiiiS1_IjLj3EES5_S5_S5_.has_dyn_sized_stack, 0
	.set _ZL33flash_attn_stream_k_fixup_generalILi112ELi4ELi2EEvPfPK15HIP_vector_typeIfLj2EEiiiiS1_IjLj3EES5_S5_S5_.has_recursion, 0
	.set _ZL33flash_attn_stream_k_fixup_generalILi112ELi4ELi2EEvPfPK15HIP_vector_typeIfLj2EEiiiiS1_IjLj3EES5_S5_S5_.has_indirect_call, 0
	.section	.AMDGPU.csdata,"",@progbits
; Kernel info:
; codeLenInByte = 2944
; TotalNumSgprs: 42
; NumVgprs: 18
; NumAgprs: 0
; TotalNumVgprs: 18
; ScratchSize: 0
; MemoryBound: 0
; FloatMode: 240
; IeeeMode: 1
; LDSByteSize: 0 bytes/workgroup (compile time only)
; SGPRBlocks: 5
; VGPRBlocks: 2
; NumSGPRsForWavesPerEU: 42
; NumVGPRsForWavesPerEU: 18
; AccumOffset: 20
; Occupancy: 8
; WaveLimiterHint : 0
; COMPUTE_PGM_RSRC2:SCRATCH_EN: 0
; COMPUTE_PGM_RSRC2:USER_SGPR: 2
; COMPUTE_PGM_RSRC2:TRAP_HANDLER: 0
; COMPUTE_PGM_RSRC2:TGID_X_EN: 1
; COMPUTE_PGM_RSRC2:TGID_Y_EN: 1
; COMPUTE_PGM_RSRC2:TGID_Z_EN: 1
; COMPUTE_PGM_RSRC2:TIDIG_COMP_CNT: 0
; COMPUTE_PGM_RSRC3_GFX90A:ACCUM_OFFSET: 4
; COMPUTE_PGM_RSRC3_GFX90A:TG_SPLIT: 0
	.section	.text._ZL15flash_attn_tileILi112ELi112ELi2ELi2ELb0EEvPKcS1_S1_S1_S1_PKiPfP15HIP_vector_typeIfLj2EEffffjfiS5_IjLj3EEiiiiiiiiiiiliiliiiiil,"axG",@progbits,_ZL15flash_attn_tileILi112ELi112ELi2ELi2ELb0EEvPKcS1_S1_S1_S1_PKiPfP15HIP_vector_typeIfLj2EEffffjfiS5_IjLj3EEiiiiiiiiiiiliiliiiiil,comdat
	.globl	_ZL15flash_attn_tileILi112ELi112ELi2ELi2ELb0EEvPKcS1_S1_S1_S1_PKiPfP15HIP_vector_typeIfLj2EEffffjfiS5_IjLj3EEiiiiiiiiiiiliiliiiiil ; -- Begin function _ZL15flash_attn_tileILi112ELi112ELi2ELi2ELb0EEvPKcS1_S1_S1_S1_PKiPfP15HIP_vector_typeIfLj2EEffffjfiS5_IjLj3EEiiiiiiiiiiiliiliiiiil
	.p2align	8
	.type	_ZL15flash_attn_tileILi112ELi112ELi2ELi2ELb0EEvPKcS1_S1_S1_S1_PKiPfP15HIP_vector_typeIfLj2EEffffjfiS5_IjLj3EEiiiiiiiiiiiliiliiiiil,@function
_ZL15flash_attn_tileILi112ELi112ELi2ELi2ELb0EEvPKcS1_S1_S1_S1_PKiPfP15HIP_vector_typeIfLj2EEffffjfiS5_IjLj3EEiiiiiiiiiiiliiliiiiil: ; @_ZL15flash_attn_tileILi112ELi112ELi2ELi2ELb0EEvPKcS1_S1_S1_S1_PKiPfP15HIP_vector_typeIfLj2EEffffjfiS5_IjLj3EEiiiiiiiiiiiliiliiiiil
; %bb.0:
	s_load_dwordx4 s[24:27], s[0:1], 0x5c
	s_load_dwordx2 s[28:29], s[0:1], 0x80
	s_mov_b64 s[30:31], 0
	s_waitcnt lgkmcnt(0)
	s_lshr_b32 s5, s27, 31
	s_add_i32 s5, s27, s5
	s_ashr_i32 s5, s5, 1
	v_cvt_f32_u32_e32 v1, s5
	s_sub_i32 s6, 0, s5
	v_rcp_iflag_f32_e32 v1, v1
	s_nop 0
	v_mul_f32_e32 v1, 0x4f7ffffe, v1
	v_cvt_u32_f32_e32 v1, v1
	s_nop 0
	v_readfirstlane_b32 s7, v1
	s_mul_i32 s6, s6, s7
	s_mul_hi_u32 s6, s7, s6
	s_add_i32 s7, s7, s6
	s_mul_hi_u32 s6, s4, s7
	s_mul_i32 s7, s6, s5
	s_sub_i32 s7, s4, s7
	s_add_i32 s8, s6, 1
	s_sub_i32 s9, s7, s5
	s_cmp_ge_u32 s7, s5
	s_cselect_b32 s6, s8, s6
	s_cselect_b32 s7, s9, s7
	s_add_i32 s8, s6, 1
	s_cmp_ge_u32 s7, s5
	s_cselect_b32 s33, s8, s6
	s_abs_i32 s5, s29
	v_cvt_f32_u32_e32 v1, s5
	s_sub_i32 s8, 0, s5
	s_abs_i32 s7, s27
	s_lshl_b32 s6, s4, 1
	v_rcp_iflag_f32_e32 v1, v1
	s_xor_b32 s4, s27, s29
	s_ashr_i32 s4, s4, 31
	v_mul_f32_e32 v1, 0x4f7ffffe, v1
	v_cvt_u32_f32_e32 v1, v1
	s_nop 0
	v_readfirstlane_b32 s9, v1
	s_mul_i32 s8, s8, s9
	s_mul_hi_u32 s8, s9, s8
	s_add_i32 s9, s9, s8
	s_mul_hi_u32 s8, s7, s9
	s_mul_i32 s9, s8, s5
	s_sub_i32 s7, s7, s9
	s_add_i32 s10, s8, 1
	s_sub_i32 s9, s7, s5
	s_cmp_ge_u32 s7, s5
	s_cselect_b32 s8, s10, s8
	s_cselect_b32 s7, s9, s7
	s_add_i32 s9, s8, 1
	s_cmp_ge_u32 s7, s5
	s_cselect_b32 s5, s9, s8
	s_xor_b32 s5, s5, s4
	s_sub_i32 s35, s5, s4
	s_abs_i32 s34, s35
	v_cvt_f32_u32_e32 v1, s34
	s_load_dwordx16 s[8:23], s[0:1], 0x0
	s_load_dwordx2 s[4:5], s[0:1], 0xb8
	s_mul_i32 s7, s33, s27
	v_rcp_iflag_f32_e32 v1, v1
	s_waitcnt lgkmcnt(0)
	s_cmp_eq_u64 s[14:15], 0
	v_mul_f32_e32 v1, 0x4f7ffffe, v1
	v_cvt_u32_f32_e32 v1, v1
	s_nop 0
	v_readfirstlane_b32 s37, v1
	s_cbranch_scc1 .LBB46_2
; %bb.1:
	s_abs_i32 s4, s4
	v_cvt_f32_u32_e32 v1, s4
	s_sub_i32 s38, 0, s4
	s_abs_i32 s36, s33
	s_ashr_i32 s29, s33, 31
	v_rcp_iflag_f32_e32 v1, v1
	s_load_dwordx2 s[30:31], s[0:1], 0xc8
	v_mul_f32_e32 v1, 0x4f7ffffe, v1
	v_cvt_u32_f32_e32 v1, v1
	s_nop 0
	v_readfirstlane_b32 s39, v1
	s_mul_i32 s38, s38, s39
	s_mul_hi_u32 s38, s39, s38
	s_add_i32 s39, s39, s38
	s_mul_hi_u32 s38, s36, s39
	s_mul_i32 s38, s38, s4
	s_sub_i32 s36, s36, s38
	s_sub_i32 s38, s36, s4
	s_cmp_ge_u32 s36, s4
	s_cselect_b32 s36, s38, s36
	s_sub_i32 s38, s36, s4
	s_cmp_ge_u32 s36, s4
	s_cselect_b32 s4, s38, s36
	s_xor_b32 s4, s4, s29
	s_sub_i32 s4, s4, s29
	s_ashr_i32 s29, s4, 31
	s_waitcnt lgkmcnt(0)
	s_mul_hi_u32 s36, s30, s4
	s_mul_i32 s29, s30, s29
	s_mul_i32 s31, s31, s4
	s_add_i32 s29, s36, s29
	s_add_i32 s29, s29, s31
	s_mul_i32 s4, s30, s4
	s_add_u32 s30, s14, s4
	s_addc_u32 s31, s15, s29
.LBB46_2:
	v_bfe_u32 v1, v0, 10, 10
	v_and_b32_e32 v40, 0x3ff, v0
	s_movk_i32 s4, 0xe0
	v_mov_b32_e32 v0, 0x1040
	s_sub_i32 s29, s6, s7
	s_lshl_b32 s36, s2, 1
	v_cmp_gt_u32_e64 s[14:15], 28, v40
	v_mad_u32_u24 v65, v1, s4, v0
	v_lshlrev_b32_e32 v67, 3, v40
	v_and_b32_e32 v41, 1, v1
	v_lshrrev_b32_e32 v66, 1, v1
	s_and_saveexec_b64 s[6:7], s[14:15]
	s_cbranch_execz .LBB46_4
; %bb.3:
	s_load_dwordx4 s[40:43], s[0:1], 0x70
	v_add_u32_e32 v0, s36, v66
	v_mul_hi_u32 v4, s24, v0
	v_add_u32_e32 v4, v0, v4
	v_lshrrev_b32_e32 v4, s25, v4
	s_waitcnt lgkmcnt(0)
	s_mul_i32 s4, s33, s42
	s_ashr_i32 s42, s4, 31
	s_mul_i32 s39, s29, s41
	s_add_u32 s4, s8, s4
	s_addc_u32 s9, s9, s42
	s_ashr_i32 s42, s39, 31
	s_add_u32 s8, s4, s39
	s_mov_b32 s38, s41
	s_addc_u32 s9, s9, s42
	s_ashr_i32 s39, s41, 31
	s_lshr_b64 s[42:43], s[38:39], 2
	s_lshr_b32 s4, s39, 2
	v_mul_lo_u32 v3, s4, v41
	v_mul_lo_u32 v2, s42, v41
	s_ashr_i32 s41, s40, 31
	v_mul_lo_u32 v4, v4, s26
	v_lshl_add_u64 v[2:3], v[2:3], 2, s[8:9]
	s_lshr_b64 s[8:9], s[40:41], 2
	v_sub_u32_e32 v6, v0, v4
	v_mad_u64_u32 v[4:5], s[8:9], s8, v6, 0
	v_mov_b32_e32 v0, v5
	s_lshr_b32 s4, s41, 2
	v_mad_u64_u32 v[6:7], s[8:9], s4, v6, v[0:1]
	v_mov_b32_e32 v5, v6
	v_lshl_add_u64 v[2:3], v[4:5], 2, v[2:3]
	v_lshlrev_b32_e32 v4, 4, v40
	v_mov_b32_e32 v5, 0
	v_lshl_add_u64 v[2:3], v[2:3], 0, v[4:5]
	global_load_dwordx4 v[2:5], v[2:3], off
	s_load_dword s4, s[0:1], 0x40
	v_add_u32_e32 v0, v65, v67
	s_waitcnt vmcnt(0) lgkmcnt(0)
	v_fma_mixlo_f16 v6, s4, v2, 0
	v_mov_b32_e32 v2, v5
	v_pk_mul_f32 v[2:3], s[4:5], v[2:3] op_sel_hi:[0,1]
	v_cvt_pk_f16_f32 v2, v2, v3
	v_fma_mixlo_f16 v4, s4, v4, 0
	v_and_b32_e32 v5, 0xffff, v6
	v_lshlrev_b32_e32 v3, 16, v2
	v_and_b32_e32 v2, 0xffff0000, v2
	v_and_b32_e32 v4, 0xffff, v4
	v_or_b32_e32 v2, v2, v5
	v_or3_b32 v3, v3, v4, 0
	v_or3_b32 v2, 0, 0, v2
	ds_write_b64 v0, v[2:3]
.LBB46_4:
	s_or_b64 exec, exec, s[6:7]
	s_cmp_eq_u64 s[18:19], 0
	s_waitcnt lgkmcnt(0)
	s_barrier
	s_cbranch_scc1 .LBB46_6
; %bb.5:
	s_load_dword s4, s[0:1], 0xd0
	s_mov_b32 s7, 0
	s_waitcnt lgkmcnt(0)
	s_mul_i32 s4, s4, s33
	s_add_i32 s6, s4, s2
	s_lshl_b64 s[6:7], s[6:7], 2
	s_add_u32 s6, s18, s6
	s_addc_u32 s7, s19, s7
	s_load_dword s28, s[6:7], 0x0
.LBB46_6:
	s_lshl_b32 s2, s3, 5
	s_waitcnt lgkmcnt(0)
	s_cmp_lt_i32 s2, s28
	v_mbcnt_lo_u32_b32 v0, -1, 0
	s_cbranch_scc1 .LBB46_12
; %bb.7:
	v_mbcnt_hi_u32_b32 v51, -1, v0
	v_and_b32_e32 v2, 0x60, v51
	v_add_u32_e32 v81, 32, v2
	v_xor_b32_e32 v82, 16, v51
	v_xor_b32_e32 v83, 8, v51
	v_xor_b32_e32 v84, 4, v51
	v_xor_b32_e32 v85, 2, v51
	v_xor_b32_e32 v86, 1, v51
	s_cbranch_execz .LBB46_13
; %bb.8:
	v_mov_b32_e32 v68, 0
	v_mov_b32_e32 v87, 0
	;; [unrolled: 1-line block ×4, first 2 shown]
.LBB46_9:
	v_cmp_lt_i32_e32 vcc, v82, v81
	s_cmp_lg_u64 s[16:17], 0
	s_cselect_b64 s[4:5], -1, 0
	v_cndmask_b32_e32 v0, v51, v82, vcc
	v_lshlrev_b32_e32 v0, 2, v0
	ds_bpermute_b32 v0, v0, v87
	v_cmp_lt_i32_e32 vcc, v83, v81
	s_cmp_eq_u32 s3, 0
	s_cselect_b64 s[6:7], -1, 0
	v_cndmask_b32_e32 v1, v51, v83, vcc
	v_lshlrev_b32_e32 v1, 2, v1
	s_waitcnt lgkmcnt(0)
	v_add_f32_e32 v0, v87, v0
	ds_bpermute_b32 v1, v1, v0
	v_cmp_lt_i32_e32 vcc, v84, v81
	s_and_b64 s[4:5], s[6:7], s[4:5]
	s_waitcnt lgkmcnt(0)
	v_add_f32_e32 v0, v0, v1
	v_cndmask_b32_e32 v2, v51, v84, vcc
	v_lshlrev_b32_e32 v2, 2, v2
	ds_bpermute_b32 v1, v2, v0
	v_cmp_lt_i32_e32 vcc, v85, v81
	s_waitcnt lgkmcnt(0)
	v_add_f32_e32 v0, v0, v1
	v_cndmask_b32_e32 v2, v51, v85, vcc
	v_lshlrev_b32_e32 v2, 2, v2
	ds_bpermute_b32 v1, v2, v0
	v_cmp_lt_i32_e32 vcc, v86, v81
	s_waitcnt lgkmcnt(0)
	v_add_f32_e32 v0, v0, v1
	v_cndmask_b32_e32 v2, v51, v86, vcc
	v_lshlrev_b32_e32 v2, 2, v2
	ds_bpermute_b32 v1, v2, v0
	s_and_b64 vcc, exec, s[4:5]
	s_waitcnt lgkmcnt(0)
	v_add_f32_e32 v65, v0, v1
	s_cbranch_vccz .LBB46_32
; %bb.10:
	v_add_u32_e32 v0, s29, v41
	v_ashrrev_i32_e32 v1, 31, v0
	v_lshl_add_u64 v[0:1], v[0:1], 2, s[16:17]
	global_load_dword v1, v[0:1], off
	v_max_f32_e32 v0, v64, v64
	s_mov_b32 s2, 0x3fb8aa3b
	s_mov_b32 s4, 0xc2ce8ed0
	s_waitcnt vmcnt(0)
	v_max_f32_e32 v2, v1, v1
	v_max_f32_e32 v0, v0, v2
	v_sub_f32_e32 v2, v64, v0
	v_sub_f32_e32 v1, v1, v0
	v_mul_f32_e32 v3, 0x3fb8aa3b, v2
	v_mul_f32_e32 v4, 0x3fb8aa3b, v1
	v_fma_f32 v5, v2, s2, -v3
	v_rndne_f32_e32 v6, v3
	v_fma_f32 v7, v1, s2, -v4
	v_rndne_f32_e32 v8, v4
	v_fmac_f32_e32 v5, 0x32a5705f, v2
	v_sub_f32_e32 v3, v3, v6
	v_fmac_f32_e32 v7, 0x32a5705f, v1
	v_sub_f32_e32 v4, v4, v8
	v_add_f32_e32 v3, v3, v5
	v_cvt_i32_f32_e32 v6, v6
	v_add_f32_e32 v4, v4, v7
	v_exp_f32_e32 v3, v3
	v_cvt_i32_f32_e32 v8, v8
	v_exp_f32_e32 v4, v4
	v_cmp_ngt_f32_e32 vcc, s4, v2
	v_ldexp_f32 v3, v3, v6
	s_mov_b32 s2, 0x42b17218
	v_ldexp_f32 v4, v4, v8
	v_cndmask_b32_e32 v3, 0, v3, vcc
	v_cmp_ngt_f32_e32 vcc, s4, v1
	v_mov_b32_e32 v5, 0x7f800000
	s_nop 0
	v_cndmask_b32_e32 v4, 0, v4, vcc
	v_cmp_nlt_f32_e32 vcc, s2, v2
	s_nop 1
	v_cndmask_b32_e32 v2, v5, v3, vcc
	v_cvt_f16_f32_e32 v3, v2
	v_cmp_nlt_f32_e32 vcc, s2, v1
	s_nop 1
	v_cndmask_b32_e32 v1, v5, v4, vcc
	v_fmac_f32_e32 v1, v65, v2
	v_mul_u32_u24_e32 v2, 0x10001, v3
	v_pk_mul_f16 v69, v69, v2
	v_pk_mul_f16 v68, v68, v2
	v_mov_b64_e32 v[64:65], v[0:1]
	v_add_u32_e32 v0, s36, v66
	v_cmp_gt_i32_e32 vcc, s26, v0
	s_and_saveexec_b64 s[4:5], vcc
	s_cbranch_execnz .LBB46_33
.LBB46_11:
	s_endpgm
.LBB46_12:
                                        ; implicit-def: $vgpr51
                                        ; implicit-def: $vgpr81
                                        ; implicit-def: $vgpr82
                                        ; implicit-def: $vgpr83
                                        ; implicit-def: $vgpr84
                                        ; implicit-def: $vgpr85
                                        ; implicit-def: $vgpr86
.LBB46_13:
	s_load_dwordx2 s[6:7], s[0:1], 0x8c
	s_load_dwordx4 s[40:43], s[0:1], 0x98
	s_sub_i32 s4, 0, s34
	s_mul_i32 s4, s4, s37
	s_ashr_i32 s44, s5, 1
	s_ashr_i32 s5, s33, 31
	s_mul_hi_u32 s4, s37, s4
	s_waitcnt lgkmcnt(0)
	s_ashr_i32 s38, s6, 2
	s_mul_hi_u32 s6, s40, s33
	s_mul_i32 s39, s40, s5
	s_abs_i32 s18, s29
	s_add_i32 s37, s37, s4
	s_add_i32 s6, s6, s39
	s_mul_i32 s39, s41, s33
	s_mul_hi_u32 s4, s18, s37
	s_ashr_i32 s19, s29, 31
	s_ashr_i32 s35, s35, 31
	;; [unrolled: 1-line block ×3, first 2 shown]
	s_add_i32 s6, s6, s39
	s_mul_i32 s39, s40, s33
	s_add_u32 s10, s10, s39
	s_addc_u32 s6, s11, s6
	s_xor_b32 s11, s19, s35
	s_mul_i32 s19, s4, s34
	s_sub_i32 s18, s18, s19
	s_add_i32 s19, s4, 1
	s_sub_i32 s35, s18, s34
	s_cmp_ge_u32 s18, s34
	s_cselect_b32 s4, s19, s4
	s_cselect_b32 s18, s35, s18
	s_add_i32 s19, s4, 1
	s_cmp_ge_u32 s18, s34
	s_cselect_b32 s4, s19, s4
	s_load_dwordx2 s[8:9], s[0:1], 0xa8
	s_xor_b32 s4, s4, s11
	s_sub_i32 s4, s4, s11
	s_mul_i32 s7, s4, s7
	v_lshrrev_b32_e32 v2, 1, v40
	v_lshlrev_b32_e32 v6, 2, v40
	s_ashr_i32 s11, s7, 31
	v_lshl_add_u32 v3, v1, 5, v40
	v_lshl_add_u32 v5, v1, 4, v2
	v_and_b32_e32 v4, 4, v6
	s_add_u32 s39, s10, s7
	v_cmp_gt_u32_e32 vcc, 32, v3
	v_mul_lo_u32 v46, s38, v3
	v_lshlrev_b32_e32 v3, 7, v5
	v_lshlrev_b32_e32 v9, 2, v4
	s_addc_u32 s40, s6, s11
	s_waitcnt lgkmcnt(0)
	s_mul_hi_u32 s6, s8, s33
	s_mul_i32 s5, s8, s5
	v_or3_b32 v73, v3, v9, 64
	v_add_u32_e32 v3, s36, v66
	s_add_i32 s5, s6, s5
	s_mul_i32 s6, s9, s33
	v_mul_hi_u32 v10, s24, v3
	s_add_i32 s5, s5, s6
	s_mul_i32 s6, s8, s33
	v_add_u32_e32 v10, v3, v10
	s_add_u32 s6, s12, s6
	s_mul_i32 s4, s4, s43
	v_lshrrev_b32_e32 v10, s25, v10
	s_addc_u32 s5, s13, s5
	s_ashr_i32 s7, s4, 31
	v_mul_lo_u32 v10, v10, s26
	s_add_u32 s41, s6, s4
	v_sub_u32_e32 v3, v3, v10
	s_addc_u32 s42, s5, s7
	v_mad_u64_u32 v[50:51], s[6:7], v3, s44, v[40:41]
	v_mov_b32_e32 v3, 0x13c0
	v_lshrrev_b32_e32 v2, 2, v40
	v_lshl_add_u32 v74, v1, 6, v3
	v_lshrrev_b32_e32 v3, 3, v40
	v_lshl_add_u32 v7, v1, 3, v2
	v_lshl_add_u32 v1, v1, 2, v3
	v_mul_u32_u24_e32 v3, 0xe0, v5
	v_and_b32_e32 v2, 12, v6
	v_or_b32_e32 v3, v3, v9
	v_lshlrev_b32_e32 v8, 2, v2
	v_add_u32_e32 v76, 0xc0, v3
	v_mul_u32_u24_e32 v3, 0xe0, v7
	s_movk_i32 s11, 0x80
	v_lshl_or_b32 v70, v7, 7, v8
	v_add3_u32 v77, v3, v8, s11
	v_and_b32_e32 v8, 28, v6
	v_mov_b32_e32 v43, 0
	v_mul_lo_u32 v44, s38, v7
	v_lshlrev_b32_e32 v71, 7, v40
	v_mul_lo_u32 v48, s38, v5
	v_mul_lo_u32 v52, s37, v1
	s_movk_i32 s10, 0xe0
	v_mul_lo_u32 v54, s37, v5
	v_mul_lo_u32 v56, s37, v7
	v_lshlrev_b32_e32 v3, 2, v8
	s_add_u32 s18, s0, 0xd0
	v_lshlrev_b32_e32 v58, 2, v2
	v_cmp_gt_u32_e64 s[4:5], 32, v5
	v_ashrrev_i32_e32 v45, 31, v44
	v_or_b32_e32 v72, 0x60, v71
	v_ashrrev_i32_e32 v47, 31, v46
	v_ashrrev_i32_e32 v49, 31, v48
	v_lshl_add_u32 v75, v40, 1, v74
	v_cmp_gt_u32_e64 s[6:7], 16, v5
	v_cmp_gt_u32_e64 s[8:9], 16, v7
	v_ashrrev_i32_e32 v53, 31, v52
	v_ashrrev_i32_e32 v55, 31, v54
	;; [unrolled: 1-line block ×3, first 2 shown]
	v_mad_u32_u24 v78, v1, s10, v3
	s_addc_u32 s19, s1, 0
	v_mov_b32_e32 v6, 0xfeffffff
	s_mov_b32 s43, 0x3fb8aa3b
	s_mov_b32 s44, 0xc2ce8ed0
	;; [unrolled: 1-line block ×4, first 2 shown]
	v_lshlrev_b32_e32 v42, 2, v8
	v_lshlrev_b32_e32 v60, 2, v4
	v_mov_b32_e32 v62, v58
	v_mov_b32_e32 v63, v43
	v_mbcnt_hi_u32_b32 v51, -1, v0
	v_mov_b32_e32 v79, 0x7f800000
	v_mov_b32_e32 v69, v43
	;; [unrolled: 1-line block ×4, first 2 shown]
.LBB46_14:                              ; =>This Inner Loop Header: Depth=1
	s_mul_hi_i32 s11, s2, s38
	s_mul_i32 s10, s2, s38
	s_lshl_b64 s[10:11], s[10:11], 2
	s_add_u32 s10, s39, s10
	s_addc_u32 s11, s40, s11
	v_lshl_add_u64 v[2:3], v[46:47], 2, s[10:11]
	s_and_saveexec_b64 s[12:13], vcc
	s_cbranch_execz .LBB46_16
; %bb.15:                               ;   in Loop: Header=BB46_14 Depth=1
	global_load_dwordx4 v[8:11], v[2:3], off offset:96
	s_waitcnt vmcnt(0)
	ds_write_b128 v72, v[8:11]
.LBB46_16:                              ;   in Loop: Header=BB46_14 Depth=1
	s_or_b64 exec, exec, s[12:13]
	v_lshl_add_u64 v[0:1], v[48:49], 2, s[10:11]
	s_and_saveexec_b64 s[12:13], s[4:5]
	s_cbranch_execz .LBB46_18
; %bb.17:                               ;   in Loop: Header=BB46_14 Depth=1
	v_mov_b32_e32 v61, v43
	v_lshl_add_u64 v[4:5], v[0:1], 0, v[60:61]
	global_load_dwordx4 v[8:11], v[4:5], off offset:64
	s_waitcnt vmcnt(0)
	ds_write_b128 v73, v[8:11]
.LBB46_18:                              ;   in Loop: Header=BB46_14 Depth=1
	s_or_b64 exec, exec, s[12:13]
	v_lshl_add_u64 v[4:5], v[44:45], 2, s[10:11]
	v_lshl_add_u64 v[4:5], v[4:5], 0, v[62:63]
	global_load_dwordx4 v[8:11], v[4:5], off
	v_mov_b32_e32 v7, 0
	s_waitcnt vmcnt(0)
	ds_write_b128 v70, v[8:11]
	s_waitcnt lgkmcnt(0)
	s_barrier
	ds_read_b128 v[8:11], v71
	ds_read_b128 v[12:15], v65
	s_waitcnt lgkmcnt(0)
	;;#ASMSTART
	v_dot2_f32_f16 v7, v8, v12, v7
	;;#ASMEND
	s_nop 0
	;;#ASMSTART
	v_dot2_f32_f16 v7, v9, v13, v7
	;;#ASMEND
	s_nop 0
	;;#ASMSTART
	v_dot2_f32_f16 v7, v10, v14, v7
	;;#ASMEND
	s_nop 0
	;;#ASMSTART
	v_dot2_f32_f16 v7, v11, v15, v7
	;;#ASMEND
	ds_read_b128 v[8:11], v71 offset:16
	ds_read_b128 v[12:15], v65 offset:16
	s_waitcnt lgkmcnt(0)
	;;#ASMSTART
	v_dot2_f32_f16 v7, v8, v12, v7
	;;#ASMEND
	s_nop 0
	;;#ASMSTART
	v_dot2_f32_f16 v7, v9, v13, v7
	;;#ASMEND
	s_nop 0
	;;#ASMSTART
	v_dot2_f32_f16 v7, v10, v14, v7
	;;#ASMEND
	s_nop 0
	;;#ASMSTART
	v_dot2_f32_f16 v7, v11, v15, v7
	;;#ASMEND
	ds_read_b128 v[8:11], v71 offset:32
	ds_read_b128 v[12:15], v65 offset:32
	;; [unrolled: 18-line block ×6, first 2 shown]
	s_waitcnt lgkmcnt(0)
	;;#ASMSTART
	v_dot2_f32_f16 v7, v8, v12, v7
	;;#ASMEND
	s_nop 0
	;;#ASMSTART
	v_dot2_f32_f16 v7, v9, v13, v7
	;;#ASMEND
	s_nop 0
	;; [unrolled: 4-line block ×3, first 2 shown]
	;;#ASMSTART
	v_dot2_f32_f16 v7, v11, v15, v7
	;;#ASMEND
	s_barrier
	s_and_saveexec_b64 s[10:11], vcc
	s_cbranch_execz .LBB46_20
; %bb.19:                               ;   in Loop: Header=BB46_14 Depth=1
	global_load_dwordx4 v[8:11], v[2:3], off offset:208
	s_waitcnt vmcnt(0)
	ds_write_b128 v72, v[8:11]
.LBB46_20:                              ;   in Loop: Header=BB46_14 Depth=1
	s_or_b64 exec, exec, s[10:11]
	s_and_saveexec_b64 s[10:11], s[4:5]
	s_cbranch_execz .LBB46_22
; %bb.21:                               ;   in Loop: Header=BB46_14 Depth=1
	v_mov_b32_e32 v61, v43
	v_lshl_add_u64 v[0:1], v[0:1], 0, v[60:61]
	global_load_dwordx4 v[0:3], v[0:1], off offset:176
	s_waitcnt vmcnt(0)
	ds_write_b128 v73, v[0:3]
.LBB46_22:                              ;   in Loop: Header=BB46_14 Depth=1
	s_or_b64 exec, exec, s[10:11]
	global_load_dwordx4 v[0:3], v[4:5], off offset:112
	v_add_u32_e32 v4, s2, v50
	v_ashrrev_i32_e32 v5, 31, v4
	v_lshl_add_u64 v[4:5], v[4:5], 1, s[30:31]
	v_xor_b32_e32 v82, 16, v51
	v_xor_b32_e32 v83, 8, v51
	;; [unrolled: 1-line block ×5, first 2 shown]
	s_waitcnt vmcnt(0)
	ds_write_b128 v70, v[0:3]
	s_waitcnt lgkmcnt(0)
	s_barrier
	ds_read_b128 v[0:3], v71
	ds_read_b128 v[8:11], v65 offset:112
	s_waitcnt lgkmcnt(0)
	;;#ASMSTART
	v_dot2_f32_f16 v7, v0, v8, v7
	;;#ASMEND
	s_nop 0
	;;#ASMSTART
	v_dot2_f32_f16 v7, v1, v9, v7
	;;#ASMEND
	s_nop 0
	;;#ASMSTART
	v_dot2_f32_f16 v7, v2, v10, v7
	;;#ASMEND
	s_nop 0
	;;#ASMSTART
	v_dot2_f32_f16 v7, v3, v11, v7
	;;#ASMEND
	ds_read_b128 v[0:3], v71 offset:16
	ds_read_b128 v[8:11], v65 offset:128
	s_waitcnt lgkmcnt(0)
	;;#ASMSTART
	v_dot2_f32_f16 v7, v0, v8, v7
	;;#ASMEND
	s_nop 0
	;;#ASMSTART
	v_dot2_f32_f16 v7, v1, v9, v7
	;;#ASMEND
	s_nop 0
	;;#ASMSTART
	v_dot2_f32_f16 v7, v2, v10, v7
	;;#ASMEND
	s_nop 0
	;;#ASMSTART
	v_dot2_f32_f16 v7, v3, v11, v7
	;;#ASMEND
	ds_read_b128 v[0:3], v71 offset:32
	;; [unrolled: 18-line block ×6, first 2 shown]
	ds_read_b128 v[8:11], v65 offset:208
	s_waitcnt lgkmcnt(0)
	;;#ASMSTART
	v_dot2_f32_f16 v7, v0, v8, v7
	;;#ASMEND
	s_nop 0
	;;#ASMSTART
	v_dot2_f32_f16 v7, v1, v9, v7
	;;#ASMEND
	v_and_b32_e32 v1, 0x60, v51
	;;#ASMSTART
	v_dot2_f32_f16 v7, v2, v10, v7
	;;#ASMEND
	v_add_u32_e32 v81, 32, v1
	;;#ASMSTART
	v_dot2_f32_f16 v7, v3, v11, v7
	;;#ASMEND
	global_load_ushort v0, v[4:5], off
	v_cmp_lt_i32_e64 s[10:11], v82, v81
	v_max_f32_e32 v2, v6, v6
	s_nop 0
	v_cndmask_b32_e64 v1, v51, v82, s[10:11]
	v_lshlrev_b32_e32 v1, 2, v1
	v_cmp_lt_i32_e64 s[10:11], v83, v81
	s_barrier
	s_waitcnt vmcnt(0)
	v_cvt_f32_f16_e32 v0, v0
	v_add_f32_e32 v0, v7, v0
	v_add_f32_e32 v3, 0x40051340, v0
	v_max_f32_e32 v2, v2, v3
	ds_bpermute_b32 v1, v1, v2
	v_cndmask_b32_e64 v3, v51, v83, s[10:11]
	v_lshlrev_b32_e32 v3, 2, v3
	v_cmp_lt_i32_e64 s[10:11], v84, v81
	s_waitcnt lgkmcnt(0)
	v_max_f32_e32 v1, v1, v1
	v_max_f32_e32 v1, v2, v1
	ds_bpermute_b32 v2, v3, v1
	v_cndmask_b32_e64 v3, v51, v84, s[10:11]
	v_lshlrev_b32_e32 v3, 2, v3
	v_cmp_lt_i32_e64 s[10:11], v85, v81
	s_waitcnt lgkmcnt(0)
	v_max_f32_e32 v2, v2, v2
	;; [unrolled: 7-line block ×3, first 2 shown]
	v_max_f32_e32 v1, v1, v2
	ds_bpermute_b32 v2, v3, v1
	v_cndmask_b32_e64 v3, v51, v86, s[10:11]
	v_lshlrev_b32_e32 v3, 2, v3
	s_mul_hi_i32 s11, s2, s37
	s_mul_i32 s10, s2, s37
	s_waitcnt lgkmcnt(0)
	v_max_f32_e32 v2, v2, v2
	v_max_f32_e32 v1, v1, v2
	ds_bpermute_b32 v2, v3, v1
	s_lshl_b64 s[12:13], s[10:11], 2
	s_add_u32 s12, s41, s12
	s_addc_u32 s13, s42, s13
	s_waitcnt lgkmcnt(0)
	v_max_f32_e32 v2, v2, v2
	v_max_f32_e32 v64, v1, v2
	v_sub_f32_e32 v0, v0, v64
	v_mul_f32_e32 v1, 0x3fb8aa3b, v0
	v_fma_f32 v2, v0, s43, -v1
	v_rndne_f32_e32 v3, v1
	v_fmac_f32_e32 v2, 0x32a5705f, v0
	v_sub_f32_e32 v1, v1, v3
	v_add_f32_e32 v1, v1, v2
	v_cvt_i32_f32_e32 v3, v3
	v_exp_f32_e32 v1, v1
	v_cmp_ngt_f32_e64 s[10:11], s44, v0
	v_ldexp_f32 v1, v1, v3
	s_nop 0
	v_cndmask_b32_e64 v1, 0, v1, s[10:11]
	v_cmp_nlt_f32_e64 s[10:11], s45, v0
	s_nop 1
	v_cndmask_b32_e64 v87, v79, v1, s[10:11]
	v_cvt_f16_f32_e32 v0, v87
	ds_write_b16 v75, v0
	s_and_saveexec_b64 s[10:11], s[6:7]
	s_cbranch_execz .LBB46_24
; %bb.23:                               ;   in Loop: Header=BB46_14 Depth=1
	v_lshl_add_u64 v[0:1], v[54:55], 2, s[12:13]
	v_mov_b32_e32 v61, v43
	v_lshl_add_u64 v[0:1], v[0:1], 0, v[60:61]
	global_load_dwordx4 v[0:3], v[0:1], off offset:192
	s_waitcnt vmcnt(0)
	ds_write_b128 v76, v[0:3]
.LBB46_24:                              ;   in Loop: Header=BB46_14 Depth=1
	s_or_b64 exec, exec, s[10:11]
	s_and_saveexec_b64 s[10:11], s[8:9]
	s_cbranch_execz .LBB46_26
; %bb.25:                               ;   in Loop: Header=BB46_14 Depth=1
	v_lshl_add_u64 v[0:1], v[56:57], 2, s[12:13]
	v_mov_b32_e32 v59, v43
	v_lshl_add_u64 v[0:1], v[0:1], 0, v[58:59]
	global_load_dwordx4 v[0:3], v[0:1], off offset:128
	s_waitcnt vmcnt(0)
	ds_write_b128 v77, v[0:3]
.LBB46_26:                              ;   in Loop: Header=BB46_14 Depth=1
	s_or_b64 exec, exec, s[10:11]
	v_lshl_add_u64 v[0:1], v[52:53], 2, s[12:13]
	v_lshl_add_u64 v[0:1], v[0:1], 0, v[42:43]
	global_load_dwordx4 v[0:3], v[0:1], off
	v_sub_f32_e32 v89, v6, v64
	v_add_u32_e32 v88, 0x800, v67
	s_or_b32 s24, s2, 16
	s_mul_hi_i32 s25, s24, s37
	s_mul_i32 s24, s24, s37
	s_lshl_b64 s[24:25], s[24:25], 2
	s_add_u32 s24, s41, s24
	v_cmp_ngt_f32_e64 s[10:11], s44, v89
	v_cmp_nlt_f32_e64 s[12:13], s45, v89
	s_addc_u32 s25, s42, s25
	s_waitcnt vmcnt(0)
	ds_write_b128 v78, v[0:3]
	s_waitcnt lgkmcnt(0)
	s_barrier
	ds_read2_b64 v[28:31], v67 offset1:28
	ds_read_b128 v[36:39], v74
	ds_read_b128 v[32:35], v74 offset:16
	ds_read2_b64 v[24:27], v67 offset0:56 offset1:84
	ds_read2_b64 v[20:23], v67 offset0:112 offset1:140
	;; [unrolled: 1-line block ×7, first 2 shown]
	s_waitcnt lgkmcnt(0)
	s_barrier
	s_and_saveexec_b64 s[34:35], s[6:7]
	s_cbranch_execz .LBB46_28
; %bb.27:                               ;   in Loop: Header=BB46_14 Depth=1
	v_lshl_add_u64 v[90:91], v[54:55], 2, s[24:25]
	v_mov_b32_e32 v61, v43
	v_lshl_add_u64 v[90:91], v[90:91], 0, v[60:61]
	global_load_dwordx4 v[90:93], v[90:91], off offset:192
	s_waitcnt vmcnt(0)
	ds_write_b128 v76, v[90:93]
.LBB46_28:                              ;   in Loop: Header=BB46_14 Depth=1
	s_or_b64 exec, exec, s[34:35]
	s_and_saveexec_b64 s[34:35], s[8:9]
	s_cbranch_execz .LBB46_30
; %bb.29:                               ;   in Loop: Header=BB46_14 Depth=1
	v_lshl_add_u64 v[90:91], v[56:57], 2, s[24:25]
	v_mov_b32_e32 v59, v43
	v_lshl_add_u64 v[90:91], v[90:91], 0, v[58:59]
	global_load_dwordx4 v[90:93], v[90:91], off offset:128
	s_waitcnt vmcnt(0)
	ds_write_b128 v77, v[90:93]
.LBB46_30:                              ;   in Loop: Header=BB46_14 Depth=1
	s_or_b64 exec, exec, s[34:35]
	v_lshl_add_u64 v[90:91], v[52:53], 2, s[24:25]
	v_lshl_add_u64 v[90:91], v[90:91], 0, v[42:43]
	global_load_dwordx4 v[90:93], v[90:91], off
	v_mul_f32_e32 v59, 0x3fb8aa3b, v89
	v_fma_f32 v100, v89, s43, -v59
	v_rndne_f32_e32 v101, v59
	v_fmac_f32_e32 v100, 0x32a5705f, v89
	v_sub_f32_e32 v59, v59, v101
	v_add_f32_e32 v59, v59, v100
	v_cvt_i32_f32_e32 v89, v101
	v_exp_f32_e32 v59, v59
	v_mul_u32_u24_sdwa v61, v36, s46 dst_sel:DWORD dst_unused:UNUSED_PAD src0_sel:WORD_0 src1_sel:DWORD
	v_pk_mul_f16 v28, v28, v61
	v_pk_mul_f16 v29, v29, v61
	v_ldexp_f32 v59, v59, v89
	v_cndmask_b32_e64 v59, 0, v59, s[10:11]
	v_cndmask_b32_e64 v59, v79, v59, s[12:13]
	v_cvt_f16_f32_e32 v89, v59
	v_fmac_f32_e32 v87, v80, v59
	v_mul_u32_u24_sdwa v36, v36, s46 dst_sel:DWORD dst_unused:UNUSED_PAD src0_sel:WORD_1 src1_sel:DWORD
	v_mul_u32_u24_sdwa v94, v37, s46 dst_sel:DWORD dst_unused:UNUSED_PAD src0_sel:WORD_0 src1_sel:DWORD
	v_mul_u32_u24_e32 v59, 0x10001, v89
	v_pk_fma_f16 v28, v69, v59, v28
	v_pk_fma_f16 v29, v68, v59, v29
	;; [unrolled: 1-line block ×4, first 2 shown]
	v_mul_u32_u24_sdwa v37, v37, s46 dst_sel:DWORD dst_unused:UNUSED_PAD src0_sel:WORD_1 src1_sel:DWORD
	v_pk_fma_f16 v24, v24, v94, v28
	v_pk_fma_f16 v25, v25, v94, v29
	v_mul_u32_u24_sdwa v95, v38, s46 dst_sel:DWORD dst_unused:UNUSED_PAD src0_sel:WORD_0 src1_sel:DWORD
	v_pk_fma_f16 v24, v26, v37, v24
	v_pk_fma_f16 v25, v27, v37, v25
	v_mul_u32_u24_sdwa v38, v38, s46 dst_sel:DWORD dst_unused:UNUSED_PAD src0_sel:WORD_1 src1_sel:DWORD
	v_pk_fma_f16 v20, v20, v95, v24
	v_pk_fma_f16 v21, v21, v95, v25
	v_mul_u32_u24_sdwa v96, v39, s46 dst_sel:DWORD dst_unused:UNUSED_PAD src0_sel:WORD_0 src1_sel:DWORD
	v_pk_fma_f16 v20, v22, v38, v20
	v_pk_fma_f16 v21, v23, v38, v21
	;; [unrolled: 6-line block ×6, first 2 shown]
	v_mul_u32_u24_sdwa v35, v35, s46 dst_sel:DWORD dst_unused:UNUSED_PAD src0_sel:WORD_1 src1_sel:DWORD
	v_pk_fma_f16 v0, v0, v100, v4
	v_pk_fma_f16 v1, v1, v100, v5
	;; [unrolled: 1-line block ×4, first 2 shown]
	s_waitcnt vmcnt(0)
	ds_write_b128 v78, v[90:93]
	s_waitcnt lgkmcnt(0)
	s_barrier
	ds_read2_b64 v[0:3], v67 offset1:28
	ds_read_b128 v[4:7], v74 offset:32
	ds_read_b128 v[8:11], v74 offset:48
	ds_read2_b64 v[12:15], v67 offset0:56 offset1:84
	ds_read2_b64 v[16:19], v67 offset0:112 offset1:140
	;; [unrolled: 1-line block ×3, first 2 shown]
	s_waitcnt lgkmcnt(4)
	v_mul_u32_u24_sdwa v26, v4, s46 dst_sel:DWORD dst_unused:UNUSED_PAD src0_sel:WORD_0 src1_sel:DWORD
	v_mul_u32_u24_sdwa v4, v4, s46 dst_sel:DWORD dst_unused:UNUSED_PAD src0_sel:WORD_1 src1_sel:DWORD
	v_pk_fma_f16 v0, v0, v26, v24
	v_pk_fma_f16 v1, v1, v26, v25
	v_mul_u32_u24_sdwa v27, v5, s46 dst_sel:DWORD dst_unused:UNUSED_PAD src0_sel:WORD_0 src1_sel:DWORD
	v_pk_fma_f16 v0, v2, v4, v0
	v_pk_fma_f16 v1, v3, v4, v1
	v_mul_u32_u24_sdwa v5, v5, s46 dst_sel:DWORD dst_unused:UNUSED_PAD src0_sel:WORD_1 src1_sel:DWORD
	s_waitcnt lgkmcnt(2)
	v_pk_fma_f16 v0, v12, v27, v0
	v_pk_fma_f16 v1, v13, v27, v1
	v_mul_u32_u24_sdwa v28, v6, s46 dst_sel:DWORD dst_unused:UNUSED_PAD src0_sel:WORD_0 src1_sel:DWORD
	v_pk_fma_f16 v0, v14, v5, v0
	v_pk_fma_f16 v1, v15, v5, v1
	v_mul_u32_u24_sdwa v6, v6, s46 dst_sel:DWORD dst_unused:UNUSED_PAD src0_sel:WORD_1 src1_sel:DWORD
	s_waitcnt lgkmcnt(1)
	v_pk_fma_f16 v0, v16, v28, v0
	v_pk_fma_f16 v1, v17, v28, v1
	;; [unrolled: 1-line block ×4, first 2 shown]
	v_mul_u32_u24_sdwa v2, v7, s46 dst_sel:DWORD dst_unused:UNUSED_PAD src0_sel:WORD_0 src1_sel:DWORD
	s_waitcnt lgkmcnt(0)
	v_pk_fma_f16 v4, v20, v2, v0
	v_pk_fma_f16 v5, v21, v2, v1
	ds_read2_b64 v[0:3], v67 offset0:224 offset1:252
	v_mul_u32_u24_sdwa v6, v7, s46 dst_sel:DWORD dst_unused:UNUSED_PAD src0_sel:WORD_1 src1_sel:DWORD
	v_pk_fma_f16 v4, v22, v6, v4
	v_pk_fma_f16 v5, v23, v6, v5
	v_mul_u32_u24_sdwa v6, v8, s46 dst_sel:DWORD dst_unused:UNUSED_PAD src0_sel:WORD_0 src1_sel:DWORD
	s_waitcnt lgkmcnt(0)
	v_pk_fma_f16 v0, v0, v6, v4
	v_pk_fma_f16 v1, v1, v6, v5
	ds_read2_b64 v[4:7], v88 offset0:24 offset1:52
	v_mul_u32_u24_sdwa v8, v8, s46 dst_sel:DWORD dst_unused:UNUSED_PAD src0_sel:WORD_1 src1_sel:DWORD
	v_pk_fma_f16 v0, v2, v8, v0
	v_pk_fma_f16 v1, v3, v8, v1
	;; [unrolled: 8-line block ×3, first 2 shown]
	v_mul_u32_u24_sdwa v6, v10, s46 dst_sel:DWORD dst_unused:UNUSED_PAD src0_sel:WORD_0 src1_sel:DWORD
	s_waitcnt lgkmcnt(0)
	v_pk_fma_f16 v0, v0, v6, v4
	v_pk_fma_f16 v1, v1, v6, v5
	v_mul_u32_u24_sdwa v4, v10, s46 dst_sel:DWORD dst_unused:UNUSED_PAD src0_sel:WORD_1 src1_sel:DWORD
	v_pk_fma_f16 v5, v2, v4, v0
	v_pk_fma_f16 v4, v3, v4, v1
	ds_read2_b64 v[0:3], v88 offset0:136 offset1:164
	s_waitcnt lgkmcnt(0)
	s_barrier
	s_load_dword s10, s[18:19], 0x4
	v_mul_u32_u24_sdwa v6, v11, s46 dst_sel:DWORD dst_unused:UNUSED_PAD src0_sel:WORD_0 src1_sel:DWORD
	v_pk_fma_f16 v0, v0, v6, v5
	v_pk_fma_f16 v1, v1, v6, v4
	v_mul_u32_u24_sdwa v4, v11, s46 dst_sel:DWORD dst_unused:UNUSED_PAD src0_sel:WORD_1 src1_sel:DWORD
	s_waitcnt lgkmcnt(0)
	s_lshl_b32 s10, s10, 5
	s_add_i32 s2, s10, s2
	v_pk_fma_f16 v69, v2, v4, v0
	s_cmp_ge_i32 s2, s28
	v_pk_fma_f16 v68, v3, v4, v1
	s_cbranch_scc1 .LBB46_9
; %bb.31:                               ;   in Loop: Header=BB46_14 Depth=1
	v_mov_b32_e32 v6, v64
	v_mov_b32_e32 v80, v87
	s_branch .LBB46_14
.LBB46_32:
	v_mov_b32_e32 v1, v65
	v_add_u32_e32 v0, s36, v66
	v_cmp_gt_i32_e32 vcc, s26, v0
	s_and_saveexec_b64 s[4:5], vcc
	s_cbranch_execz .LBB46_11
.LBB46_33:
	s_load_dword s2, s[0:1], 0xd4
	s_mul_i32 s33, s33, s26
	v_add_u32_e32 v0, s33, v0
	v_mul_lo_u32 v0, v0, s27
	v_add3_u32 v0, s29, v41, v0
	s_waitcnt lgkmcnt(0)
	s_cmp_lg_u32 s2, 1
	v_mul_lo_u32 v0, s2, v0
	s_cselect_b64 s[0:1], -1, 0
	v_add_u32_e32 v0, s3, v0
	s_and_saveexec_b64 s[2:3], s[14:15]
	s_cbranch_execz .LBB46_35
; %bb.34:
	v_div_scale_f32 v4, s[4:5], v1, v1, 1.0
	v_rcp_f32_e32 v5, v4
	v_cvt_f32_f16_sdwa v9, v69 dst_sel:DWORD dst_unused:UNUSED_PAD src0_sel:WORD_1
	v_cvt_f32_f16_sdwa v11, v68 dst_sel:DWORD dst_unused:UNUSED_PAD src0_sel:WORD_1
	v_cvt_f32_f16_e32 v10, v68
	v_fma_f32 v6, -v4, v5, 1.0
	v_fmac_f32_e32 v5, v6, v5
	v_div_scale_f32 v6, vcc, 1.0, v1, 1.0
	v_mul_f32_e32 v7, v6, v5
	v_fma_f32 v8, -v4, v7, v6
	v_fmac_f32_e32 v7, v8, v5
	v_fma_f32 v4, -v4, v7, v6
	v_div_fmas_f32 v4, v4, v5, v7
	v_cvt_f32_f16_e32 v8, v69
	v_div_fixup_f32 v1, v4, v1, 1.0
	s_movk_i32 s4, 0x70
	v_cndmask_b32_e64 v4, v1, 1.0, s[0:1]
	v_mul_lo_u32 v1, v0, s4
	v_mov_b32_e32 v2, s20
	v_mov_b32_e32 v3, s21
	v_lshl_add_u32 v6, v40, 2, v1
	v_mov_b32_e32 v7, 0
	v_lshl_add_u64 v[6:7], v[6:7], 2, v[2:3]
	v_pk_mul_f32 v[2:3], v[4:5], v[8:9] op_sel_hi:[0,1]
	v_pk_mul_f32 v[4:5], v[4:5], v[10:11] op_sel_hi:[0,1]
	global_store_dwordx4 v[6:7], v[2:5], off
.LBB46_35:
	s_or_b64 exec, exec, s[2:3]
	v_cmp_eq_u32_e32 vcc, 0, v40
	s_and_b64 s[0:1], vcc, s[0:1]
	s_and_b64 exec, exec, s[0:1]
	s_cbranch_execz .LBB46_11
; %bb.36:
	v_mov_b32_e32 v2, s22
	v_mov_b32_e32 v3, s23
	v_ashrrev_i32_e32 v1, 31, v0
	v_lshl_add_u64 v[0:1], v[0:1], 3, v[2:3]
	global_store_dwordx2 v[0:1], v[64:65], off
	s_endpgm
	.section	.rodata,"a",@progbits
	.p2align	6, 0x0
	.amdhsa_kernel _ZL15flash_attn_tileILi112ELi112ELi2ELi2ELb0EEvPKcS1_S1_S1_S1_PKiPfP15HIP_vector_typeIfLj2EEffffjfiS5_IjLj3EEiiiiiiiiiiiliiliiiiil
		.amdhsa_group_segment_fixed_size 5312
		.amdhsa_private_segment_fixed_size 0
		.amdhsa_kernarg_size 464
		.amdhsa_user_sgpr_count 2
		.amdhsa_user_sgpr_dispatch_ptr 0
		.amdhsa_user_sgpr_queue_ptr 0
		.amdhsa_user_sgpr_kernarg_segment_ptr 1
		.amdhsa_user_sgpr_dispatch_id 0
		.amdhsa_user_sgpr_kernarg_preload_length 0
		.amdhsa_user_sgpr_kernarg_preload_offset 0
		.amdhsa_user_sgpr_private_segment_size 0
		.amdhsa_uses_dynamic_stack 0
		.amdhsa_enable_private_segment 0
		.amdhsa_system_sgpr_workgroup_id_x 1
		.amdhsa_system_sgpr_workgroup_id_y 1
		.amdhsa_system_sgpr_workgroup_id_z 1
		.amdhsa_system_sgpr_workgroup_info 0
		.amdhsa_system_vgpr_workitem_id 1
		.amdhsa_next_free_vgpr 102
		.amdhsa_next_free_sgpr 47
		.amdhsa_accum_offset 104
		.amdhsa_reserve_vcc 1
		.amdhsa_float_round_mode_32 0
		.amdhsa_float_round_mode_16_64 0
		.amdhsa_float_denorm_mode_32 3
		.amdhsa_float_denorm_mode_16_64 3
		.amdhsa_dx10_clamp 1
		.amdhsa_ieee_mode 1
		.amdhsa_fp16_overflow 0
		.amdhsa_tg_split 0
		.amdhsa_exception_fp_ieee_invalid_op 0
		.amdhsa_exception_fp_denorm_src 0
		.amdhsa_exception_fp_ieee_div_zero 0
		.amdhsa_exception_fp_ieee_overflow 0
		.amdhsa_exception_fp_ieee_underflow 0
		.amdhsa_exception_fp_ieee_inexact 0
		.amdhsa_exception_int_div_zero 0
	.end_amdhsa_kernel
	.section	.text._ZL15flash_attn_tileILi112ELi112ELi2ELi2ELb0EEvPKcS1_S1_S1_S1_PKiPfP15HIP_vector_typeIfLj2EEffffjfiS5_IjLj3EEiiiiiiiiiiiliiliiiiil,"axG",@progbits,_ZL15flash_attn_tileILi112ELi112ELi2ELi2ELb0EEvPKcS1_S1_S1_S1_PKiPfP15HIP_vector_typeIfLj2EEffffjfiS5_IjLj3EEiiiiiiiiiiiliiliiiiil,comdat
.Lfunc_end46:
	.size	_ZL15flash_attn_tileILi112ELi112ELi2ELi2ELb0EEvPKcS1_S1_S1_S1_PKiPfP15HIP_vector_typeIfLj2EEffffjfiS5_IjLj3EEiiiiiiiiiiiliiliiiiil, .Lfunc_end46-_ZL15flash_attn_tileILi112ELi112ELi2ELi2ELb0EEvPKcS1_S1_S1_S1_PKiPfP15HIP_vector_typeIfLj2EEffffjfiS5_IjLj3EEiiiiiiiiiiiliiliiiiil
                                        ; -- End function
	.set _ZL15flash_attn_tileILi112ELi112ELi2ELi2ELb0EEvPKcS1_S1_S1_S1_PKiPfP15HIP_vector_typeIfLj2EEffffjfiS5_IjLj3EEiiiiiiiiiiiliiliiiiil.num_vgpr, 102
	.set _ZL15flash_attn_tileILi112ELi112ELi2ELi2ELb0EEvPKcS1_S1_S1_S1_PKiPfP15HIP_vector_typeIfLj2EEffffjfiS5_IjLj3EEiiiiiiiiiiiliiliiiiil.num_agpr, 0
	.set _ZL15flash_attn_tileILi112ELi112ELi2ELi2ELb0EEvPKcS1_S1_S1_S1_PKiPfP15HIP_vector_typeIfLj2EEffffjfiS5_IjLj3EEiiiiiiiiiiiliiliiiiil.numbered_sgpr, 47
	.set _ZL15flash_attn_tileILi112ELi112ELi2ELi2ELb0EEvPKcS1_S1_S1_S1_PKiPfP15HIP_vector_typeIfLj2EEffffjfiS5_IjLj3EEiiiiiiiiiiiliiliiiiil.num_named_barrier, 0
	.set _ZL15flash_attn_tileILi112ELi112ELi2ELi2ELb0EEvPKcS1_S1_S1_S1_PKiPfP15HIP_vector_typeIfLj2EEffffjfiS5_IjLj3EEiiiiiiiiiiiliiliiiiil.private_seg_size, 0
	.set _ZL15flash_attn_tileILi112ELi112ELi2ELi2ELb0EEvPKcS1_S1_S1_S1_PKiPfP15HIP_vector_typeIfLj2EEffffjfiS5_IjLj3EEiiiiiiiiiiiliiliiiiil.uses_vcc, 1
	.set _ZL15flash_attn_tileILi112ELi112ELi2ELi2ELb0EEvPKcS1_S1_S1_S1_PKiPfP15HIP_vector_typeIfLj2EEffffjfiS5_IjLj3EEiiiiiiiiiiiliiliiiiil.uses_flat_scratch, 0
	.set _ZL15flash_attn_tileILi112ELi112ELi2ELi2ELb0EEvPKcS1_S1_S1_S1_PKiPfP15HIP_vector_typeIfLj2EEffffjfiS5_IjLj3EEiiiiiiiiiiiliiliiiiil.has_dyn_sized_stack, 0
	.set _ZL15flash_attn_tileILi112ELi112ELi2ELi2ELb0EEvPKcS1_S1_S1_S1_PKiPfP15HIP_vector_typeIfLj2EEffffjfiS5_IjLj3EEiiiiiiiiiiiliiliiiiil.has_recursion, 0
	.set _ZL15flash_attn_tileILi112ELi112ELi2ELi2ELb0EEvPKcS1_S1_S1_S1_PKiPfP15HIP_vector_typeIfLj2EEffffjfiS5_IjLj3EEiiiiiiiiiiiliiliiiiil.has_indirect_call, 0
	.section	.AMDGPU.csdata,"",@progbits
; Kernel info:
; codeLenInByte = 5864
; TotalNumSgprs: 53
; NumVgprs: 102
; NumAgprs: 0
; TotalNumVgprs: 102
; ScratchSize: 0
; MemoryBound: 0
; FloatMode: 240
; IeeeMode: 1
; LDSByteSize: 5312 bytes/workgroup (compile time only)
; SGPRBlocks: 6
; VGPRBlocks: 12
; NumSGPRsForWavesPerEU: 53
; NumVGPRsForWavesPerEU: 102
; AccumOffset: 104
; Occupancy: 4
; WaveLimiterHint : 1
; COMPUTE_PGM_RSRC2:SCRATCH_EN: 0
; COMPUTE_PGM_RSRC2:USER_SGPR: 2
; COMPUTE_PGM_RSRC2:TRAP_HANDLER: 0
; COMPUTE_PGM_RSRC2:TGID_X_EN: 1
; COMPUTE_PGM_RSRC2:TGID_Y_EN: 1
; COMPUTE_PGM_RSRC2:TGID_Z_EN: 1
; COMPUTE_PGM_RSRC2:TIDIG_COMP_CNT: 1
; COMPUTE_PGM_RSRC3_GFX90A:ACCUM_OFFSET: 25
; COMPUTE_PGM_RSRC3_GFX90A:TG_SPLIT: 0
	.section	.text._ZL33flash_attn_stream_k_fixup_uniformILi112ELi2ELi2EEvPfPK15HIP_vector_typeIfLj2EEiiiiiiS1_IjLj3EES5_S5_,"axG",@progbits,_ZL33flash_attn_stream_k_fixup_uniformILi112ELi2ELi2EEvPfPK15HIP_vector_typeIfLj2EEiiiiiiS1_IjLj3EES5_S5_,comdat
	.globl	_ZL33flash_attn_stream_k_fixup_uniformILi112ELi2ELi2EEvPfPK15HIP_vector_typeIfLj2EEiiiiiiS1_IjLj3EES5_S5_ ; -- Begin function _ZL33flash_attn_stream_k_fixup_uniformILi112ELi2ELi2EEvPfPK15HIP_vector_typeIfLj2EEiiiiiiS1_IjLj3EES5_S5_
	.p2align	8
	.type	_ZL33flash_attn_stream_k_fixup_uniformILi112ELi2ELi2EEvPfPK15HIP_vector_typeIfLj2EEiiiiiiS1_IjLj3EES5_S5_,@function
_ZL33flash_attn_stream_k_fixup_uniformILi112ELi2ELi2EEvPfPK15HIP_vector_typeIfLj2EEiiiiiiS1_IjLj3EES5_S5_: ; @_ZL33flash_attn_stream_k_fixup_uniformILi112ELi2ELi2EEvPfPK15HIP_vector_typeIfLj2EEiiiiiiS1_IjLj3EES5_S5_
; %bb.0:
	s_load_dwordx8 s[8:15], s[0:1], 0x1c
	s_load_dwordx2 s[6:7], s[0:1], 0x10
	s_load_dwordx4 s[16:19], s[0:1], 0x3c
	s_waitcnt lgkmcnt(0)
	s_mul_hi_u32 s5, s11, s2
	s_add_i32 s5, s2, s5
	s_lshr_b32 s5, s5, s12
	s_mul_i32 s11, s5, s13
	s_sub_i32 s12, s2, s11
	s_mul_hi_u32 s11, s12, s14
	s_add_i32 s11, s12, s11
	s_lshr_b32 s11, s11, s15
	s_mul_i32 s13, s11, s16
	s_sub_i32 s12, s12, s13
	;; [unrolled: 5-line block ×3, first 2 shown]
	s_lshl_b32 s12, s16, 1
	s_lshl_b32 s17, s13, 1
	s_add_i32 s12, s12, s3
	s_cmp_lt_i32 s12, s6
	s_cselect_b64 s[12:13], -1, 0
	s_add_i32 s17, s17, s4
	s_cmp_lt_i32 s17, s9
	s_cselect_b64 s[14:15], -1, 0
	s_and_b64 s[12:13], s[12:13], s[14:15]
	s_andn2_b64 vcc, exec, s[12:13]
	s_cbranch_vccnz .LBB47_6
; %bb.1:
	s_load_dwordx4 s[12:15], s[0:1], 0x0
	s_mul_i32 s0, s5, s6
	s_mul_i32 s11, s11, s9
	s_add_i32 s0, s0, s3
	s_mul_i32 s0, s0, s7
	s_add_i32 s5, s17, s11
	;; [unrolled: 2-line block ×3, first 2 shown]
	s_mulk_i32 s1, 0xe0
	s_mulk_i32 s0, 0x70
	s_add_i32 s0, s0, s1
	v_add_u32_e32 v4, s0, v0
	s_waitcnt lgkmcnt(0)
	v_mov_b32_e32 v2, s12
	v_mov_b32_e32 v3, s13
	v_ashrrev_i32_e32 v5, 31, v4
	v_lshl_add_u64 v[2:3], v[4:5], 2, v[2:3]
	global_load_dword v5, v[2:3], off
	s_mul_i32 s5, s10, s2
	s_lshl_b32 s11, s3, 1
	s_add_i32 s9, s5, s10
	s_add_i32 s0, s11, s4
	s_lshl_b32 s1, s9, 2
	s_add_i32 s0, s0, s1
	s_add_i32 s0, s0, -4
	s_ashr_i32 s1, s0, 31
	s_lshl_b64 s[0:1], s[0:1], 3
	s_add_u32 s0, s14, s0
	s_addc_u32 s1, s15, s1
	s_load_dword s12, s[0:1], 0x4
	s_add_i32 s6, s9, -2
	s_cmp_lt_i32 s6, s5
	s_cbranch_scc1 .LBB47_4
; %bb.2:
	s_lshl_b32 s6, s8, 4
	s_ashr_i32 s7, s6, 31
	s_lshl_b64 s[6:7], s[6:7], 2
	s_add_u32 s6, s14, s6
	s_addc_u32 s7, s15, s7
	s_add_i32 s2, s2, 1
	s_load_dword s0, s[0:1], 0x0
	s_mul_i32 s1, s10, s2
	s_lshl_b32 s2, s1, 2
	s_add_i32 s2, s4, s2
	s_mulk_i32 s3, 0xe0
	s_mulk_i32 s4, 0x70
	s_lshl_b32 s8, s8, 2
	s_mulk_i32 s1, 0x1c0
	s_add_i32 s3, s4, s3
	s_add_i32 s2, s2, s8
	;; [unrolled: 1-line block ×4, first 2 shown]
	v_add_u32_e32 v0, s3, v0
	s_add_i32 s9, s9, -1
	s_add_i32 s2, s2, -8
	v_add_u32_e32 v0, 0xfffffc80, v0
	s_waitcnt lgkmcnt(0)
	v_mov_b32_e32 v7, s0
	v_mov_b32_e32 v4, s12
	s_mov_b32 s4, 0x3fb8aa3b
	s_mov_b32 s8, 0xc2ce8ed0
	;; [unrolled: 1-line block ×3, first 2 shown]
	v_mov_b32_e32 v6, 0x7f800000
	s_mov_b32 s11, 0xc1a00000
.LBB47_3:                               ; =>This Inner Loop Header: Depth=1
	v_ashrrev_i32_e32 v1, 31, v0
	v_lshl_add_u64 v[8:9], v[0:1], 2, s[6:7]
	global_load_dword v9, v[8:9], off
	s_ashr_i32 s3, s2, 31
	s_lshl_b64 s[0:1], s[2:3], 3
	s_add_u32 s0, s14, s0
	s_addc_u32 s1, s15, s1
	s_load_dwordx2 s[0:1], s[0:1], 0x0
	v_max_f32_e32 v1, v7, v7
	s_add_i32 s9, s9, -1
	s_add_i32 s2, s2, -4
	v_add_u32_e32 v0, 0xfffffe40, v0
	s_waitcnt lgkmcnt(0)
	v_max_f32_e64 v10, s0, s0
	v_max_f32_e32 v1, v1, v10
	v_sub_f32_e32 v11, s0, v1
	v_sub_f32_e32 v10, v7, v1
	v_mul_f32_e32 v12, 0x3fb8aa3b, v11
	v_mov_b32_e32 v7, v1
	v_mul_f32_e32 v1, 0x3fb8aa3b, v10
	v_fma_f32 v15, v11, s4, -v12
	v_rndne_f32_e32 v16, v12
	v_fma_f32 v13, v10, s4, -v1
	v_rndne_f32_e32 v14, v1
	v_fmac_f32_e32 v15, 0x32a5705f, v11
	v_sub_f32_e32 v12, v12, v16
	v_fmac_f32_e32 v13, 0x32a5705f, v10
	v_sub_f32_e32 v1, v1, v14
	v_add_f32_e32 v12, v12, v15
	v_cvt_i32_f32_e32 v16, v16
	v_add_f32_e32 v1, v1, v13
	v_exp_f32_e32 v12, v12
	v_cvt_i32_f32_e32 v14, v14
	v_exp_f32_e32 v1, v1
	v_cmp_ngt_f32_e32 vcc, s8, v11
	v_ldexp_f32 v12, v12, v16
	v_mov_b32_e32 v8, s1
	v_ldexp_f32 v1, v1, v14
	v_cmp_ngt_f32_e64 s[0:1], s8, v10
	v_cndmask_b32_e32 v12, 0, v12, vcc
	v_cmp_nlt_f32_e32 vcc, s10, v11
	v_cndmask_b32_e64 v1, 0, v1, s[0:1]
	v_cmp_nlt_f32_e64 s[0:1], s10, v10
	v_cndmask_b32_e32 v12, v6, v12, vcc
	v_cmp_le_f32_e32 vcc, s11, v11
	v_cndmask_b32_e64 v1, v6, v1, s[0:1]
	v_cmp_le_f32_e64 s[0:1], s11, v10
	v_cndmask_b32_e32 v12, 0, v12, vcc
	s_cmp_le_i32 s9, s5
	v_cndmask_b32_e64 v10, 0, v1, s[0:1]
	s_waitcnt vmcnt(0)
	v_pk_mul_f32 v[8:9], v[8:9], v[12:13] op_sel_hi:[1,0]
	s_nop 0
	v_pk_fma_f32 v[4:5], v[4:5], v[10:11], v[8:9] op_sel_hi:[1,0,1]
	s_cbranch_scc0 .LBB47_3
	s_branch .LBB47_5
.LBB47_4:
	s_waitcnt lgkmcnt(0)
	v_mov_b32_e32 v4, s12
.LBB47_5:
	s_waitcnt vmcnt(0)
	v_div_scale_f32 v0, s[0:1], v4, v4, v5
	v_rcp_f32_e32 v1, v0
	v_div_scale_f32 v6, vcc, v5, v4, v5
	v_fma_f32 v7, -v0, v1, 1.0
	v_fmac_f32_e32 v1, v7, v1
	v_mul_f32_e32 v7, v6, v1
	v_fma_f32 v8, -v0, v7, v6
	v_fmac_f32_e32 v7, v8, v1
	v_fma_f32 v0, -v0, v7, v6
	v_div_fmas_f32 v0, v0, v1, v7
	v_div_fixup_f32 v0, v0, v4, v5
	global_store_dword v[2:3], v0, off
.LBB47_6:
	s_endpgm
	.section	.rodata,"a",@progbits
	.p2align	6, 0x0
	.amdhsa_kernel _ZL33flash_attn_stream_k_fixup_uniformILi112ELi2ELi2EEvPfPK15HIP_vector_typeIfLj2EEiiiiiiS1_IjLj3EES5_S5_
		.amdhsa_group_segment_fixed_size 0
		.amdhsa_private_segment_fixed_size 0
		.amdhsa_kernarg_size 76
		.amdhsa_user_sgpr_count 2
		.amdhsa_user_sgpr_dispatch_ptr 0
		.amdhsa_user_sgpr_queue_ptr 0
		.amdhsa_user_sgpr_kernarg_segment_ptr 1
		.amdhsa_user_sgpr_dispatch_id 0
		.amdhsa_user_sgpr_kernarg_preload_length 0
		.amdhsa_user_sgpr_kernarg_preload_offset 0
		.amdhsa_user_sgpr_private_segment_size 0
		.amdhsa_uses_dynamic_stack 0
		.amdhsa_enable_private_segment 0
		.amdhsa_system_sgpr_workgroup_id_x 1
		.amdhsa_system_sgpr_workgroup_id_y 1
		.amdhsa_system_sgpr_workgroup_id_z 1
		.amdhsa_system_sgpr_workgroup_info 0
		.amdhsa_system_vgpr_workitem_id 0
		.amdhsa_next_free_vgpr 17
		.amdhsa_next_free_sgpr 20
		.amdhsa_accum_offset 20
		.amdhsa_reserve_vcc 1
		.amdhsa_float_round_mode_32 0
		.amdhsa_float_round_mode_16_64 0
		.amdhsa_float_denorm_mode_32 3
		.amdhsa_float_denorm_mode_16_64 3
		.amdhsa_dx10_clamp 1
		.amdhsa_ieee_mode 1
		.amdhsa_fp16_overflow 0
		.amdhsa_tg_split 0
		.amdhsa_exception_fp_ieee_invalid_op 0
		.amdhsa_exception_fp_denorm_src 0
		.amdhsa_exception_fp_ieee_div_zero 0
		.amdhsa_exception_fp_ieee_overflow 0
		.amdhsa_exception_fp_ieee_underflow 0
		.amdhsa_exception_fp_ieee_inexact 0
		.amdhsa_exception_int_div_zero 0
	.end_amdhsa_kernel
	.section	.text._ZL33flash_attn_stream_k_fixup_uniformILi112ELi2ELi2EEvPfPK15HIP_vector_typeIfLj2EEiiiiiiS1_IjLj3EES5_S5_,"axG",@progbits,_ZL33flash_attn_stream_k_fixup_uniformILi112ELi2ELi2EEvPfPK15HIP_vector_typeIfLj2EEiiiiiiS1_IjLj3EES5_S5_,comdat
.Lfunc_end47:
	.size	_ZL33flash_attn_stream_k_fixup_uniformILi112ELi2ELi2EEvPfPK15HIP_vector_typeIfLj2EEiiiiiiS1_IjLj3EES5_S5_, .Lfunc_end47-_ZL33flash_attn_stream_k_fixup_uniformILi112ELi2ELi2EEvPfPK15HIP_vector_typeIfLj2EEiiiiiiS1_IjLj3EES5_S5_
                                        ; -- End function
	.set _ZL33flash_attn_stream_k_fixup_uniformILi112ELi2ELi2EEvPfPK15HIP_vector_typeIfLj2EEiiiiiiS1_IjLj3EES5_S5_.num_vgpr, 17
	.set _ZL33flash_attn_stream_k_fixup_uniformILi112ELi2ELi2EEvPfPK15HIP_vector_typeIfLj2EEiiiiiiS1_IjLj3EES5_S5_.num_agpr, 0
	.set _ZL33flash_attn_stream_k_fixup_uniformILi112ELi2ELi2EEvPfPK15HIP_vector_typeIfLj2EEiiiiiiS1_IjLj3EES5_S5_.numbered_sgpr, 20
	.set _ZL33flash_attn_stream_k_fixup_uniformILi112ELi2ELi2EEvPfPK15HIP_vector_typeIfLj2EEiiiiiiS1_IjLj3EES5_S5_.num_named_barrier, 0
	.set _ZL33flash_attn_stream_k_fixup_uniformILi112ELi2ELi2EEvPfPK15HIP_vector_typeIfLj2EEiiiiiiS1_IjLj3EES5_S5_.private_seg_size, 0
	.set _ZL33flash_attn_stream_k_fixup_uniformILi112ELi2ELi2EEvPfPK15HIP_vector_typeIfLj2EEiiiiiiS1_IjLj3EES5_S5_.uses_vcc, 1
	.set _ZL33flash_attn_stream_k_fixup_uniformILi112ELi2ELi2EEvPfPK15HIP_vector_typeIfLj2EEiiiiiiS1_IjLj3EES5_S5_.uses_flat_scratch, 0
	.set _ZL33flash_attn_stream_k_fixup_uniformILi112ELi2ELi2EEvPfPK15HIP_vector_typeIfLj2EEiiiiiiS1_IjLj3EES5_S5_.has_dyn_sized_stack, 0
	.set _ZL33flash_attn_stream_k_fixup_uniformILi112ELi2ELi2EEvPfPK15HIP_vector_typeIfLj2EEiiiiiiS1_IjLj3EES5_S5_.has_recursion, 0
	.set _ZL33flash_attn_stream_k_fixup_uniformILi112ELi2ELi2EEvPfPK15HIP_vector_typeIfLj2EEiiiiiiS1_IjLj3EES5_S5_.has_indirect_call, 0
	.section	.AMDGPU.csdata,"",@progbits
; Kernel info:
; codeLenInByte = 832
; TotalNumSgprs: 26
; NumVgprs: 17
; NumAgprs: 0
; TotalNumVgprs: 17
; ScratchSize: 0
; MemoryBound: 0
; FloatMode: 240
; IeeeMode: 1
; LDSByteSize: 0 bytes/workgroup (compile time only)
; SGPRBlocks: 3
; VGPRBlocks: 2
; NumSGPRsForWavesPerEU: 26
; NumVGPRsForWavesPerEU: 17
; AccumOffset: 20
; Occupancy: 8
; WaveLimiterHint : 0
; COMPUTE_PGM_RSRC2:SCRATCH_EN: 0
; COMPUTE_PGM_RSRC2:USER_SGPR: 2
; COMPUTE_PGM_RSRC2:TRAP_HANDLER: 0
; COMPUTE_PGM_RSRC2:TGID_X_EN: 1
; COMPUTE_PGM_RSRC2:TGID_Y_EN: 1
; COMPUTE_PGM_RSRC2:TGID_Z_EN: 1
; COMPUTE_PGM_RSRC2:TIDIG_COMP_CNT: 0
; COMPUTE_PGM_RSRC3_GFX90A:ACCUM_OFFSET: 4
; COMPUTE_PGM_RSRC3_GFX90A:TG_SPLIT: 0
	.section	.text._ZL33flash_attn_stream_k_fixup_generalILi112ELi2ELi2EEvPfPK15HIP_vector_typeIfLj2EEiiiiS1_IjLj3EES5_S5_S5_,"axG",@progbits,_ZL33flash_attn_stream_k_fixup_generalILi112ELi2ELi2EEvPfPK15HIP_vector_typeIfLj2EEiiiiS1_IjLj3EES5_S5_S5_,comdat
	.globl	_ZL33flash_attn_stream_k_fixup_generalILi112ELi2ELi2EEvPfPK15HIP_vector_typeIfLj2EEiiiiS1_IjLj3EES5_S5_S5_ ; -- Begin function _ZL33flash_attn_stream_k_fixup_generalILi112ELi2ELi2EEvPfPK15HIP_vector_typeIfLj2EEiiiiS1_IjLj3EES5_S5_S5_
	.p2align	8
	.type	_ZL33flash_attn_stream_k_fixup_generalILi112ELi2ELi2EEvPfPK15HIP_vector_typeIfLj2EEiiiiS1_IjLj3EES5_S5_S5_,@function
_ZL33flash_attn_stream_k_fixup_generalILi112ELi2ELi2EEvPfPK15HIP_vector_typeIfLj2EEiiiiS1_IjLj3EES5_S5_S5_: ; @_ZL33flash_attn_stream_k_fixup_generalILi112ELi2ELi2EEvPfPK15HIP_vector_typeIfLj2EEiiiiS1_IjLj3EES5_S5_S5_
; %bb.0:
	s_load_dwordx4 s[8:11], s[0:1], 0x10
	s_load_dword s22, s[0:1], 0x50
	s_mov_b32 s12, 0
	s_waitcnt lgkmcnt(0)
	s_mul_hi_i32 s13, s11, s2
	s_cmp_lg_u64 s[12:13], 0
	s_mul_i32 s5, s11, s2
	s_cbranch_scc0 .LBB48_20
; %bb.1:
	s_add_u32 s6, s22, 0
	s_addc_u32 s7, 0, 0
	s_xor_b64 s[6:7], s[6:7], 0
	v_cvt_f32_u32_e32 v1, s6
	v_cvt_f32_u32_e32 v2, s7
	s_sub_u32 s12, 0, s6
	s_subb_u32 s18, 0, s7
	v_fmamk_f32 v1, v2, 0x4f800000, v1
	v_rcp_f32_e32 v1, v1
	s_nop 0
	v_mul_f32_e32 v1, 0x5f7ffffc, v1
	v_mul_f32_e32 v2, 0x2f800000, v1
	v_trunc_f32_e32 v2, v2
	v_fmamk_f32 v1, v2, 0xcf800000, v1
	v_cvt_u32_f32_e32 v2, v2
	v_cvt_u32_f32_e32 v1, v1
	v_readfirstlane_b32 s19, v2
	v_readfirstlane_b32 s14, v1
	s_mul_i32 s15, s12, s19
	s_mul_hi_u32 s21, s12, s14
	s_mul_i32 s20, s18, s14
	s_add_i32 s15, s21, s15
	s_add_i32 s15, s15, s20
	s_mul_i32 s23, s12, s14
	s_mul_i32 s21, s14, s15
	s_mul_hi_u32 s24, s14, s23
	s_mul_hi_u32 s20, s14, s15
	s_add_u32 s21, s24, s21
	s_addc_u32 s20, 0, s20
	s_mul_hi_u32 s25, s19, s23
	s_mul_i32 s23, s19, s23
	s_add_u32 s21, s21, s23
	s_mul_hi_u32 s24, s19, s15
	s_addc_u32 s20, s20, s25
	s_addc_u32 s21, s24, 0
	s_mul_i32 s15, s19, s15
	s_add_u32 s15, s20, s15
	s_addc_u32 s20, 0, s21
	s_add_u32 s21, s14, s15
	s_cselect_b64 s[14:15], -1, 0
	s_cmp_lg_u64 s[14:15], 0
	s_addc_u32 s19, s19, s20
	s_mul_i32 s14, s12, s19
	s_mul_hi_u32 s15, s12, s21
	s_add_i32 s14, s15, s14
	s_mul_i32 s18, s18, s21
	s_add_i32 s14, s14, s18
	s_mul_i32 s12, s12, s21
	s_mul_hi_u32 s18, s19, s12
	s_mul_i32 s20, s19, s12
	s_mul_i32 s24, s21, s14
	s_mul_hi_u32 s12, s21, s12
	s_mul_hi_u32 s23, s21, s14
	s_add_u32 s12, s12, s24
	s_addc_u32 s23, 0, s23
	s_add_u32 s12, s12, s20
	s_mul_hi_u32 s15, s19, s14
	s_addc_u32 s12, s23, s18
	s_addc_u32 s15, s15, 0
	s_mul_i32 s14, s19, s14
	s_add_u32 s12, s12, s14
	s_addc_u32 s18, 0, s15
	s_add_u32 s20, s21, s12
	s_cselect_b64 s[14:15], -1, 0
	s_cmp_lg_u64 s[14:15], 0
	s_addc_u32 s18, s19, s18
	s_ashr_i32 s14, s13, 31
	s_add_u32 s12, s5, s14
	s_mov_b32 s15, s14
	s_addc_u32 s13, s13, s14
	s_xor_b64 s[12:13], s[12:13], s[14:15]
	s_mul_i32 s21, s12, s18
	s_mul_hi_u32 s23, s12, s20
	s_mul_hi_u32 s19, s12, s18
	s_add_u32 s21, s23, s21
	s_addc_u32 s19, 0, s19
	s_mul_hi_u32 s24, s13, s20
	s_mul_i32 s20, s13, s20
	s_add_u32 s20, s21, s20
	s_mul_hi_u32 s23, s13, s18
	s_addc_u32 s19, s19, s24
	s_addc_u32 s20, s23, 0
	s_mul_i32 s18, s13, s18
	s_add_u32 s23, s19, s18
	s_addc_u32 s24, 0, s20
	s_mul_i32 s18, s6, s24
	s_mul_hi_u32 s19, s6, s23
	s_add_i32 s18, s19, s18
	s_mul_i32 s19, s7, s23
	s_add_i32 s25, s18, s19
	s_sub_i32 s20, s13, s25
	s_mul_i32 s18, s6, s23
	s_sub_u32 s12, s12, s18
	s_cselect_b64 s[18:19], -1, 0
	s_cmp_lg_u64 s[18:19], 0
	s_subb_u32 s26, s20, s7
	s_sub_u32 s27, s12, s6
	s_cselect_b64 s[20:21], -1, 0
	s_cmp_lg_u64 s[20:21], 0
	s_subb_u32 s20, s26, 0
	s_cmp_ge_u32 s20, s7
	s_cselect_b32 s21, -1, 0
	s_cmp_ge_u32 s27, s6
	s_cselect_b32 s26, -1, 0
	s_cmp_eq_u32 s20, s7
	s_cselect_b32 s20, s26, s21
	s_add_u32 s21, s23, 1
	s_addc_u32 s26, s24, 0
	s_add_u32 s27, s23, 2
	s_addc_u32 s28, s24, 0
	s_cmp_lg_u32 s20, 0
	s_cselect_b32 s20, s27, s21
	s_cselect_b32 s21, s28, s26
	s_cmp_lg_u64 s[18:19], 0
	s_subb_u32 s13, s13, s25
	s_cmp_ge_u32 s13, s7
	s_cselect_b32 s18, -1, 0
	s_cmp_ge_u32 s12, s6
	s_cselect_b32 s6, -1, 0
	s_cmp_eq_u32 s13, s7
	s_cselect_b32 s6, s6, s18
	s_cmp_lg_u32 s6, 0
	s_cselect_b32 s7, s21, s24
	s_cselect_b32 s6, s20, s23
	s_xor_b64 s[12:13], s[14:15], 0
	s_xor_b64 s[6:7], s[6:7], s[12:13]
	s_sub_u32 s6, s6, s12
	s_load_dwordx4 s[12:15], s[0:1], 0x44
	s_cbranch_execnz .LBB48_3
.LBB48_2:
	v_cvt_f32_u32_e32 v1, s22
	s_sub_i32 s6, 0, s22
	v_rcp_iflag_f32_e32 v1, v1
	s_nop 0
	v_mul_f32_e32 v1, 0x4f7ffffe, v1
	v_cvt_u32_f32_e32 v1, v1
	s_nop 0
	v_readfirstlane_b32 s7, v1
	s_mul_i32 s6, s6, s7
	s_mul_hi_u32 s6, s7, s6
	s_add_i32 s7, s7, s6
	s_mul_hi_u32 s6, s5, s7
	s_waitcnt lgkmcnt(0)
	s_mul_i32 s15, s6, s22
	s_sub_i32 s5, s5, s15
	s_add_i32 s7, s6, 1
	s_sub_i32 s15, s5, s22
	s_cmp_ge_u32 s5, s22
	s_cselect_b32 s6, s7, s6
	s_cselect_b32 s5, s15, s5
	s_add_i32 s7, s6, 1
	s_cmp_ge_u32 s5, s22
	s_cselect_b32 s6, s7, s6
.LBB48_3:
	s_add_i32 s5, s2, 1
	s_mul_hi_i32 s21, s11, s5
	s_mov_b32 s20, 0
	s_cmp_lg_u64 s[20:21], 0
	s_mul_i32 s5, s11, s5
	s_cbranch_scc0 .LBB48_21
; %bb.4:
	s_add_u32 s16, s22, 0
	s_addc_u32 s17, 0, 0
	s_xor_b64 s[18:19], s[16:17], 0
	v_cvt_f32_u32_e32 v1, s18
	v_cvt_f32_u32_e32 v2, s19
	s_sub_u32 s7, 0, s18
	s_waitcnt lgkmcnt(0)
	s_subb_u32 s15, 0, s19
	v_fmamk_f32 v1, v2, 0x4f800000, v1
	v_rcp_f32_e32 v1, v1
	s_nop 0
	v_mul_f32_e32 v1, 0x5f7ffffc, v1
	v_mul_f32_e32 v2, 0x2f800000, v1
	v_trunc_f32_e32 v2, v2
	v_fmamk_f32 v1, v2, 0xcf800000, v1
	v_cvt_u32_f32_e32 v2, v2
	v_cvt_u32_f32_e32 v1, v1
	v_readfirstlane_b32 s20, v2
	v_readfirstlane_b32 s23, v1
	s_mul_i32 s24, s7, s20
	s_mul_hi_u32 s26, s7, s23
	s_mul_i32 s25, s15, s23
	s_add_i32 s24, s26, s24
	s_add_i32 s24, s24, s25
	s_mul_i32 s27, s7, s23
	s_mul_i32 s26, s23, s24
	s_mul_hi_u32 s28, s23, s27
	s_mul_hi_u32 s25, s23, s24
	s_add_u32 s26, s28, s26
	s_addc_u32 s25, 0, s25
	s_mul_hi_u32 s29, s20, s27
	s_mul_i32 s27, s20, s27
	s_add_u32 s26, s26, s27
	s_mul_hi_u32 s28, s20, s24
	s_addc_u32 s25, s25, s29
	s_addc_u32 s26, s28, 0
	s_mul_i32 s24, s20, s24
	s_add_u32 s24, s25, s24
	s_addc_u32 s26, 0, s26
	s_add_u32 s23, s23, s24
	s_cselect_b64 s[24:25], -1, 0
	s_cmp_lg_u64 s[24:25], 0
	s_addc_u32 s20, s20, s26
	s_mul_i32 s24, s7, s20
	s_mul_hi_u32 s25, s7, s23
	s_add_i32 s24, s25, s24
	s_mul_i32 s15, s15, s23
	s_add_i32 s24, s24, s15
	s_mul_i32 s7, s7, s23
	s_mul_hi_u32 s25, s20, s7
	s_mul_i32 s26, s20, s7
	s_mul_i32 s28, s23, s24
	s_mul_hi_u32 s7, s23, s7
	s_mul_hi_u32 s27, s23, s24
	s_add_u32 s7, s7, s28
	s_addc_u32 s27, 0, s27
	s_add_u32 s7, s7, s26
	s_mul_hi_u32 s15, s20, s24
	s_addc_u32 s7, s27, s25
	s_addc_u32 s15, s15, 0
	s_mul_i32 s24, s20, s24
	s_add_u32 s7, s7, s24
	s_addc_u32 s15, 0, s15
	s_add_u32 s7, s23, s7
	s_cselect_b64 s[24:25], -1, 0
	s_cmp_lg_u64 s[24:25], 0
	s_addc_u32 s15, s20, s15
	s_ashr_i32 s24, s21, 31
	s_add_u32 s20, s5, s24
	s_mov_b32 s25, s24
	s_addc_u32 s21, s21, s24
	s_xor_b64 s[20:21], s[20:21], s[24:25]
	s_mul_i32 s26, s20, s15
	s_mul_hi_u32 s27, s20, s7
	s_mul_hi_u32 s23, s20, s15
	s_add_u32 s26, s27, s26
	s_addc_u32 s23, 0, s23
	s_mul_hi_u32 s28, s21, s7
	s_mul_i32 s7, s21, s7
	s_add_u32 s7, s26, s7
	s_mul_hi_u32 s27, s21, s15
	s_addc_u32 s7, s23, s28
	s_addc_u32 s23, s27, 0
	s_mul_i32 s15, s21, s15
	s_add_u32 s7, s7, s15
	s_addc_u32 s15, 0, s23
	s_mul_i32 s23, s18, s15
	s_mul_hi_u32 s26, s18, s7
	s_add_i32 s23, s26, s23
	s_mul_i32 s26, s19, s7
	s_add_i32 s23, s23, s26
	s_sub_i32 s28, s21, s23
	s_mul_i32 s26, s18, s7
	s_sub_u32 s20, s20, s26
	s_cselect_b64 s[26:27], -1, 0
	s_cmp_lg_u64 s[26:27], 0
	s_subb_u32 s30, s28, s19
	s_sub_u32 s31, s20, s18
	s_cselect_b64 s[28:29], -1, 0
	s_cmp_lg_u64 s[28:29], 0
	s_subb_u32 s28, s30, 0
	s_cmp_ge_u32 s28, s19
	s_cselect_b32 s29, -1, 0
	s_cmp_ge_u32 s31, s18
	s_cselect_b32 s30, -1, 0
	s_cmp_eq_u32 s28, s19
	s_cselect_b32 s28, s30, s29
	s_add_u32 s29, s7, 1
	s_addc_u32 s30, s15, 0
	s_add_u32 s31, s7, 2
	s_addc_u32 s33, s15, 0
	s_cmp_lg_u32 s28, 0
	s_cselect_b32 s28, s31, s29
	s_cselect_b32 s29, s33, s30
	s_cmp_lg_u64 s[26:27], 0
	s_subb_u32 s21, s21, s23
	s_cmp_ge_u32 s21, s19
	s_cselect_b32 s23, -1, 0
	s_cmp_ge_u32 s20, s18
	s_cselect_b32 s18, -1, 0
	s_cmp_eq_u32 s21, s19
	s_cselect_b32 s18, s18, s23
	s_cmp_lg_u32 s18, 0
	s_cselect_b32 s19, s29, s15
	s_cselect_b32 s18, s28, s7
	s_xor_b64 s[20:21], s[24:25], 0
	s_xor_b64 s[18:19], s[18:19], s[20:21]
	s_sub_u32 s18, s18, s20
	s_cbranch_execnz .LBB48_6
.LBB48_5:
	v_cvt_f32_u32_e32 v1, s22
	s_sub_i32 s7, 0, s22
	v_rcp_iflag_f32_e32 v1, v1
	s_nop 0
	v_mul_f32_e32 v1, 0x4f7ffffe, v1
	v_cvt_u32_f32_e32 v1, v1
	s_waitcnt lgkmcnt(0)
	v_readfirstlane_b32 s15, v1
	s_mul_i32 s7, s7, s15
	s_mul_hi_u32 s7, s15, s7
	s_add_i32 s15, s15, s7
	s_mul_hi_u32 s7, s5, s15
	s_mul_i32 s16, s7, s22
	s_sub_i32 s5, s5, s16
	s_add_i32 s15, s7, 1
	s_sub_i32 s16, s5, s22
	s_cmp_ge_u32 s5, s22
	s_cselect_b32 s7, s15, s7
	s_cselect_b32 s5, s16, s5
	s_add_i32 s15, s7, 1
	s_cmp_ge_u32 s5, s22
	s_cselect_b32 s18, s15, s7
.LBB48_6:
	s_cmp_eq_u32 s6, s18
	s_waitcnt lgkmcnt(0)
	s_mul_hi_u32 s5, s6, s12
	s_cselect_b64 s[16:17], -1, 0
	s_add_i32 s5, s5, s6
	s_lshr_b32 s7, s5, s13
	s_mul_i32 s5, s7, s14
	s_cmp_eq_u32 s5, s6
	s_mul_hi_u32 s5, s18, s12
	s_cselect_b64 s[20:21], -1, 0
	s_add_i32 s5, s5, s18
	s_lshr_b32 s5, s5, s13
	s_cmp_eq_u32 s7, s5
	s_mul_i32 s5, s5, s14
	s_cselect_b64 s[24:25], -1, 0
	s_cmp_lg_u32 s5, s18
	s_cselect_b64 s[18:19], -1, 0
	s_and_b64 s[18:19], s[24:25], s[18:19]
	s_or_b64 s[16:17], s[16:17], s[20:21]
	s_or_b64 s[16:17], s[16:17], s[18:19]
	s_and_b64 vcc, exec, s[16:17]
	s_cbranch_vccnz .LBB48_23
; %bb.7:
	s_load_dwordx8 s[24:31], s[0:1], 0x20
	s_load_dword s5, s[0:1], 0x40
	s_waitcnt lgkmcnt(0)
	s_mul_hi_u32 s15, s6, s24
	s_add_i32 s15, s15, s6
	s_lshr_b32 s20, s15, s25
	s_mul_i32 s15, s20, s26
	s_sub_i32 s15, s6, s15
	s_mul_hi_u32 s16, s15, s27
	s_add_i32 s16, s15, s16
	s_lshr_b32 s21, s16, s28
	s_mul_i32 s16, s21, s29
	s_sub_i32 s15, s15, s16
	;; [unrolled: 5-line block ×3, first 2 shown]
	s_mul_hi_u32 s15, s5, s12
	s_add_i32 s5, s5, s15
	s_lshr_b32 s23, s5, s13
	s_lshl_b32 s5, s23, 1
	s_lshl_b32 s24, s16, 1
	s_add_i32 s5, s5, s3
	s_cmp_lt_i32 s5, s8
	s_cselect_b64 s[16:17], -1, 0
	s_add_i32 s24, s24, s4
	s_cmp_lt_i32 s24, s10
	s_cselect_b64 s[18:19], -1, 0
	s_and_b64 s[16:17], s[16:17], s[18:19]
	s_andn2_b64 vcc, exec, s[16:17]
	s_cbranch_vccnz .LBB48_23
; %bb.8:
	s_load_dwordx4 s[16:19], s[0:1], 0x0
	s_mov_b32 s0, 0
	s_lshl_b32 s15, s3, 1
	s_lshl_b32 s26, s22, 4
	s_mov_b32 s27, s0
	s_add_i32 s15, s15, s4
	s_lshl_b64 s[4:5], s[26:27], 2
	s_waitcnt lgkmcnt(0)
	s_add_u32 s4, s18, s4
	s_mul_i32 s1, s20, s8
	s_addc_u32 s5, s19, s5
	s_mul_i32 s21, s21, s10
	s_add_i32 s1, s1, s3
	s_mul_i32 s1, s1, s9
	s_add_i32 s3, s24, s21
	s_mul_i32 s8, s9, s23
	s_add_i32 s1, s3, s1
	s_mulk_i32 s8, 0xe0
	s_mulk_i32 s1, 0x70
	s_add_i32 s8, s8, s1
	v_add_u32_e32 v4, s8, v0
	v_mov_b32_e32 v2, s16
	v_mov_b32_e32 v3, s17
	v_ashrrev_i32_e32 v5, 31, v4
	v_lshl_add_u64 v[2:3], v[4:5], 2, v[2:3]
	global_load_dword v1, v[2:3], off
	v_cvt_f32_u32_e32 v4, s22
	s_lshl_b32 s1, s2, 2
	s_add_i32 s8, s15, s1
	s_ashr_i32 s9, s8, 31
	s_lshl_b64 s[8:9], s[8:9], 3
	v_rcp_iflag_f32_e32 v4, v4
	s_add_u32 s8, s18, s8
	s_addc_u32 s9, s19, s9
	s_load_dwordx2 s[8:9], s[8:9], 0x0
	v_mul_f32_e32 v4, 0x4f7ffffe, v4
	v_cvt_u32_f32_e32 v7, v4
	s_mul_i32 s1, s15, 0x70
	s_add_i32 s21, s2, -1
	v_add_u32_e32 v6, s1, v0
	s_waitcnt lgkmcnt(0)
	v_mov_b32_e32 v0, s9
	v_mov_b32_e32 v9, s8
	s_mov_b32 s10, 0x3fb8aa3b
	s_mov_b32 s20, 0xc2ce8ed0
	;; [unrolled: 1-line block ×4, first 2 shown]
	v_mov_b32_e32 v8, 0x7f800000
	s_mul_hi_i32 s1, s21, s11
	s_cmp_lg_u64 s[0:1], 0
	s_mul_i32 s16, s21, s11
	s_cbranch_scc0 .LBB48_19
.LBB48_9:
	s_add_u32 s2, s22, 0
	s_addc_u32 s3, 0, 0
	s_xor_b64 s[2:3], s[2:3], 0
	v_cvt_f32_u32_e32 v4, s2
	v_cvt_f32_u32_e32 v5, s3
	s_sub_u32 s17, 0, s2
	s_subb_u32 s25, 0, s3
	v_fmac_f32_e32 v4, 0x4f800000, v5
	v_rcp_f32_e32 v4, v4
	s_nop 0
	v_mul_f32_e32 v4, 0x5f7ffffc, v4
	v_mul_f32_e32 v5, 0x2f800000, v4
	v_trunc_f32_e32 v5, v5
	v_fmac_f32_e32 v4, 0xcf800000, v5
	v_cvt_u32_f32_e32 v5, v5
	v_cvt_u32_f32_e32 v4, v4
	v_readfirstlane_b32 s26, v5
	v_readfirstlane_b32 s8, v4
	s_mul_i32 s9, s17, s26
	s_mul_hi_u32 s28, s17, s8
	s_mul_i32 s27, s25, s8
	s_add_i32 s9, s28, s9
	s_mul_i32 s29, s17, s8
	s_add_i32 s9, s9, s27
	s_mul_i32 s28, s8, s9
	s_mul_hi_u32 s30, s8, s29
	s_mul_hi_u32 s27, s8, s9
	s_add_u32 s28, s30, s28
	s_addc_u32 s27, 0, s27
	s_mul_hi_u32 s31, s26, s29
	s_mul_i32 s29, s26, s29
	s_add_u32 s28, s28, s29
	s_mul_hi_u32 s30, s26, s9
	s_addc_u32 s27, s27, s31
	s_addc_u32 s28, s30, 0
	s_mul_i32 s9, s26, s9
	s_add_u32 s9, s27, s9
	s_addc_u32 s27, 0, s28
	s_add_u32 s28, s8, s9
	s_cselect_b64 s[8:9], -1, 0
	s_cmp_lg_u64 s[8:9], 0
	s_addc_u32 s26, s26, s27
	s_mul_i32 s8, s17, s26
	s_mul_hi_u32 s9, s17, s28
	s_add_i32 s8, s9, s8
	s_mul_i32 s25, s25, s28
	s_add_i32 s8, s8, s25
	s_mul_i32 s17, s17, s28
	s_mul_hi_u32 s25, s26, s17
	s_mul_i32 s27, s26, s17
	s_mul_i32 s30, s28, s8
	s_mul_hi_u32 s17, s28, s17
	s_mul_hi_u32 s29, s28, s8
	s_add_u32 s17, s17, s30
	s_addc_u32 s29, 0, s29
	s_add_u32 s17, s17, s27
	s_mul_hi_u32 s9, s26, s8
	s_addc_u32 s17, s29, s25
	s_addc_u32 s9, s9, 0
	s_mul_i32 s8, s26, s8
	s_add_u32 s8, s17, s8
	s_addc_u32 s17, 0, s9
	s_add_u32 s25, s28, s8
	s_cselect_b64 s[8:9], -1, 0
	s_cmp_lg_u64 s[8:9], 0
	s_addc_u32 s17, s26, s17
	s_ashr_i32 s8, s1, 31
	s_add_u32 s26, s16, s8
	s_mov_b32 s9, s8
	s_addc_u32 s27, s1, s8
	s_xor_b64 s[26:27], s[26:27], s[8:9]
	s_mul_i32 s28, s26, s17
	s_mul_hi_u32 s29, s26, s25
	s_mul_hi_u32 s1, s26, s17
	s_add_u32 s28, s29, s28
	s_addc_u32 s1, 0, s1
	s_mul_hi_u32 s30, s27, s25
	s_mul_i32 s25, s27, s25
	s_add_u32 s25, s28, s25
	s_mul_hi_u32 s29, s27, s17
	s_addc_u32 s1, s1, s30
	s_addc_u32 s25, s29, 0
	s_mul_i32 s17, s27, s17
	s_add_u32 s1, s1, s17
	s_addc_u32 s17, 0, s25
	s_mul_i32 s25, s2, s17
	s_mul_hi_u32 s28, s2, s1
	s_add_i32 s25, s28, s25
	s_mul_i32 s28, s3, s1
	s_add_i32 s25, s25, s28
	s_sub_i32 s30, s27, s25
	s_mul_i32 s28, s2, s1
	s_sub_u32 s26, s26, s28
	s_cselect_b64 s[28:29], -1, 0
	s_cmp_lg_u64 s[28:29], 0
	s_subb_u32 s33, s30, s3
	s_sub_u32 s34, s26, s2
	s_cselect_b64 s[30:31], -1, 0
	s_cmp_lg_u64 s[30:31], 0
	s_subb_u32 s30, s33, 0
	s_cmp_ge_u32 s30, s3
	s_cselect_b32 s31, -1, 0
	s_cmp_ge_u32 s34, s2
	s_cselect_b32 s33, -1, 0
	s_cmp_eq_u32 s30, s3
	s_cselect_b32 s30, s33, s31
	s_add_u32 s31, s1, 1
	s_addc_u32 s33, s17, 0
	s_add_u32 s34, s1, 2
	s_addc_u32 s35, s17, 0
	s_cmp_lg_u32 s30, 0
	s_cselect_b32 s30, s34, s31
	s_cselect_b32 s31, s35, s33
	s_cmp_lg_u64 s[28:29], 0
	s_subb_u32 s25, s27, s25
	s_cmp_ge_u32 s25, s3
	s_cselect_b32 s27, -1, 0
	s_cmp_ge_u32 s26, s2
	s_cselect_b32 s2, -1, 0
	s_cmp_eq_u32 s25, s3
	s_cselect_b32 s2, s2, s27
	s_cmp_lg_u32 s2, 0
	s_cselect_b32 s3, s31, s17
	s_cselect_b32 s2, s30, s1
	s_xor_b64 s[8:9], s[8:9], 0
	s_xor_b64 s[2:3], s[2:3], s[8:9]
	s_sub_u32 s8, s2, s8
	s_cbranch_execnz .LBB48_11
.LBB48_10:
	s_sub_i32 s1, 0, s22
	v_readfirstlane_b32 s2, v7
	s_mul_i32 s1, s1, s2
	s_mul_hi_u32 s1, s2, s1
	s_add_i32 s2, s2, s1
	s_mul_hi_u32 s1, s16, s2
	s_mul_i32 s3, s1, s22
	s_sub_i32 s3, s16, s3
	s_add_i32 s2, s1, 1
	s_sub_i32 s8, s3, s22
	s_cmp_ge_u32 s3, s22
	s_cselect_b32 s1, s2, s1
	s_cselect_b32 s3, s8, s3
	s_add_i32 s2, s1, 1
	s_cmp_ge_u32 s3, s22
	s_cselect_b32 s8, s2, s1
.LBB48_11:
	s_cmp_lg_u32 s6, s8
	s_cbranch_scc0 .LBB48_15
; %bb.12:
	s_add_i32 s1, s21, s22
	s_lshl_b32 s1, s1, 2
	s_add_i32 s2, s1, s15
	s_mov_b32 s3, s0
	s_lshl_b64 s[2:3], s[2:3], 3
	s_add_u32 s16, s18, s2
	s_mul_hi_u32 s1, s8, s12
	s_addc_u32 s17, s19, s3
	s_add_i32 s1, s1, s8
	s_lshr_b32 s1, s1, s13
	s_mul_i32 s2, s1, s14
	s_cmp_eq_u32 s2, s8
	s_cselect_b64 s[2:3], -1, 0
	s_cmp_lt_u32 s1, s7
	s_cselect_b64 s[26:27], -1, 0
	s_or_b64 s[26:27], s[26:27], s[2:3]
	s_mov_b64 s[2:3], -1
	s_and_b64 vcc, exec, s[26:27]
	s_mov_b32 s1, s21
	s_mov_b32 s25, s6
	s_cbranch_vccnz .LBB48_14
; %bb.13:
	s_add_i32 s1, s21, -1
	s_mov_b64 s[2:3], 0
	s_mov_b32 s25, s8
.LBB48_14:
	s_mul_i32 s8, s21, 0x1c0
	v_add_u32_e32 v4, s8, v6
	v_ashrrev_i32_e32 v5, 31, v4
	v_lshl_add_u64 v[4:5], v[4:5], 2, s[4:5]
	global_load_dword v5, v[4:5], off
	s_load_dwordx2 s[8:9], s[16:17], 0x0
	v_max_f32_e32 v4, v9, v9
	s_waitcnt lgkmcnt(0)
	v_max_f32_e64 v10, s8, s8
	v_max_f32_e32 v10, v4, v10
	v_sub_f32_e32 v11, v9, v10
	v_sub_f32_e32 v13, s8, v10
	v_mul_f32_e32 v4, 0x3fb8aa3b, v11
	v_mul_f32_e32 v12, 0x3fb8aa3b, v13
	v_fma_f32 v14, v11, s10, -v4
	v_rndne_f32_e32 v15, v4
	v_fma_f32 v16, v13, s10, -v12
	v_rndne_f32_e32 v17, v12
	v_fmac_f32_e32 v14, 0x32a5705f, v11
	v_sub_f32_e32 v4, v4, v15
	v_fmac_f32_e32 v16, 0x32a5705f, v13
	v_sub_f32_e32 v12, v12, v17
	v_add_f32_e32 v4, v4, v14
	v_cvt_i32_f32_e32 v15, v15
	v_add_f32_e32 v12, v12, v16
	v_exp_f32_e32 v14, v4
	v_cvt_i32_f32_e32 v17, v17
	v_exp_f32_e32 v12, v12
	v_cmp_ngt_f32_e32 vcc, s20, v11
	v_ldexp_f32 v14, v14, v15
	v_mov_b32_e32 v4, s9
	v_ldexp_f32 v12, v12, v17
	v_cndmask_b32_e32 v14, 0, v14, vcc
	v_cmp_ngt_f32_e32 vcc, s20, v13
	s_nop 1
	v_cndmask_b32_e32 v12, 0, v12, vcc
	v_cmp_nlt_f32_e32 vcc, s23, v11
	s_nop 1
	v_cndmask_b32_e32 v14, v8, v14, vcc
	v_cmp_nlt_f32_e32 vcc, s23, v13
	s_nop 1
	v_cndmask_b32_e32 v15, v8, v12, vcc
	v_cmp_le_f32_e32 vcc, s24, v11
	s_nop 1
	v_cndmask_b32_e32 v12, 0, v14, vcc
	v_cmp_le_f32_e32 vcc, s24, v13
	s_nop 1
	v_cndmask_b32_e32 v14, 0, v15, vcc
	s_waitcnt vmcnt(0)
	v_pk_mul_f32 v[4:5], v[4:5], v[14:15] op_sel_hi:[1,0]
	s_nop 0
	v_pk_fma_f32 v[4:5], v[0:1], v[12:13], v[4:5] op_sel_hi:[1,0,1]
	s_cbranch_execz .LBB48_16
	s_branch .LBB48_17
.LBB48_15:
                                        ; implicit-def: $vgpr4_vgpr5
                                        ; implicit-def: $sgpr2_sgpr3
                                        ; implicit-def: $vgpr10
                                        ; implicit-def: $sgpr1
                                        ; implicit-def: $sgpr25
.LBB48_16:
	s_add_i32 s1, s21, -1
	s_mov_b64 s[2:3], 0
	s_mov_b32 s25, s6
	v_mov_b32_e32 v10, v9
	s_waitcnt vmcnt(0)
	v_mov_b64_e32 v[4:5], v[0:1]
.LBB48_17:
	s_andn2_b64 vcc, exec, s[2:3]
	s_cbranch_vccz .LBB48_22
; %bb.18:
	s_mov_b32 s6, s25
	s_mov_b32 s21, s1
	v_mov_b32_e32 v9, v10
	s_waitcnt vmcnt(0)
	v_mov_b64_e32 v[0:1], v[4:5]
	s_mul_hi_i32 s1, s21, s11
	s_cmp_lg_u64 s[0:1], 0
	s_mul_i32 s16, s21, s11
	s_cbranch_scc1 .LBB48_9
.LBB48_19:
                                        ; implicit-def: $sgpr8_sgpr9
	s_branch .LBB48_10
.LBB48_20:
                                        ; implicit-def: $sgpr6_sgpr7
	s_load_dwordx4 s[12:15], s[0:1], 0x44
	s_branch .LBB48_2
.LBB48_21:
                                        ; implicit-def: $sgpr18_sgpr19
	s_branch .LBB48_5
.LBB48_22:
	v_div_scale_f32 v0, s[0:1], v4, v4, v5
	s_waitcnt vmcnt(0)
	v_rcp_f32_e32 v1, v0
	v_div_scale_f32 v6, vcc, v5, v4, v5
	v_fma_f32 v7, -v0, v1, 1.0
	v_fmac_f32_e32 v1, v7, v1
	v_mul_f32_e32 v7, v6, v1
	v_fma_f32 v8, -v0, v7, v6
	v_fmac_f32_e32 v7, v8, v1
	v_fma_f32 v0, -v0, v7, v6
	v_div_fmas_f32 v0, v0, v1, v7
	v_div_fixup_f32 v0, v0, v4, v5
	global_store_dword v[2:3], v0, off
.LBB48_23:
	s_endpgm
	.section	.rodata,"a",@progbits
	.p2align	6, 0x0
	.amdhsa_kernel _ZL33flash_attn_stream_k_fixup_generalILi112ELi2ELi2EEvPfPK15HIP_vector_typeIfLj2EEiiiiS1_IjLj3EES5_S5_S5_
		.amdhsa_group_segment_fixed_size 0
		.amdhsa_private_segment_fixed_size 0
		.amdhsa_kernarg_size 336
		.amdhsa_user_sgpr_count 2
		.amdhsa_user_sgpr_dispatch_ptr 0
		.amdhsa_user_sgpr_queue_ptr 0
		.amdhsa_user_sgpr_kernarg_segment_ptr 1
		.amdhsa_user_sgpr_dispatch_id 0
		.amdhsa_user_sgpr_kernarg_preload_length 0
		.amdhsa_user_sgpr_kernarg_preload_offset 0
		.amdhsa_user_sgpr_private_segment_size 0
		.amdhsa_uses_dynamic_stack 0
		.amdhsa_enable_private_segment 0
		.amdhsa_system_sgpr_workgroup_id_x 1
		.amdhsa_system_sgpr_workgroup_id_y 1
		.amdhsa_system_sgpr_workgroup_id_z 1
		.amdhsa_system_sgpr_workgroup_info 0
		.amdhsa_system_vgpr_workitem_id 0
		.amdhsa_next_free_vgpr 18
		.amdhsa_next_free_sgpr 36
		.amdhsa_accum_offset 20
		.amdhsa_reserve_vcc 1
		.amdhsa_float_round_mode_32 0
		.amdhsa_float_round_mode_16_64 0
		.amdhsa_float_denorm_mode_32 3
		.amdhsa_float_denorm_mode_16_64 3
		.amdhsa_dx10_clamp 1
		.amdhsa_ieee_mode 1
		.amdhsa_fp16_overflow 0
		.amdhsa_tg_split 0
		.amdhsa_exception_fp_ieee_invalid_op 0
		.amdhsa_exception_fp_denorm_src 0
		.amdhsa_exception_fp_ieee_div_zero 0
		.amdhsa_exception_fp_ieee_overflow 0
		.amdhsa_exception_fp_ieee_underflow 0
		.amdhsa_exception_fp_ieee_inexact 0
		.amdhsa_exception_int_div_zero 0
	.end_amdhsa_kernel
	.section	.text._ZL33flash_attn_stream_k_fixup_generalILi112ELi2ELi2EEvPfPK15HIP_vector_typeIfLj2EEiiiiS1_IjLj3EES5_S5_S5_,"axG",@progbits,_ZL33flash_attn_stream_k_fixup_generalILi112ELi2ELi2EEvPfPK15HIP_vector_typeIfLj2EEiiiiS1_IjLj3EES5_S5_S5_,comdat
.Lfunc_end48:
	.size	_ZL33flash_attn_stream_k_fixup_generalILi112ELi2ELi2EEvPfPK15HIP_vector_typeIfLj2EEiiiiS1_IjLj3EES5_S5_S5_, .Lfunc_end48-_ZL33flash_attn_stream_k_fixup_generalILi112ELi2ELi2EEvPfPK15HIP_vector_typeIfLj2EEiiiiS1_IjLj3EES5_S5_S5_
                                        ; -- End function
	.set _ZL33flash_attn_stream_k_fixup_generalILi112ELi2ELi2EEvPfPK15HIP_vector_typeIfLj2EEiiiiS1_IjLj3EES5_S5_S5_.num_vgpr, 18
	.set _ZL33flash_attn_stream_k_fixup_generalILi112ELi2ELi2EEvPfPK15HIP_vector_typeIfLj2EEiiiiS1_IjLj3EES5_S5_S5_.num_agpr, 0
	.set _ZL33flash_attn_stream_k_fixup_generalILi112ELi2ELi2EEvPfPK15HIP_vector_typeIfLj2EEiiiiS1_IjLj3EES5_S5_S5_.numbered_sgpr, 36
	.set _ZL33flash_attn_stream_k_fixup_generalILi112ELi2ELi2EEvPfPK15HIP_vector_typeIfLj2EEiiiiS1_IjLj3EES5_S5_S5_.num_named_barrier, 0
	.set _ZL33flash_attn_stream_k_fixup_generalILi112ELi2ELi2EEvPfPK15HIP_vector_typeIfLj2EEiiiiS1_IjLj3EES5_S5_S5_.private_seg_size, 0
	.set _ZL33flash_attn_stream_k_fixup_generalILi112ELi2ELi2EEvPfPK15HIP_vector_typeIfLj2EEiiiiS1_IjLj3EES5_S5_S5_.uses_vcc, 1
	.set _ZL33flash_attn_stream_k_fixup_generalILi112ELi2ELi2EEvPfPK15HIP_vector_typeIfLj2EEiiiiS1_IjLj3EES5_S5_S5_.uses_flat_scratch, 0
	.set _ZL33flash_attn_stream_k_fixup_generalILi112ELi2ELi2EEvPfPK15HIP_vector_typeIfLj2EEiiiiS1_IjLj3EES5_S5_S5_.has_dyn_sized_stack, 0
	.set _ZL33flash_attn_stream_k_fixup_generalILi112ELi2ELi2EEvPfPK15HIP_vector_typeIfLj2EEiiiiS1_IjLj3EES5_S5_S5_.has_recursion, 0
	.set _ZL33flash_attn_stream_k_fixup_generalILi112ELi2ELi2EEvPfPK15HIP_vector_typeIfLj2EEiiiiS1_IjLj3EES5_S5_S5_.has_indirect_call, 0
	.section	.AMDGPU.csdata,"",@progbits
; Kernel info:
; codeLenInByte = 2944
; TotalNumSgprs: 42
; NumVgprs: 18
; NumAgprs: 0
; TotalNumVgprs: 18
; ScratchSize: 0
; MemoryBound: 0
; FloatMode: 240
; IeeeMode: 1
; LDSByteSize: 0 bytes/workgroup (compile time only)
; SGPRBlocks: 5
; VGPRBlocks: 2
; NumSGPRsForWavesPerEU: 42
; NumVGPRsForWavesPerEU: 18
; AccumOffset: 20
; Occupancy: 8
; WaveLimiterHint : 0
; COMPUTE_PGM_RSRC2:SCRATCH_EN: 0
; COMPUTE_PGM_RSRC2:USER_SGPR: 2
; COMPUTE_PGM_RSRC2:TRAP_HANDLER: 0
; COMPUTE_PGM_RSRC2:TGID_X_EN: 1
; COMPUTE_PGM_RSRC2:TGID_Y_EN: 1
; COMPUTE_PGM_RSRC2:TGID_Z_EN: 1
; COMPUTE_PGM_RSRC2:TIDIG_COMP_CNT: 0
; COMPUTE_PGM_RSRC3_GFX90A:ACCUM_OFFSET: 4
; COMPUTE_PGM_RSRC3_GFX90A:TG_SPLIT: 0
	.section	.text._ZL15flash_attn_tileILi112ELi112ELi1ELi2ELb0EEvPKcS1_S1_S1_S1_PKiPfP15HIP_vector_typeIfLj2EEffffjfiS5_IjLj3EEiiiiiiiiiiiliiliiiiil,"axG",@progbits,_ZL15flash_attn_tileILi112ELi112ELi1ELi2ELb0EEvPKcS1_S1_S1_S1_PKiPfP15HIP_vector_typeIfLj2EEffffjfiS5_IjLj3EEiiiiiiiiiiiliiliiiiil,comdat
	.globl	_ZL15flash_attn_tileILi112ELi112ELi1ELi2ELb0EEvPKcS1_S1_S1_S1_PKiPfP15HIP_vector_typeIfLj2EEffffjfiS5_IjLj3EEiiiiiiiiiiiliiliiiiil ; -- Begin function _ZL15flash_attn_tileILi112ELi112ELi1ELi2ELb0EEvPKcS1_S1_S1_S1_PKiPfP15HIP_vector_typeIfLj2EEffffjfiS5_IjLj3EEiiiiiiiiiiiliiliiiiil
	.p2align	8
	.type	_ZL15flash_attn_tileILi112ELi112ELi1ELi2ELb0EEvPKcS1_S1_S1_S1_PKiPfP15HIP_vector_typeIfLj2EEffffjfiS5_IjLj3EEiiiiiiiiiiiliiliiiiil,@function
_ZL15flash_attn_tileILi112ELi112ELi1ELi2ELb0EEvPKcS1_S1_S1_S1_PKiPfP15HIP_vector_typeIfLj2EEffffjfiS5_IjLj3EEiiiiiiiiiiiliiliiiiil: ; @_ZL15flash_attn_tileILi112ELi112ELi1ELi2ELb0EEvPKcS1_S1_S1_S1_PKiPfP15HIP_vector_typeIfLj2EEffffjfiS5_IjLj3EEiiiiiiiiiiiliiliiiiil
; %bb.0:
	s_load_dwordx4 s[20:23], s[0:1], 0x5c
	s_load_dwordx2 s[24:25], s[0:1], 0x80
	s_load_dwordx2 s[28:29], s[0:1], 0xb8
	s_mov_b64 s[26:27], 0
	s_waitcnt lgkmcnt(0)
	s_lshr_b32 s5, s23, 31
	s_add_i32 s5, s23, s5
	s_ashr_i32 s5, s5, 1
	v_cvt_f32_u32_e32 v1, s5
	s_sub_i32 s6, 0, s5
	v_rcp_iflag_f32_e32 v1, v1
	s_nop 0
	v_mul_f32_e32 v1, 0x4f7ffffe, v1
	v_cvt_u32_f32_e32 v1, v1
	s_nop 0
	v_readfirstlane_b32 s7, v1
	s_mul_i32 s6, s6, s7
	s_mul_hi_u32 s6, s7, s6
	s_add_i32 s7, s7, s6
	s_mul_hi_u32 s6, s4, s7
	s_mul_i32 s7, s6, s5
	s_sub_i32 s7, s4, s7
	s_add_i32 s8, s6, 1
	s_sub_i32 s9, s7, s5
	s_cmp_ge_u32 s7, s5
	s_cselect_b32 s6, s8, s6
	s_cselect_b32 s7, s9, s7
	s_add_i32 s8, s6, 1
	s_cmp_ge_u32 s7, s5
	s_cselect_b32 s33, s8, s6
	s_abs_i32 s5, s25
	v_cvt_f32_u32_e32 v1, s5
	s_sub_i32 s7, 0, s5
	s_abs_i32 s6, s23
	s_lshl_b32 s30, s4, 1
	v_rcp_iflag_f32_e32 v1, v1
	s_xor_b32 s4, s23, s25
	s_ashr_i32 s4, s4, 31
	s_mul_i32 s25, s33, s23
	v_mul_f32_e32 v1, 0x4f7ffffe, v1
	v_cvt_u32_f32_e32 v1, v1
	s_nop 0
	v_readfirstlane_b32 s8, v1
	s_mul_i32 s7, s7, s8
	s_mul_hi_u32 s7, s8, s7
	s_add_i32 s8, s8, s7
	s_mul_hi_u32 s7, s6, s8
	s_mul_i32 s8, s7, s5
	s_sub_i32 s6, s6, s8
	s_add_i32 s9, s7, 1
	s_sub_i32 s8, s6, s5
	s_cmp_ge_u32 s6, s5
	s_cselect_b32 s7, s9, s7
	s_cselect_b32 s6, s8, s6
	s_add_i32 s8, s7, 1
	s_cmp_ge_u32 s6, s5
	s_cselect_b32 s5, s8, s7
	s_xor_b32 s5, s5, s4
	s_sub_i32 s34, s5, s4
	s_abs_i32 s35, s34
	v_cvt_f32_u32_e32 v1, s35
	s_load_dwordx16 s[4:19], s[0:1], 0x0
	v_rcp_iflag_f32_e32 v1, v1
	s_waitcnt lgkmcnt(0)
	s_cmp_eq_u64 s[10:11], 0
	v_mul_f32_e32 v1, 0x4f7ffffe, v1
	v_cvt_u32_f32_e32 v1, v1
	s_nop 0
	v_readfirstlane_b32 s36, v1
	s_cbranch_scc1 .LBB49_2
; %bb.1:
	s_abs_i32 s28, s28
	v_cvt_f32_u32_e32 v1, s28
	s_sub_i32 s38, 0, s28
	s_abs_i32 s37, s33
	s_ashr_i32 s31, s33, 31
	v_rcp_iflag_f32_e32 v1, v1
	s_load_dwordx2 s[26:27], s[0:1], 0xc8
	v_mul_f32_e32 v1, 0x4f7ffffe, v1
	v_cvt_u32_f32_e32 v1, v1
	s_nop 0
	v_readfirstlane_b32 s39, v1
	s_mul_i32 s38, s38, s39
	s_mul_hi_u32 s38, s39, s38
	s_add_i32 s39, s39, s38
	s_mul_hi_u32 s38, s37, s39
	s_mul_i32 s38, s38, s28
	s_sub_i32 s37, s37, s38
	s_sub_i32 s38, s37, s28
	s_cmp_ge_u32 s37, s28
	s_cselect_b32 s37, s38, s37
	s_sub_i32 s38, s37, s28
	s_cmp_ge_u32 s37, s28
	s_cselect_b32 s28, s38, s37
	s_xor_b32 s28, s28, s31
	s_sub_i32 s28, s28, s31
	s_ashr_i32 s31, s28, 31
	s_waitcnt lgkmcnt(0)
	s_mul_hi_u32 s37, s26, s28
	s_mul_i32 s31, s26, s31
	s_mul_i32 s27, s27, s28
	s_add_i32 s31, s37, s31
	s_add_i32 s31, s31, s27
	s_mul_i32 s26, s26, s28
	s_add_u32 s26, s10, s26
	s_addc_u32 s27, s11, s31
.LBB49_2:
	v_bfe_u32 v1, v0, 10, 10
	v_and_b32_e32 v40, 0x3ff, v0
	s_movk_i32 s28, 0xe0
	v_mov_b32_e32 v0, 0x1040
	s_sub_i32 s25, s30, s25
	v_cmp_gt_u32_e64 s[10:11], 28, v40
	v_mad_u32_u24 v68, v1, s28, v0
	v_lshlrev_b32_e32 v69, 3, v40
	v_and_b32_e32 v67, 1, v1
	v_lshrrev_b32_e32 v41, 1, v1
	s_and_saveexec_b64 s[30:31], s[10:11]
	s_cbranch_execz .LBB49_4
; %bb.3:
	s_load_dwordx4 s[40:43], s[0:1], 0x70
	v_add_u32_e32 v0, s2, v41
	v_mul_hi_u32 v4, s20, v0
	v_add_u32_e32 v4, v0, v4
	v_lshrrev_b32_e32 v4, s21, v4
	s_waitcnt lgkmcnt(0)
	s_mul_i32 s28, s33, s42
	s_ashr_i32 s39, s28, 31
	s_mul_i32 s37, s25, s41
	s_add_u32 s4, s4, s28
	s_addc_u32 s5, s5, s39
	s_ashr_i32 s28, s37, 31
	s_add_u32 s4, s4, s37
	s_mov_b32 s38, s41
	s_addc_u32 s5, s5, s28
	s_ashr_i32 s39, s41, 31
	s_lshr_b64 s[42:43], s[38:39], 2
	s_lshr_b32 s28, s39, 2
	v_mul_lo_u32 v3, s28, v67
	v_mul_lo_u32 v2, s42, v67
	s_ashr_i32 s41, s40, 31
	v_mul_lo_u32 v4, v4, s22
	v_lshl_add_u64 v[2:3], v[2:3], 2, s[4:5]
	s_lshr_b64 s[4:5], s[40:41], 2
	v_sub_u32_e32 v6, v0, v4
	v_mad_u64_u32 v[4:5], s[4:5], s4, v6, 0
	v_mov_b32_e32 v0, v5
	s_lshr_b32 s4, s41, 2
	v_mad_u64_u32 v[6:7], s[4:5], s4, v6, v[0:1]
	v_mov_b32_e32 v5, v6
	v_lshl_add_u64 v[2:3], v[4:5], 2, v[2:3]
	v_lshlrev_b32_e32 v4, 4, v40
	v_mov_b32_e32 v5, 0
	v_lshl_add_u64 v[2:3], v[2:3], 0, v[4:5]
	global_load_dwordx4 v[2:5], v[2:3], off
	s_load_dword s4, s[0:1], 0x40
	v_add_u32_e32 v0, v68, v69
	s_waitcnt vmcnt(0) lgkmcnt(0)
	v_fma_mixlo_f16 v6, s4, v2, 0
	v_mov_b32_e32 v2, v5
	v_pk_mul_f32 v[2:3], s[4:5], v[2:3] op_sel_hi:[0,1]
	v_cvt_pk_f16_f32 v2, v2, v3
	v_fma_mixlo_f16 v4, s4, v4, 0
	v_and_b32_e32 v5, 0xffff, v6
	v_lshlrev_b32_e32 v3, 16, v2
	v_and_b32_e32 v2, 0xffff0000, v2
	v_and_b32_e32 v4, 0xffff, v4
	v_or_b32_e32 v2, v2, v5
	v_or3_b32 v3, v3, v4, 0
	v_or3_b32 v2, 0, 0, v2
	ds_write_b64 v0, v[2:3]
.LBB49_4:
	s_or_b64 exec, exec, s[30:31]
	s_cmp_eq_u64 s[14:15], 0
	s_waitcnt lgkmcnt(0)
	; wave barrier
	s_cbranch_scc1 .LBB49_6
; %bb.5:
	s_load_dword s4, s[0:1], 0xd0
	s_mov_b32 s5, 0
	s_waitcnt lgkmcnt(0)
	s_mul_i32 s4, s4, s33
	s_add_i32 s4, s4, s2
	s_lshl_b64 s[4:5], s[4:5], 2
	s_add_u32 s4, s14, s4
	s_addc_u32 s5, s15, s5
	s_load_dword s24, s[4:5], 0x0
.LBB49_6:
	s_lshl_b32 s30, s3, 5
	s_waitcnt lgkmcnt(0)
	s_cmp_lt_i32 s30, s24
	v_mbcnt_lo_u32_b32 v0, -1, 0
	s_cbranch_scc1 .LBB49_11
; %bb.7:
	v_mbcnt_hi_u32_b32 v53, -1, v0
	v_and_b32_e32 v2, 0x60, v53
	v_add_u32_e32 v85, 32, v2
	v_xor_b32_e32 v86, 16, v53
	v_xor_b32_e32 v87, 8, v53
	;; [unrolled: 1-line block ×5, first 2 shown]
	s_cbranch_execz .LBB49_12
; %bb.8:
	v_mov_b32_e32 v70, 0
	v_mov_b32_e32 v91, 0
	;; [unrolled: 1-line block ×4, first 2 shown]
.LBB49_9:
	v_cmp_lt_i32_e32 vcc, v86, v85
	s_cmp_lg_u64 s[12:13], 0
	s_cselect_b64 s[4:5], -1, 0
	v_cndmask_b32_e32 v0, v53, v86, vcc
	v_lshlrev_b32_e32 v0, 2, v0
	ds_bpermute_b32 v0, v0, v91
	v_cmp_lt_i32_e32 vcc, v87, v85
	s_cmp_eq_u32 s3, 0
	s_cselect_b64 s[6:7], -1, 0
	v_cndmask_b32_e32 v1, v53, v87, vcc
	v_lshlrev_b32_e32 v1, 2, v1
	s_waitcnt lgkmcnt(0)
	v_add_f32_e32 v0, v91, v0
	ds_bpermute_b32 v1, v1, v0
	v_cmp_lt_i32_e32 vcc, v88, v85
	s_and_b64 s[4:5], s[6:7], s[4:5]
	s_waitcnt lgkmcnt(0)
	v_add_f32_e32 v0, v0, v1
	v_cndmask_b32_e32 v2, v53, v88, vcc
	v_lshlrev_b32_e32 v2, 2, v2
	ds_bpermute_b32 v1, v2, v0
	v_cmp_lt_i32_e32 vcc, v89, v85
	s_waitcnt lgkmcnt(0)
	v_add_f32_e32 v0, v0, v1
	v_cndmask_b32_e32 v2, v53, v89, vcc
	v_lshlrev_b32_e32 v2, 2, v2
	ds_bpermute_b32 v1, v2, v0
	v_cmp_lt_i32_e32 vcc, v90, v85
	v_add_u32_e32 v2, s25, v67
	s_waitcnt lgkmcnt(0)
	v_add_f32_e32 v0, v0, v1
	v_cndmask_b32_e32 v3, v53, v90, vcc
	v_lshlrev_b32_e32 v3, 2, v3
	ds_bpermute_b32 v1, v3, v0
	s_and_b64 vcc, exec, s[4:5]
	s_waitcnt lgkmcnt(0)
	v_add_f32_e32 v67, v0, v1
	s_cbranch_vccz .LBB49_23
; %bb.10:
	v_ashrrev_i32_e32 v3, 31, v2
	v_lshl_add_u64 v[0:1], v[2:3], 2, s[12:13]
	global_load_dword v1, v[0:1], off
	v_max_f32_e32 v0, v66, v66
	s_mov_b32 s4, 0x3fb8aa3b
	s_mov_b32 s5, 0xc2ce8ed0
	s_waitcnt vmcnt(0)
	v_max_f32_e32 v3, v1, v1
	v_max_f32_e32 v0, v0, v3
	v_sub_f32_e32 v3, v66, v0
	v_sub_f32_e32 v1, v1, v0
	v_mul_f32_e32 v4, 0x3fb8aa3b, v3
	v_mul_f32_e32 v5, 0x3fb8aa3b, v1
	v_fma_f32 v6, v3, s4, -v4
	v_rndne_f32_e32 v7, v4
	v_fma_f32 v8, v1, s4, -v5
	v_rndne_f32_e32 v9, v5
	v_fmac_f32_e32 v6, 0x32a5705f, v3
	v_sub_f32_e32 v4, v4, v7
	v_fmac_f32_e32 v8, 0x32a5705f, v1
	v_sub_f32_e32 v5, v5, v9
	v_add_f32_e32 v4, v4, v6
	v_cvt_i32_f32_e32 v7, v7
	v_add_f32_e32 v5, v5, v8
	v_exp_f32_e32 v4, v4
	v_cvt_i32_f32_e32 v9, v9
	v_exp_f32_e32 v5, v5
	v_cmp_ngt_f32_e32 vcc, s5, v3
	v_ldexp_f32 v4, v4, v7
	s_mov_b32 s4, 0x42b17218
	v_ldexp_f32 v5, v5, v9
	v_cndmask_b32_e32 v4, 0, v4, vcc
	v_cmp_ngt_f32_e32 vcc, s5, v1
	v_mov_b32_e32 v6, 0x7f800000
	s_nop 0
	v_cndmask_b32_e32 v5, 0, v5, vcc
	v_cmp_nlt_f32_e32 vcc, s4, v3
	s_nop 1
	v_cndmask_b32_e32 v3, v6, v4, vcc
	v_cvt_f16_f32_e32 v4, v3
	v_cmp_nlt_f32_e32 vcc, s4, v1
	s_nop 1
	v_cndmask_b32_e32 v1, v6, v5, vcc
	v_fmac_f32_e32 v1, v67, v3
	v_mul_u32_u24_e32 v3, 0x10001, v4
	v_pk_mul_f16 v71, v71, v3
	v_pk_mul_f16 v70, v70, v3
	v_mov_b64_e32 v[66:67], v[0:1]
	s_branch .LBB49_24
.LBB49_11:
                                        ; implicit-def: $vgpr53
                                        ; implicit-def: $vgpr85
                                        ; implicit-def: $vgpr86
                                        ; implicit-def: $vgpr87
                                        ; implicit-def: $vgpr88
                                        ; implicit-def: $vgpr89
                                        ; implicit-def: $vgpr90
.LBB49_12:
	s_sub_i32 s4, 0, s35
	s_mul_i32 s4, s4, s36
	s_mul_hi_u32 s4, s36, s4
	s_add_i32 s14, s36, s4
	s_load_dwordx2 s[4:5], s[0:1], 0x8c
	s_load_dwordx4 s[36:39], s[0:1], 0x98
	s_ashr_i32 s42, s34, 31
	s_abs_i32 s28, s25
	s_mul_hi_u32 s40, s28, s14
	s_waitcnt lgkmcnt(0)
	s_ashr_i32 s34, s4, 2
	s_ashr_i32 s4, s33, 31
	;; [unrolled: 1-line block ×3, first 2 shown]
	s_mul_hi_u32 s38, s36, s33
	s_mul_i32 s43, s36, s4
	s_add_i32 s38, s38, s43
	s_mul_i32 s37, s37, s33
	s_ashr_i32 s41, s25, 31
	s_ashr_i32 s29, s29, 1
	s_add_i32 s38, s38, s37
	s_mul_i32 s36, s36, s33
	s_add_u32 s6, s6, s36
	s_mul_i32 s37, s40, s35
	s_addc_u32 s7, s7, s38
	s_sub_i32 s28, s28, s37
	s_xor_b32 s36, s41, s42
	s_add_i32 s37, s40, 1
	s_sub_i32 s38, s28, s35
	s_cmp_ge_u32 s28, s35
	s_cselect_b32 s37, s37, s40
	s_cselect_b32 s28, s38, s28
	s_add_i32 s38, s37, 1
	s_cmp_ge_u32 s28, s35
	s_load_dwordx2 s[14:15], s[0:1], 0xa8
	s_cselect_b32 s28, s38, s37
	s_xor_b32 s28, s28, s36
	s_sub_i32 s28, s28, s36
	s_mul_i32 s5, s28, s5
	s_ashr_i32 s36, s5, 31
	v_lshl_add_u32 v3, v1, 5, v40
	s_add_u32 s35, s6, s5
	s_waitcnt lgkmcnt(0)
	s_mul_hi_u32 s5, s14, s33
	s_mul_i32 s4, s14, s4
	v_cmp_gt_u32_e32 vcc, 32, v3
	v_mul_lo_u32 v50, s34, v3
	v_add_u32_e32 v3, s2, v41
	s_addc_u32 s36, s7, s36
	s_add_i32 s4, s5, s4
	s_mul_i32 s5, s15, s33
	v_lshrrev_b32_e32 v2, 1, v40
	v_lshlrev_b32_e32 v6, 2, v40
	v_mul_hi_u32 v10, s20, v3
	s_add_i32 s4, s4, s5
	s_mul_i32 s5, s14, s33
	v_lshl_add_u32 v5, v1, 4, v2
	v_and_b32_e32 v2, 4, v6
	v_add_u32_e32 v10, v3, v10
	s_add_u32 s5, s8, s5
	s_mul_i32 s28, s28, s39
	v_lshlrev_b32_e32 v4, 7, v5
	v_lshlrev_b32_e32 v7, 2, v2
	v_lshrrev_b32_e32 v10, s21, v10
	s_addc_u32 s4, s9, s4
	s_ashr_i32 s6, s28, 31
	v_or3_b32 v73, v4, v7, 64
	v_lshrrev_b32_e32 v4, 2, v40
	v_mul_lo_u32 v10, v10, s22
	s_add_u32 s37, s5, s28
	v_lshl_add_u32 v8, v1, 3, v4
	v_and_b32_e32 v4, 12, v6
	v_sub_u32_e32 v3, v3, v10
	s_addc_u32 s38, s4, s6
	v_lshlrev_b32_e32 v9, 2, v4
	v_mad_u64_u32 v[52:53], s[4:5], v3, s29, v[40:41]
	v_mov_b32_e32 v3, 0x1200
	v_lshl_or_b32 v74, v8, 7, v9
	v_mul_lo_u32 v46, s34, v8
	v_lshl_add_u32 v77, v1, 6, v3
	v_mul_u32_u24_e32 v3, 0xe0, v8
	v_mul_lo_u32 v54, s31, v8
	v_lshrrev_b32_e32 v8, 3, v40
	v_lshl_add_u32 v1, v1, 2, v8
	s_movk_i32 s7, 0x80
	v_and_b32_e32 v6, 28, v6
	s_movk_i32 s6, 0xe0
	v_mul_lo_u32 v56, s31, v1
	v_mul_u32_u24_e32 v8, 0xe0, v5
	v_add3_u32 v80, v3, v9, s7
	v_lshlrev_b32_e32 v3, 2, v6
	v_lshlrev_b32_e32 v72, 7, v40
	v_mul_lo_u32 v42, s34, v5
	v_mov_b32_e32 v45, 0
	v_lshl_add_u32 v48, s34, 4, v46
	v_lshl_add_u32 v58, s31, 3, v56
	v_or_b32_e32 v7, v8, v7
	v_mul_lo_u32 v60, s31, v5
	v_mad_u32_u24 v81, v1, s6, v3
	s_add_u32 s14, s0, 0xd0
	v_ashrrev_i32_e32 v43, 31, v42
	v_ashrrev_i32_e32 v47, 31, v46
	v_add_u32_e32 v75, 0x800, v74
	v_ashrrev_i32_e32 v49, 31, v48
	v_ashrrev_i32_e32 v51, 31, v50
	v_or_b32_e32 v76, 0x60, v72
	v_lshl_add_u32 v78, v40, 1, v77
	v_cmp_gt_u32_e64 s[4:5], 16, v5
	v_ashrrev_i32_e32 v55, 31, v54
	v_ashrrev_i32_e32 v57, 31, v56
	;; [unrolled: 1-line block ×3, first 2 shown]
	v_add_u32_e32 v79, 0xc0, v7
	v_ashrrev_i32_e32 v61, 31, v60
	v_add_u32_e32 v82, 0x700, v81
	s_addc_u32 s15, s1, 0
	v_mov_b32_e32 v8, 0xfeffffff
	v_lshlrev_b32_e32 v62, 2, v2
	v_lshlrev_b32_e32 v44, 2, v4
	s_mov_b32 s39, 0x3fb8aa3b
	s_mov_b32 s40, 0xc2ce8ed0
	;; [unrolled: 1-line block ×4, first 2 shown]
	v_lshlrev_b32_e32 v64, 2, v6
	v_mbcnt_hi_u32_b32 v53, -1, v0
	v_mov_b32_e32 v83, 0x7f800000
	v_mov_b32_e32 v71, v45
	;; [unrolled: 1-line block ×4, first 2 shown]
.LBB49_13:                              ; =>This Inner Loop Header: Depth=1
	s_mul_hi_i32 s7, s30, s34
	s_mul_i32 s6, s30, s34
	s_lshl_b64 s[6:7], s[6:7], 2
	s_add_u32 s6, s35, s6
	s_addc_u32 s7, s36, s7
	v_lshl_add_u64 v[0:1], v[50:51], 2, s[6:7]
	s_and_saveexec_b64 s[8:9], vcc
	s_cbranch_execz .LBB49_15
; %bb.14:                               ;   in Loop: Header=BB49_13 Depth=1
	global_load_dwordx4 v[2:5], v[0:1], off offset:96
	s_waitcnt vmcnt(0)
	ds_write_b128 v76, v[2:5]
.LBB49_15:                              ;   in Loop: Header=BB49_13 Depth=1
	s_or_b64 exec, exec, s[8:9]
	v_lshl_add_u64 v[2:3], v[42:43], 2, s[6:7]
	v_mov_b32_e32 v63, v45
	v_lshl_add_u64 v[2:3], v[2:3], 0, v[62:63]
	v_lshl_add_u64 v[4:5], v[46:47], 2, s[6:7]
	;; [unrolled: 1-line block ×3, first 2 shown]
	global_load_dwordx4 v[10:13], v[2:3], off offset:64
	global_load_dwordx4 v[14:17], v[4:5], off
	v_lshl_add_u64 v[6:7], v[48:49], 2, s[6:7]
	v_lshl_add_u64 v[6:7], v[6:7], 0, v[44:45]
	global_load_dwordx4 v[18:21], v[6:7], off
	v_mov_b32_e32 v9, v45
	s_waitcnt vmcnt(2)
	ds_write_b128 v73, v[10:13]
	s_waitcnt vmcnt(1)
	ds_write_b128 v74, v[14:17]
	;; [unrolled: 2-line block ×3, first 2 shown]
	s_waitcnt lgkmcnt(0)
	; wave barrier
	ds_read_b128 v[10:13], v72
	ds_read_b128 v[14:17], v68
	s_waitcnt lgkmcnt(0)
	;;#ASMSTART
	v_dot2_f32_f16 v9, v10, v14, v9
	;;#ASMEND
	s_nop 0
	;;#ASMSTART
	v_dot2_f32_f16 v9, v11, v15, v9
	;;#ASMEND
	s_nop 0
	;;#ASMSTART
	v_dot2_f32_f16 v9, v12, v16, v9
	;;#ASMEND
	s_nop 0
	;;#ASMSTART
	v_dot2_f32_f16 v9, v13, v17, v9
	;;#ASMEND
	ds_read_b128 v[10:13], v72 offset:16
	ds_read_b128 v[14:17], v68 offset:16
	s_waitcnt lgkmcnt(0)
	;;#ASMSTART
	v_dot2_f32_f16 v9, v10, v14, v9
	;;#ASMEND
	s_nop 0
	;;#ASMSTART
	v_dot2_f32_f16 v9, v11, v15, v9
	;;#ASMEND
	s_nop 0
	;;#ASMSTART
	v_dot2_f32_f16 v9, v12, v16, v9
	;;#ASMEND
	s_nop 0
	;;#ASMSTART
	v_dot2_f32_f16 v9, v13, v17, v9
	;;#ASMEND
	ds_read_b128 v[10:13], v72 offset:32
	ds_read_b128 v[14:17], v68 offset:32
	;; [unrolled: 18-line block ×6, first 2 shown]
	s_waitcnt lgkmcnt(0)
	;;#ASMSTART
	v_dot2_f32_f16 v9, v10, v14, v9
	;;#ASMEND
	s_nop 0
	;;#ASMSTART
	v_dot2_f32_f16 v9, v11, v15, v9
	;;#ASMEND
	s_nop 0
	;; [unrolled: 4-line block ×3, first 2 shown]
	;;#ASMSTART
	v_dot2_f32_f16 v9, v13, v17, v9
	;;#ASMEND
	; wave barrier
	s_and_saveexec_b64 s[6:7], vcc
	s_cbranch_execz .LBB49_17
; %bb.16:                               ;   in Loop: Header=BB49_13 Depth=1
	global_load_dwordx4 v[10:13], v[0:1], off offset:208
	s_waitcnt vmcnt(0)
	ds_write_b128 v76, v[10:13]
.LBB49_17:                              ;   in Loop: Header=BB49_13 Depth=1
	s_or_b64 exec, exec, s[6:7]
	global_load_dwordx4 v[10:13], v[2:3], off offset:176
	global_load_dwordx4 v[14:17], v[4:5], off offset:112
	;; [unrolled: 1-line block ×3, first 2 shown]
	v_xor_b32_e32 v86, 16, v53
	v_xor_b32_e32 v87, 8, v53
	;; [unrolled: 1-line block ×5, first 2 shown]
	s_waitcnt vmcnt(2)
	ds_write_b128 v73, v[10:13]
	s_waitcnt vmcnt(1)
	ds_write_b128 v74, v[14:17]
	;; [unrolled: 2-line block ×3, first 2 shown]
	s_waitcnt lgkmcnt(0)
	; wave barrier
	ds_read_b128 v[0:3], v72
	ds_read_b128 v[4:7], v68 offset:112
	v_add_u32_e32 v10, s30, v52
	s_waitcnt lgkmcnt(0)
	;;#ASMSTART
	v_dot2_f32_f16 v9, v0, v4, v9
	;;#ASMEND
	s_nop 0
	;;#ASMSTART
	v_dot2_f32_f16 v9, v1, v5, v9
	;;#ASMEND
	v_ashrrev_i32_e32 v11, 31, v10
	;;#ASMSTART
	v_dot2_f32_f16 v9, v2, v6, v9
	;;#ASMEND
	v_lshl_add_u64 v[10:11], v[10:11], 1, s[26:27]
	;;#ASMSTART
	v_dot2_f32_f16 v9, v3, v7, v9
	;;#ASMEND
	ds_read_b128 v[0:3], v72 offset:16
	ds_read_b128 v[4:7], v68 offset:128
	s_waitcnt lgkmcnt(0)
	;;#ASMSTART
	v_dot2_f32_f16 v9, v0, v4, v9
	;;#ASMEND
	s_nop 0
	;;#ASMSTART
	v_dot2_f32_f16 v9, v1, v5, v9
	;;#ASMEND
	s_nop 0
	;;#ASMSTART
	v_dot2_f32_f16 v9, v2, v6, v9
	;;#ASMEND
	s_nop 0
	;;#ASMSTART
	v_dot2_f32_f16 v9, v3, v7, v9
	;;#ASMEND
	ds_read_b128 v[0:3], v72 offset:32
	ds_read_b128 v[4:7], v68 offset:144
	s_waitcnt lgkmcnt(0)
	;;#ASMSTART
	v_dot2_f32_f16 v9, v0, v4, v9
	;;#ASMEND
	s_nop 0
	;;#ASMSTART
	v_dot2_f32_f16 v9, v1, v5, v9
	;;#ASMEND
	s_nop 0
	;;#ASMSTART
	v_dot2_f32_f16 v9, v2, v6, v9
	;;#ASMEND
	s_nop 0
	;; [unrolled: 18-line block ×5, first 2 shown]
	;;#ASMSTART
	v_dot2_f32_f16 v9, v3, v7, v9
	;;#ASMEND
	ds_read_b128 v[0:3], v72 offset:96
	ds_read_b128 v[4:7], v68 offset:208
	s_waitcnt lgkmcnt(0)
	;;#ASMSTART
	v_dot2_f32_f16 v9, v0, v4, v9
	;;#ASMEND
	s_nop 0
	;;#ASMSTART
	v_dot2_f32_f16 v9, v1, v5, v9
	;;#ASMEND
	v_and_b32_e32 v1, 0x60, v53
	;;#ASMSTART
	v_dot2_f32_f16 v9, v2, v6, v9
	;;#ASMEND
	v_add_u32_e32 v85, 32, v1
	;;#ASMSTART
	v_dot2_f32_f16 v9, v3, v7, v9
	;;#ASMEND
	global_load_ushort v0, v[10:11], off
	v_cmp_lt_i32_e64 s[6:7], v86, v85
	v_max_f32_e32 v2, v8, v8
	s_nop 0
	v_cndmask_b32_e64 v1, v53, v86, s[6:7]
	v_lshlrev_b32_e32 v1, 2, v1
	v_cmp_lt_i32_e64 s[6:7], v87, v85
	; wave barrier
	s_waitcnt vmcnt(0)
	v_cvt_f32_f16_e32 v0, v0
	v_add_f32_e32 v0, v9, v0
	v_add_f32_e32 v3, 0x40051340, v0
	v_max_f32_e32 v2, v2, v3
	ds_bpermute_b32 v1, v1, v2
	v_cndmask_b32_e64 v3, v53, v87, s[6:7]
	v_lshlrev_b32_e32 v3, 2, v3
	v_cmp_lt_i32_e64 s[6:7], v88, v85
	s_waitcnt lgkmcnt(0)
	v_max_f32_e32 v1, v1, v1
	v_max_f32_e32 v1, v2, v1
	ds_bpermute_b32 v2, v3, v1
	v_cndmask_b32_e64 v3, v53, v88, s[6:7]
	v_lshlrev_b32_e32 v3, 2, v3
	v_cmp_lt_i32_e64 s[6:7], v89, v85
	s_waitcnt lgkmcnt(0)
	v_max_f32_e32 v2, v2, v2
	;; [unrolled: 7-line block ×3, first 2 shown]
	v_max_f32_e32 v1, v1, v2
	ds_bpermute_b32 v2, v3, v1
	v_cndmask_b32_e64 v3, v53, v90, s[6:7]
	v_lshlrev_b32_e32 v3, 2, v3
	s_mul_hi_i32 s7, s30, s31
	s_mul_i32 s6, s30, s31
	s_waitcnt lgkmcnt(0)
	v_max_f32_e32 v2, v2, v2
	v_max_f32_e32 v1, v1, v2
	ds_bpermute_b32 v2, v3, v1
	s_lshl_b64 s[8:9], s[6:7], 2
	s_waitcnt lgkmcnt(0)
	v_max_f32_e32 v2, v2, v2
	v_max_f32_e32 v66, v1, v2
	v_sub_f32_e32 v0, v0, v66
	v_mul_f32_e32 v1, 0x3fb8aa3b, v0
	v_fma_f32 v2, v0, s39, -v1
	v_rndne_f32_e32 v3, v1
	v_fmac_f32_e32 v2, 0x32a5705f, v0
	v_sub_f32_e32 v1, v1, v3
	v_add_f32_e32 v1, v1, v2
	v_cvt_i32_f32_e32 v3, v3
	v_exp_f32_e32 v1, v1
	v_cmp_ngt_f32_e64 s[6:7], s40, v0
	v_ldexp_f32 v1, v1, v3
	s_nop 0
	v_cndmask_b32_e64 v1, 0, v1, s[6:7]
	v_cmp_nlt_f32_e64 s[6:7], s41, v0
	s_nop 1
	v_cndmask_b32_e64 v91, v83, v1, s[6:7]
	v_cvt_f16_f32_e32 v0, v91
	s_add_u32 s6, s37, s8
	s_addc_u32 s7, s38, s9
	ds_write_b16 v78, v0
	s_and_saveexec_b64 s[8:9], s[4:5]
	s_cbranch_execz .LBB49_19
; %bb.18:                               ;   in Loop: Header=BB49_13 Depth=1
	v_lshl_add_u64 v[0:1], v[60:61], 2, s[6:7]
	v_mov_b32_e32 v63, v45
	v_lshl_add_u64 v[0:1], v[0:1], 0, v[62:63]
	global_load_dwordx4 v[0:3], v[0:1], off offset:192
	s_waitcnt vmcnt(0)
	ds_write_b128 v79, v[0:3]
.LBB49_19:                              ;   in Loop: Header=BB49_13 Depth=1
	s_or_b64 exec, exec, s[8:9]
	v_lshl_add_u64 v[0:1], v[54:55], 2, s[6:7]
	v_lshl_add_u64 v[10:11], v[0:1], 0, v[44:45]
	;; [unrolled: 1-line block ×3, first 2 shown]
	v_mov_b32_e32 v65, v45
	v_lshl_add_u64 v[12:13], v[0:1], 0, v[64:65]
	global_load_dwordx4 v[0:3], v[10:11], off offset:128
	global_load_dwordx4 v[4:7], v[12:13], off
	v_lshl_add_u64 v[10:11], v[58:59], 2, s[6:7]
	v_lshl_add_u64 v[10:11], v[10:11], 0, v[64:65]
	global_load_dwordx4 v[10:13], v[10:11], off
	v_sub_f32_e32 v93, v8, v66
	v_add_u32_e32 v92, 0x800, v69
	s_or_b32 s20, s30, 16
	s_mul_hi_i32 s21, s20, s31
	s_mul_i32 s20, s20, s31
	s_lshl_b64 s[20:21], s[20:21], 2
	s_add_u32 s20, s37, s20
	v_cmp_ngt_f32_e64 s[6:7], s40, v93
	v_cmp_nlt_f32_e64 s[8:9], s41, v93
	s_addc_u32 s21, s38, s21
	s_waitcnt vmcnt(2)
	ds_write_b128 v80, v[0:3]
	s_waitcnt vmcnt(1)
	ds_write_b128 v81, v[4:7]
	;; [unrolled: 2-line block ×3, first 2 shown]
	s_waitcnt lgkmcnt(0)
	; wave barrier
	ds_read2_b64 v[28:31], v69 offset1:28
	ds_read_b128 v[36:39], v77
	ds_read_b128 v[32:35], v77 offset:16
	ds_read2_b64 v[24:27], v69 offset0:56 offset1:84
	ds_read2_b64 v[20:23], v69 offset0:112 offset1:140
	;; [unrolled: 1-line block ×7, first 2 shown]
	s_waitcnt lgkmcnt(0)
	; wave barrier
	s_and_saveexec_b64 s[28:29], s[4:5]
	s_cbranch_execz .LBB49_21
; %bb.20:                               ;   in Loop: Header=BB49_13 Depth=1
	v_lshl_add_u64 v[94:95], v[60:61], 2, s[20:21]
	v_mov_b32_e32 v63, v45
	v_lshl_add_u64 v[94:95], v[94:95], 0, v[62:63]
	global_load_dwordx4 v[94:97], v[94:95], off offset:192
	s_waitcnt vmcnt(0)
	ds_write_b128 v79, v[94:97]
.LBB49_21:                              ;   in Loop: Header=BB49_13 Depth=1
	s_or_b64 exec, exec, s[28:29]
	v_lshl_add_u64 v[94:95], v[54:55], 2, s[20:21]
	v_lshl_add_u64 v[102:103], v[94:95], 0, v[44:45]
	v_lshl_add_u64 v[94:95], v[56:57], 2, s[20:21]
	v_lshl_add_u64 v[104:105], v[94:95], 0, v[64:65]
	global_load_dwordx4 v[94:97], v[102:103], off offset:128
	global_load_dwordx4 v[98:101], v[104:105], off
	v_lshl_add_u64 v[102:103], v[58:59], 2, s[20:21]
	v_lshl_add_u64 v[102:103], v[102:103], 0, v[64:65]
	global_load_dwordx4 v[102:105], v[102:103], off
	v_mul_f32_e32 v63, 0x3fb8aa3b, v93
	v_fma_f32 v112, v93, s39, -v63
	v_rndne_f32_e32 v113, v63
	v_fmac_f32_e32 v112, 0x32a5705f, v93
	v_sub_f32_e32 v63, v63, v113
	v_add_f32_e32 v63, v63, v112
	v_cvt_i32_f32_e32 v93, v113
	v_exp_f32_e32 v63, v63
	v_mul_u32_u24_sdwa v65, v36, s42 dst_sel:DWORD dst_unused:UNUSED_PAD src0_sel:WORD_0 src1_sel:DWORD
	v_pk_mul_f16 v28, v28, v65
	v_pk_mul_f16 v29, v29, v65
	v_ldexp_f32 v63, v63, v93
	v_cndmask_b32_e64 v63, 0, v63, s[6:7]
	v_cndmask_b32_e64 v63, v83, v63, s[8:9]
	v_cvt_f16_f32_e32 v93, v63
	v_fmac_f32_e32 v91, v84, v63
	v_mul_u32_u24_sdwa v36, v36, s42 dst_sel:DWORD dst_unused:UNUSED_PAD src0_sel:WORD_1 src1_sel:DWORD
	v_mul_u32_u24_sdwa v106, v37, s42 dst_sel:DWORD dst_unused:UNUSED_PAD src0_sel:WORD_0 src1_sel:DWORD
	v_mul_u32_u24_e32 v63, 0x10001, v93
	v_pk_fma_f16 v28, v71, v63, v28
	v_pk_fma_f16 v29, v70, v63, v29
	;; [unrolled: 1-line block ×4, first 2 shown]
	v_mul_u32_u24_sdwa v37, v37, s42 dst_sel:DWORD dst_unused:UNUSED_PAD src0_sel:WORD_1 src1_sel:DWORD
	v_pk_fma_f16 v24, v24, v106, v28
	v_pk_fma_f16 v25, v25, v106, v29
	v_mul_u32_u24_sdwa v107, v38, s42 dst_sel:DWORD dst_unused:UNUSED_PAD src0_sel:WORD_0 src1_sel:DWORD
	v_pk_fma_f16 v24, v26, v37, v24
	v_pk_fma_f16 v25, v27, v37, v25
	v_mul_u32_u24_sdwa v38, v38, s42 dst_sel:DWORD dst_unused:UNUSED_PAD src0_sel:WORD_1 src1_sel:DWORD
	v_pk_fma_f16 v20, v20, v107, v24
	v_pk_fma_f16 v21, v21, v107, v25
	v_mul_u32_u24_sdwa v108, v39, s42 dst_sel:DWORD dst_unused:UNUSED_PAD src0_sel:WORD_0 src1_sel:DWORD
	v_pk_fma_f16 v20, v22, v38, v20
	v_pk_fma_f16 v21, v23, v38, v21
	v_mul_u32_u24_sdwa v39, v39, s42 dst_sel:DWORD dst_unused:UNUSED_PAD src0_sel:WORD_1 src1_sel:DWORD
	v_pk_fma_f16 v16, v16, v108, v20
	v_pk_fma_f16 v17, v17, v108, v21
	v_mul_u32_u24_sdwa v109, v32, s42 dst_sel:DWORD dst_unused:UNUSED_PAD src0_sel:WORD_0 src1_sel:DWORD
	v_pk_fma_f16 v16, v18, v39, v16
	v_pk_fma_f16 v17, v19, v39, v17
	v_mul_u32_u24_sdwa v32, v32, s42 dst_sel:DWORD dst_unused:UNUSED_PAD src0_sel:WORD_1 src1_sel:DWORD
	v_pk_fma_f16 v12, v12, v109, v16
	v_pk_fma_f16 v13, v13, v109, v17
	v_mul_u32_u24_sdwa v110, v33, s42 dst_sel:DWORD dst_unused:UNUSED_PAD src0_sel:WORD_0 src1_sel:DWORD
	v_pk_fma_f16 v12, v14, v32, v12
	v_pk_fma_f16 v13, v15, v32, v13
	v_mul_u32_u24_sdwa v33, v33, s42 dst_sel:DWORD dst_unused:UNUSED_PAD src0_sel:WORD_1 src1_sel:DWORD
	v_pk_fma_f16 v8, v8, v110, v12
	v_pk_fma_f16 v9, v9, v110, v13
	v_mul_u32_u24_sdwa v111, v34, s42 dst_sel:DWORD dst_unused:UNUSED_PAD src0_sel:WORD_0 src1_sel:DWORD
	v_pk_fma_f16 v8, v10, v33, v8
	v_pk_fma_f16 v9, v11, v33, v9
	v_mul_u32_u24_sdwa v34, v34, s42 dst_sel:DWORD dst_unused:UNUSED_PAD src0_sel:WORD_1 src1_sel:DWORD
	v_pk_fma_f16 v4, v4, v111, v8
	v_pk_fma_f16 v5, v5, v111, v9
	v_mul_u32_u24_sdwa v112, v35, s42 dst_sel:DWORD dst_unused:UNUSED_PAD src0_sel:WORD_0 src1_sel:DWORD
	v_pk_fma_f16 v4, v6, v34, v4
	v_pk_fma_f16 v5, v7, v34, v5
	v_pk_fma_f16 v0, v0, v112, v4
	v_pk_fma_f16 v1, v1, v112, v5
	v_mul_u32_u24_sdwa v35, v35, s42 dst_sel:DWORD dst_unused:UNUSED_PAD src0_sel:WORD_1 src1_sel:DWORD
	v_pk_fma_f16 v16, v2, v35, v0
	v_pk_fma_f16 v17, v3, v35, v1
	s_waitcnt vmcnt(2)
	ds_write_b128 v80, v[94:97]
	s_waitcnt vmcnt(1)
	ds_write_b128 v81, v[98:101]
	;; [unrolled: 2-line block ×3, first 2 shown]
	s_waitcnt lgkmcnt(0)
	; wave barrier
	ds_read_b128 v[4:7], v77 offset:32
	ds_read2_b64 v[0:3], v69 offset1:28
	ds_read_b128 v[8:11], v77 offset:48
	ds_read2_b64 v[12:15], v69 offset0:56 offset1:84
	s_waitcnt lgkmcnt(3)
	v_mul_u32_u24_sdwa v18, v4, s42 dst_sel:DWORD dst_unused:UNUSED_PAD src0_sel:WORD_0 src1_sel:DWORD
	v_mul_u32_u24_sdwa v4, v4, s42 dst_sel:DWORD dst_unused:UNUSED_PAD src0_sel:WORD_1 src1_sel:DWORD
	s_waitcnt lgkmcnt(2)
	v_pk_fma_f16 v0, v0, v18, v16
	v_pk_fma_f16 v1, v1, v18, v17
	v_mul_u32_u24_sdwa v19, v5, s42 dst_sel:DWORD dst_unused:UNUSED_PAD src0_sel:WORD_0 src1_sel:DWORD
	v_pk_fma_f16 v0, v2, v4, v0
	v_pk_fma_f16 v1, v3, v4, v1
	s_waitcnt lgkmcnt(0)
	v_pk_fma_f16 v4, v12, v19, v0
	v_pk_fma_f16 v12, v13, v19, v1
	ds_read2_b64 v[0:3], v69 offset0:112 offset1:140
	v_mul_u32_u24_sdwa v5, v5, s42 dst_sel:DWORD dst_unused:UNUSED_PAD src0_sel:WORD_1 src1_sel:DWORD
	v_pk_fma_f16 v4, v14, v5, v4
	v_pk_fma_f16 v5, v15, v5, v12
	v_mul_u32_u24_sdwa v12, v6, s42 dst_sel:DWORD dst_unused:UNUSED_PAD src0_sel:WORD_0 src1_sel:DWORD
	s_waitcnt lgkmcnt(0)
	v_pk_fma_f16 v0, v0, v12, v4
	v_pk_fma_f16 v1, v1, v12, v5
	ds_read2_b64 v[12:15], v69 offset0:168 offset1:196
	v_mul_u32_u24_sdwa v4, v6, s42 dst_sel:DWORD dst_unused:UNUSED_PAD src0_sel:WORD_1 src1_sel:DWORD
	v_pk_fma_f16 v0, v2, v4, v0
	v_pk_fma_f16 v1, v3, v4, v1
	v_mul_u32_u24_sdwa v2, v7, s42 dst_sel:DWORD dst_unused:UNUSED_PAD src0_sel:WORD_0 src1_sel:DWORD
	;; [unrolled: 8-line block ×5, first 2 shown]
	s_waitcnt lgkmcnt(0)
	v_pk_fma_f16 v0, v0, v6, v4
	v_pk_fma_f16 v1, v1, v6, v5
	v_mul_u32_u24_sdwa v4, v10, s42 dst_sel:DWORD dst_unused:UNUSED_PAD src0_sel:WORD_1 src1_sel:DWORD
	v_pk_fma_f16 v5, v2, v4, v0
	v_pk_fma_f16 v4, v3, v4, v1
	ds_read2_b64 v[0:3], v92 offset0:136 offset1:164
	s_waitcnt lgkmcnt(0)
	; wave barrier
	s_load_dword s6, s[14:15], 0x4
	v_mul_u32_u24_sdwa v6, v11, s42 dst_sel:DWORD dst_unused:UNUSED_PAD src0_sel:WORD_0 src1_sel:DWORD
	v_pk_fma_f16 v0, v0, v6, v5
	v_pk_fma_f16 v1, v1, v6, v4
	v_mul_u32_u24_sdwa v4, v11, s42 dst_sel:DWORD dst_unused:UNUSED_PAD src0_sel:WORD_1 src1_sel:DWORD
	s_waitcnt lgkmcnt(0)
	s_lshl_b32 s6, s6, 5
	s_add_i32 s30, s6, s30
	v_pk_fma_f16 v71, v2, v4, v0
	s_cmp_ge_i32 s30, s24
	v_pk_fma_f16 v70, v3, v4, v1
	s_cbranch_scc1 .LBB49_9
; %bb.22:                               ;   in Loop: Header=BB49_13 Depth=1
	v_mov_b32_e32 v8, v66
	v_mov_b32_e32 v84, v91
	s_branch .LBB49_13
.LBB49_23:
	v_mov_b32_e32 v1, v67
.LBB49_24:
	s_load_dword s6, s[0:1], 0xd4
	s_mul_i32 s4, s33, s22
	s_waitcnt lgkmcnt(0)
	s_cmp_lg_u32 s6, 1
	s_cselect_b64 s[0:1], -1, 0
	s_add_i32 s4, s4, s2
	v_add_u32_e32 v0, s4, v41
	v_mad_u64_u32 v[2:3], s[4:5], v0, s23, v[2:3]
	v_mul_lo_u32 v0, s6, v2
	v_add_u32_e32 v0, s3, v0
	s_and_saveexec_b64 s[2:3], s[10:11]
	s_cbranch_execz .LBB49_26
; %bb.25:
	s_movk_i32 s4, 0x70
	v_mul_lo_u32 v4, v0, s4
	v_div_scale_f32 v8, s[4:5], v1, v1, 1.0
	v_rcp_f32_e32 v9, v8
	v_mov_b32_e32 v2, s16
	v_mov_b32_e32 v3, s17
	v_lshl_add_u32 v4, v40, 2, v4
	v_mov_b32_e32 v5, 0
	v_lshl_add_u64 v[6:7], v[4:5], 2, v[2:3]
	v_fma_f32 v2, -v8, v9, 1.0
	v_fmac_f32_e32 v9, v2, v9
	v_div_scale_f32 v2, vcc, 1.0, v1, 1.0
	v_mul_f32_e32 v3, v2, v9
	v_fma_f32 v4, -v8, v3, v2
	v_fmac_f32_e32 v3, v4, v9
	v_fma_f32 v2, -v8, v3, v2
	v_div_fmas_f32 v8, v2, v9, v3
	v_cvt_f32_f16_sdwa v3, v71 dst_sel:DWORD dst_unused:UNUSED_PAD src0_sel:WORD_1
	v_cvt_f32_f16_e32 v2, v71
	v_cvt_f32_f16_sdwa v5, v70 dst_sel:DWORD dst_unused:UNUSED_PAD src0_sel:WORD_1
	v_cvt_f32_f16_e32 v4, v70
	v_div_fixup_f32 v1, v8, v1, 1.0
	v_cndmask_b32_e64 v8, v1, 1.0, s[0:1]
	v_pk_mul_f32 v[2:3], v[8:9], v[2:3] op_sel_hi:[0,1]
	v_pk_mul_f32 v[4:5], v[8:9], v[4:5] op_sel_hi:[0,1]
	global_store_dwordx4 v[6:7], v[2:5], off
.LBB49_26:
	s_or_b64 exec, exec, s[2:3]
	v_cmp_eq_u32_e32 vcc, 0, v40
	s_and_b64 s[0:1], vcc, s[0:1]
	s_and_saveexec_b64 s[2:3], s[0:1]
	s_cbranch_execz .LBB49_28
; %bb.27:
	v_mov_b32_e32 v2, s18
	v_mov_b32_e32 v3, s19
	v_ashrrev_i32_e32 v1, 31, v0
	v_lshl_add_u64 v[0:1], v[0:1], 3, v[2:3]
	global_store_dwordx2 v[0:1], v[66:67], off
.LBB49_28:
	s_endpgm
	.section	.rodata,"a",@progbits
	.p2align	6, 0x0
	.amdhsa_kernel _ZL15flash_attn_tileILi112ELi112ELi1ELi2ELb0EEvPKcS1_S1_S1_S1_PKiPfP15HIP_vector_typeIfLj2EEffffjfiS5_IjLj3EEiiiiiiiiiiiliiliiiiil
		.amdhsa_group_segment_fixed_size 4736
		.amdhsa_private_segment_fixed_size 0
		.amdhsa_kernarg_size 464
		.amdhsa_user_sgpr_count 2
		.amdhsa_user_sgpr_dispatch_ptr 0
		.amdhsa_user_sgpr_queue_ptr 0
		.amdhsa_user_sgpr_kernarg_segment_ptr 1
		.amdhsa_user_sgpr_dispatch_id 0
		.amdhsa_user_sgpr_kernarg_preload_length 0
		.amdhsa_user_sgpr_kernarg_preload_offset 0
		.amdhsa_user_sgpr_private_segment_size 0
		.amdhsa_uses_dynamic_stack 0
		.amdhsa_enable_private_segment 0
		.amdhsa_system_sgpr_workgroup_id_x 1
		.amdhsa_system_sgpr_workgroup_id_y 1
		.amdhsa_system_sgpr_workgroup_id_z 1
		.amdhsa_system_sgpr_workgroup_info 0
		.amdhsa_system_vgpr_workitem_id 1
		.amdhsa_next_free_vgpr 114
		.amdhsa_next_free_sgpr 44
		.amdhsa_accum_offset 116
		.amdhsa_reserve_vcc 1
		.amdhsa_float_round_mode_32 0
		.amdhsa_float_round_mode_16_64 0
		.amdhsa_float_denorm_mode_32 3
		.amdhsa_float_denorm_mode_16_64 3
		.amdhsa_dx10_clamp 1
		.amdhsa_ieee_mode 1
		.amdhsa_fp16_overflow 0
		.amdhsa_tg_split 0
		.amdhsa_exception_fp_ieee_invalid_op 0
		.amdhsa_exception_fp_denorm_src 0
		.amdhsa_exception_fp_ieee_div_zero 0
		.amdhsa_exception_fp_ieee_overflow 0
		.amdhsa_exception_fp_ieee_underflow 0
		.amdhsa_exception_fp_ieee_inexact 0
		.amdhsa_exception_int_div_zero 0
	.end_amdhsa_kernel
	.section	.text._ZL15flash_attn_tileILi112ELi112ELi1ELi2ELb0EEvPKcS1_S1_S1_S1_PKiPfP15HIP_vector_typeIfLj2EEffffjfiS5_IjLj3EEiiiiiiiiiiiliiliiiiil,"axG",@progbits,_ZL15flash_attn_tileILi112ELi112ELi1ELi2ELb0EEvPKcS1_S1_S1_S1_PKiPfP15HIP_vector_typeIfLj2EEffffjfiS5_IjLj3EEiiiiiiiiiiiliiliiiiil,comdat
.Lfunc_end49:
	.size	_ZL15flash_attn_tileILi112ELi112ELi1ELi2ELb0EEvPKcS1_S1_S1_S1_PKiPfP15HIP_vector_typeIfLj2EEffffjfiS5_IjLj3EEiiiiiiiiiiiliiliiiiil, .Lfunc_end49-_ZL15flash_attn_tileILi112ELi112ELi1ELi2ELb0EEvPKcS1_S1_S1_S1_PKiPfP15HIP_vector_typeIfLj2EEffffjfiS5_IjLj3EEiiiiiiiiiiiliiliiiiil
                                        ; -- End function
	.set _ZL15flash_attn_tileILi112ELi112ELi1ELi2ELb0EEvPKcS1_S1_S1_S1_PKiPfP15HIP_vector_typeIfLj2EEffffjfiS5_IjLj3EEiiiiiiiiiiiliiliiiiil.num_vgpr, 114
	.set _ZL15flash_attn_tileILi112ELi112ELi1ELi2ELb0EEvPKcS1_S1_S1_S1_PKiPfP15HIP_vector_typeIfLj2EEffffjfiS5_IjLj3EEiiiiiiiiiiiliiliiiiil.num_agpr, 0
	.set _ZL15flash_attn_tileILi112ELi112ELi1ELi2ELb0EEvPKcS1_S1_S1_S1_PKiPfP15HIP_vector_typeIfLj2EEffffjfiS5_IjLj3EEiiiiiiiiiiiliiliiiiil.numbered_sgpr, 44
	.set _ZL15flash_attn_tileILi112ELi112ELi1ELi2ELb0EEvPKcS1_S1_S1_S1_PKiPfP15HIP_vector_typeIfLj2EEffffjfiS5_IjLj3EEiiiiiiiiiiiliiliiiiil.num_named_barrier, 0
	.set _ZL15flash_attn_tileILi112ELi112ELi1ELi2ELb0EEvPKcS1_S1_S1_S1_PKiPfP15HIP_vector_typeIfLj2EEffffjfiS5_IjLj3EEiiiiiiiiiiiliiliiiiil.private_seg_size, 0
	.set _ZL15flash_attn_tileILi112ELi112ELi1ELi2ELb0EEvPKcS1_S1_S1_S1_PKiPfP15HIP_vector_typeIfLj2EEffffjfiS5_IjLj3EEiiiiiiiiiiiliiliiiiil.uses_vcc, 1
	.set _ZL15flash_attn_tileILi112ELi112ELi1ELi2ELb0EEvPKcS1_S1_S1_S1_PKiPfP15HIP_vector_typeIfLj2EEffffjfiS5_IjLj3EEiiiiiiiiiiiliiliiiiil.uses_flat_scratch, 0
	.set _ZL15flash_attn_tileILi112ELi112ELi1ELi2ELb0EEvPKcS1_S1_S1_S1_PKiPfP15HIP_vector_typeIfLj2EEffffjfiS5_IjLj3EEiiiiiiiiiiiliiliiiiil.has_dyn_sized_stack, 0
	.set _ZL15flash_attn_tileILi112ELi112ELi1ELi2ELb0EEvPKcS1_S1_S1_S1_PKiPfP15HIP_vector_typeIfLj2EEffffjfiS5_IjLj3EEiiiiiiiiiiiliiliiiiil.has_recursion, 0
	.set _ZL15flash_attn_tileILi112ELi112ELi1ELi2ELb0EEvPKcS1_S1_S1_S1_PKiPfP15HIP_vector_typeIfLj2EEffffjfiS5_IjLj3EEiiiiiiiiiiiliiliiiiil.has_indirect_call, 0
	.section	.AMDGPU.csdata,"",@progbits
; Kernel info:
; codeLenInByte = 5864
; TotalNumSgprs: 50
; NumVgprs: 114
; NumAgprs: 0
; TotalNumVgprs: 114
; ScratchSize: 0
; MemoryBound: 0
; FloatMode: 240
; IeeeMode: 1
; LDSByteSize: 4736 bytes/workgroup (compile time only)
; SGPRBlocks: 6
; VGPRBlocks: 14
; NumSGPRsForWavesPerEU: 50
; NumVGPRsForWavesPerEU: 114
; AccumOffset: 116
; Occupancy: 4
; WaveLimiterHint : 1
; COMPUTE_PGM_RSRC2:SCRATCH_EN: 0
; COMPUTE_PGM_RSRC2:USER_SGPR: 2
; COMPUTE_PGM_RSRC2:TRAP_HANDLER: 0
; COMPUTE_PGM_RSRC2:TGID_X_EN: 1
; COMPUTE_PGM_RSRC2:TGID_Y_EN: 1
; COMPUTE_PGM_RSRC2:TGID_Z_EN: 1
; COMPUTE_PGM_RSRC2:TIDIG_COMP_CNT: 1
; COMPUTE_PGM_RSRC3_GFX90A:ACCUM_OFFSET: 28
; COMPUTE_PGM_RSRC3_GFX90A:TG_SPLIT: 0
	.section	.text._ZL33flash_attn_stream_k_fixup_uniformILi112ELi1ELi2EEvPfPK15HIP_vector_typeIfLj2EEiiiiiiS1_IjLj3EES5_S5_,"axG",@progbits,_ZL33flash_attn_stream_k_fixup_uniformILi112ELi1ELi2EEvPfPK15HIP_vector_typeIfLj2EEiiiiiiS1_IjLj3EES5_S5_,comdat
	.globl	_ZL33flash_attn_stream_k_fixup_uniformILi112ELi1ELi2EEvPfPK15HIP_vector_typeIfLj2EEiiiiiiS1_IjLj3EES5_S5_ ; -- Begin function _ZL33flash_attn_stream_k_fixup_uniformILi112ELi1ELi2EEvPfPK15HIP_vector_typeIfLj2EEiiiiiiS1_IjLj3EES5_S5_
	.p2align	8
	.type	_ZL33flash_attn_stream_k_fixup_uniformILi112ELi1ELi2EEvPfPK15HIP_vector_typeIfLj2EEiiiiiiS1_IjLj3EES5_S5_,@function
_ZL33flash_attn_stream_k_fixup_uniformILi112ELi1ELi2EEvPfPK15HIP_vector_typeIfLj2EEiiiiiiS1_IjLj3EES5_S5_: ; @_ZL33flash_attn_stream_k_fixup_uniformILi112ELi1ELi2EEvPfPK15HIP_vector_typeIfLj2EEiiiiiiS1_IjLj3EES5_S5_
; %bb.0:
	s_load_dwordx8 s[8:15], s[0:1], 0x1c
	s_load_dwordx2 s[6:7], s[0:1], 0x10
	s_load_dwordx4 s[16:19], s[0:1], 0x3c
	s_waitcnt lgkmcnt(0)
	s_mul_hi_u32 s5, s11, s2
	s_add_i32 s5, s2, s5
	s_lshr_b32 s5, s5, s12
	s_mul_i32 s11, s5, s13
	s_sub_i32 s12, s2, s11
	s_mul_hi_u32 s11, s12, s14
	s_add_i32 s11, s12, s11
	s_lshr_b32 s11, s11, s15
	s_mul_i32 s13, s11, s16
	s_sub_i32 s12, s12, s13
	s_mul_hi_u32 s13, s12, s17
	s_add_i32 s13, s12, s13
	s_lshr_b32 s13, s13, s18
	s_mul_i32 s14, s13, s19
	s_sub_i32 s17, s12, s14
	s_lshl_b32 s16, s13, 1
	s_add_i32 s17, s17, s3
	s_cmp_lt_i32 s17, s6
	s_cselect_b64 s[12:13], -1, 0
	s_add_i32 s16, s16, s4
	s_cmp_lt_i32 s16, s9
	s_cselect_b64 s[14:15], -1, 0
	s_and_b64 s[12:13], s[12:13], s[14:15]
	s_andn2_b64 vcc, exec, s[12:13]
	s_cbranch_vccnz .LBB50_6
; %bb.1:
	s_mul_i32 s5, s5, s6
	s_load_dwordx4 s[12:15], s[0:1], 0x0
	s_mul_i32 s11, s11, s9
	s_add_i32 s0, s17, s5
	s_mul_i32 s0, s0, s7
	s_add_i32 s1, s16, s11
	s_add_i32 s0, s1, s0
	s_mulk_i32 s0, 0x70
	v_add_u32_e32 v4, s0, v0
	s_waitcnt lgkmcnt(0)
	v_mov_b32_e32 v2, s12
	v_mov_b32_e32 v3, s13
	v_ashrrev_i32_e32 v5, 31, v4
	v_lshl_add_u64 v[2:3], v[4:5], 2, v[2:3]
	global_load_dword v5, v[2:3], off
	s_mul_i32 s5, s10, s2
	s_add_i32 s11, s5, s10
	s_add_i32 s0, s3, s11
	s_lshl_b32 s0, s0, 1
	s_add_i32 s0, s0, s4
	s_add_i32 s0, s0, -2
	s_ashr_i32 s1, s0, 31
	s_lshl_b64 s[0:1], s[0:1], 3
	s_add_u32 s0, s14, s0
	s_addc_u32 s1, s15, s1
	s_load_dword s12, s[0:1], 0x4
	s_add_i32 s6, s11, -2
	s_cmp_lt_i32 s6, s5
	s_cbranch_scc1 .LBB50_4
; %bb.2:
	s_lshl_b32 s6, s8, 3
	s_ashr_i32 s7, s6, 31
	s_lshl_b64 s[6:7], s[6:7], 2
	s_add_u32 s6, s14, s6
	s_addc_u32 s7, s15, s7
	s_add_i32 s2, s2, 1
	s_load_dword s0, s[0:1], 0x0
	s_mul_i32 s1, s10, s2
	s_mul_i32 s2, s3, 0xe0
	;; [unrolled: 1-line block ×3, first 2 shown]
	s_mulk_i32 s1, 0xe0
	s_add_i32 s2, s10, s2
	s_add_i32 s2, s2, s1
	;; [unrolled: 1-line block ×4, first 2 shown]
	s_lshl_b32 s1, s1, 1
	v_add_u32_e32 v0, s2, v0
	s_add_i32 s1, s4, s1
	s_add_i32 s9, s11, -1
	v_add_u32_e32 v0, 0xfffffe40, v0
	s_add_i32 s2, s1, -4
	s_waitcnt lgkmcnt(0)
	v_mov_b32_e32 v7, s0
	v_mov_b32_e32 v4, s12
	s_mov_b32 s4, 0x3fb8aa3b
	s_mov_b32 s8, 0xc2ce8ed0
	;; [unrolled: 1-line block ×3, first 2 shown]
	v_mov_b32_e32 v6, 0x7f800000
	s_mov_b32 s11, 0xc1a00000
.LBB50_3:                               ; =>This Inner Loop Header: Depth=1
	v_ashrrev_i32_e32 v1, 31, v0
	v_lshl_add_u64 v[8:9], v[0:1], 2, s[6:7]
	global_load_dword v9, v[8:9], off
	s_ashr_i32 s3, s2, 31
	s_lshl_b64 s[0:1], s[2:3], 3
	s_add_u32 s0, s14, s0
	s_addc_u32 s1, s15, s1
	s_load_dwordx2 s[0:1], s[0:1], 0x0
	v_max_f32_e32 v1, v7, v7
	s_add_i32 s9, s9, -1
	s_add_i32 s2, s2, -2
	v_add_u32_e32 v0, 0xffffff20, v0
	s_waitcnt lgkmcnt(0)
	v_max_f32_e64 v10, s0, s0
	v_max_f32_e32 v1, v1, v10
	v_sub_f32_e32 v11, s0, v1
	v_sub_f32_e32 v10, v7, v1
	v_mul_f32_e32 v12, 0x3fb8aa3b, v11
	v_mov_b32_e32 v7, v1
	v_mul_f32_e32 v1, 0x3fb8aa3b, v10
	v_fma_f32 v15, v11, s4, -v12
	v_rndne_f32_e32 v16, v12
	v_fma_f32 v13, v10, s4, -v1
	v_rndne_f32_e32 v14, v1
	v_fmac_f32_e32 v15, 0x32a5705f, v11
	v_sub_f32_e32 v12, v12, v16
	v_fmac_f32_e32 v13, 0x32a5705f, v10
	v_sub_f32_e32 v1, v1, v14
	v_add_f32_e32 v12, v12, v15
	v_cvt_i32_f32_e32 v16, v16
	v_add_f32_e32 v1, v1, v13
	v_exp_f32_e32 v12, v12
	v_cvt_i32_f32_e32 v14, v14
	v_exp_f32_e32 v1, v1
	v_cmp_ngt_f32_e32 vcc, s8, v11
	v_ldexp_f32 v12, v12, v16
	v_mov_b32_e32 v8, s1
	v_ldexp_f32 v1, v1, v14
	v_cmp_ngt_f32_e64 s[0:1], s8, v10
	v_cndmask_b32_e32 v12, 0, v12, vcc
	v_cmp_nlt_f32_e32 vcc, s10, v11
	v_cndmask_b32_e64 v1, 0, v1, s[0:1]
	v_cmp_nlt_f32_e64 s[0:1], s10, v10
	v_cndmask_b32_e32 v12, v6, v12, vcc
	v_cmp_le_f32_e32 vcc, s11, v11
	v_cndmask_b32_e64 v1, v6, v1, s[0:1]
	v_cmp_le_f32_e64 s[0:1], s11, v10
	v_cndmask_b32_e32 v12, 0, v12, vcc
	s_cmp_le_i32 s9, s5
	v_cndmask_b32_e64 v10, 0, v1, s[0:1]
	s_waitcnt vmcnt(0)
	v_pk_mul_f32 v[8:9], v[8:9], v[12:13] op_sel_hi:[1,0]
	s_nop 0
	v_pk_fma_f32 v[4:5], v[4:5], v[10:11], v[8:9] op_sel_hi:[1,0,1]
	s_cbranch_scc0 .LBB50_3
	s_branch .LBB50_5
.LBB50_4:
	s_waitcnt lgkmcnt(0)
	v_mov_b32_e32 v4, s12
.LBB50_5:
	s_waitcnt vmcnt(0)
	v_div_scale_f32 v0, s[0:1], v4, v4, v5
	v_rcp_f32_e32 v1, v0
	v_div_scale_f32 v6, vcc, v5, v4, v5
	v_fma_f32 v7, -v0, v1, 1.0
	v_fmac_f32_e32 v1, v7, v1
	v_mul_f32_e32 v7, v6, v1
	v_fma_f32 v8, -v0, v7, v6
	v_fmac_f32_e32 v7, v8, v1
	v_fma_f32 v0, -v0, v7, v6
	v_div_fmas_f32 v0, v0, v1, v7
	v_div_fixup_f32 v0, v0, v4, v5
	global_store_dword v[2:3], v0, off
.LBB50_6:
	s_endpgm
	.section	.rodata,"a",@progbits
	.p2align	6, 0x0
	.amdhsa_kernel _ZL33flash_attn_stream_k_fixup_uniformILi112ELi1ELi2EEvPfPK15HIP_vector_typeIfLj2EEiiiiiiS1_IjLj3EES5_S5_
		.amdhsa_group_segment_fixed_size 0
		.amdhsa_private_segment_fixed_size 0
		.amdhsa_kernarg_size 76
		.amdhsa_user_sgpr_count 2
		.amdhsa_user_sgpr_dispatch_ptr 0
		.amdhsa_user_sgpr_queue_ptr 0
		.amdhsa_user_sgpr_kernarg_segment_ptr 1
		.amdhsa_user_sgpr_dispatch_id 0
		.amdhsa_user_sgpr_kernarg_preload_length 0
		.amdhsa_user_sgpr_kernarg_preload_offset 0
		.amdhsa_user_sgpr_private_segment_size 0
		.amdhsa_uses_dynamic_stack 0
		.amdhsa_enable_private_segment 0
		.amdhsa_system_sgpr_workgroup_id_x 1
		.amdhsa_system_sgpr_workgroup_id_y 1
		.amdhsa_system_sgpr_workgroup_id_z 1
		.amdhsa_system_sgpr_workgroup_info 0
		.amdhsa_system_vgpr_workitem_id 0
		.amdhsa_next_free_vgpr 17
		.amdhsa_next_free_sgpr 20
		.amdhsa_accum_offset 20
		.amdhsa_reserve_vcc 1
		.amdhsa_float_round_mode_32 0
		.amdhsa_float_round_mode_16_64 0
		.amdhsa_float_denorm_mode_32 3
		.amdhsa_float_denorm_mode_16_64 3
		.amdhsa_dx10_clamp 1
		.amdhsa_ieee_mode 1
		.amdhsa_fp16_overflow 0
		.amdhsa_tg_split 0
		.amdhsa_exception_fp_ieee_invalid_op 0
		.amdhsa_exception_fp_denorm_src 0
		.amdhsa_exception_fp_ieee_div_zero 0
		.amdhsa_exception_fp_ieee_overflow 0
		.amdhsa_exception_fp_ieee_underflow 0
		.amdhsa_exception_fp_ieee_inexact 0
		.amdhsa_exception_int_div_zero 0
	.end_amdhsa_kernel
	.section	.text._ZL33flash_attn_stream_k_fixup_uniformILi112ELi1ELi2EEvPfPK15HIP_vector_typeIfLj2EEiiiiiiS1_IjLj3EES5_S5_,"axG",@progbits,_ZL33flash_attn_stream_k_fixup_uniformILi112ELi1ELi2EEvPfPK15HIP_vector_typeIfLj2EEiiiiiiS1_IjLj3EES5_S5_,comdat
.Lfunc_end50:
	.size	_ZL33flash_attn_stream_k_fixup_uniformILi112ELi1ELi2EEvPfPK15HIP_vector_typeIfLj2EEiiiiiiS1_IjLj3EES5_S5_, .Lfunc_end50-_ZL33flash_attn_stream_k_fixup_uniformILi112ELi1ELi2EEvPfPK15HIP_vector_typeIfLj2EEiiiiiiS1_IjLj3EES5_S5_
                                        ; -- End function
	.set _ZL33flash_attn_stream_k_fixup_uniformILi112ELi1ELi2EEvPfPK15HIP_vector_typeIfLj2EEiiiiiiS1_IjLj3EES5_S5_.num_vgpr, 17
	.set _ZL33flash_attn_stream_k_fixup_uniformILi112ELi1ELi2EEvPfPK15HIP_vector_typeIfLj2EEiiiiiiS1_IjLj3EES5_S5_.num_agpr, 0
	.set _ZL33flash_attn_stream_k_fixup_uniformILi112ELi1ELi2EEvPfPK15HIP_vector_typeIfLj2EEiiiiiiS1_IjLj3EES5_S5_.numbered_sgpr, 20
	.set _ZL33flash_attn_stream_k_fixup_uniformILi112ELi1ELi2EEvPfPK15HIP_vector_typeIfLj2EEiiiiiiS1_IjLj3EES5_S5_.num_named_barrier, 0
	.set _ZL33flash_attn_stream_k_fixup_uniformILi112ELi1ELi2EEvPfPK15HIP_vector_typeIfLj2EEiiiiiiS1_IjLj3EES5_S5_.private_seg_size, 0
	.set _ZL33flash_attn_stream_k_fixup_uniformILi112ELi1ELi2EEvPfPK15HIP_vector_typeIfLj2EEiiiiiiS1_IjLj3EES5_S5_.uses_vcc, 1
	.set _ZL33flash_attn_stream_k_fixup_uniformILi112ELi1ELi2EEvPfPK15HIP_vector_typeIfLj2EEiiiiiiS1_IjLj3EES5_S5_.uses_flat_scratch, 0
	.set _ZL33flash_attn_stream_k_fixup_uniformILi112ELi1ELi2EEvPfPK15HIP_vector_typeIfLj2EEiiiiiiS1_IjLj3EES5_S5_.has_dyn_sized_stack, 0
	.set _ZL33flash_attn_stream_k_fixup_uniformILi112ELi1ELi2EEvPfPK15HIP_vector_typeIfLj2EEiiiiiiS1_IjLj3EES5_S5_.has_recursion, 0
	.set _ZL33flash_attn_stream_k_fixup_uniformILi112ELi1ELi2EEvPfPK15HIP_vector_typeIfLj2EEiiiiiiS1_IjLj3EES5_S5_.has_indirect_call, 0
	.section	.AMDGPU.csdata,"",@progbits
; Kernel info:
; codeLenInByte = 816
; TotalNumSgprs: 26
; NumVgprs: 17
; NumAgprs: 0
; TotalNumVgprs: 17
; ScratchSize: 0
; MemoryBound: 0
; FloatMode: 240
; IeeeMode: 1
; LDSByteSize: 0 bytes/workgroup (compile time only)
; SGPRBlocks: 3
; VGPRBlocks: 2
; NumSGPRsForWavesPerEU: 26
; NumVGPRsForWavesPerEU: 17
; AccumOffset: 20
; Occupancy: 8
; WaveLimiterHint : 0
; COMPUTE_PGM_RSRC2:SCRATCH_EN: 0
; COMPUTE_PGM_RSRC2:USER_SGPR: 2
; COMPUTE_PGM_RSRC2:TRAP_HANDLER: 0
; COMPUTE_PGM_RSRC2:TGID_X_EN: 1
; COMPUTE_PGM_RSRC2:TGID_Y_EN: 1
; COMPUTE_PGM_RSRC2:TGID_Z_EN: 1
; COMPUTE_PGM_RSRC2:TIDIG_COMP_CNT: 0
; COMPUTE_PGM_RSRC3_GFX90A:ACCUM_OFFSET: 4
; COMPUTE_PGM_RSRC3_GFX90A:TG_SPLIT: 0
	.section	.text._ZL33flash_attn_stream_k_fixup_generalILi112ELi1ELi2EEvPfPK15HIP_vector_typeIfLj2EEiiiiS1_IjLj3EES5_S5_S5_,"axG",@progbits,_ZL33flash_attn_stream_k_fixup_generalILi112ELi1ELi2EEvPfPK15HIP_vector_typeIfLj2EEiiiiS1_IjLj3EES5_S5_S5_,comdat
	.globl	_ZL33flash_attn_stream_k_fixup_generalILi112ELi1ELi2EEvPfPK15HIP_vector_typeIfLj2EEiiiiS1_IjLj3EES5_S5_S5_ ; -- Begin function _ZL33flash_attn_stream_k_fixup_generalILi112ELi1ELi2EEvPfPK15HIP_vector_typeIfLj2EEiiiiS1_IjLj3EES5_S5_S5_
	.p2align	8
	.type	_ZL33flash_attn_stream_k_fixup_generalILi112ELi1ELi2EEvPfPK15HIP_vector_typeIfLj2EEiiiiS1_IjLj3EES5_S5_S5_,@function
_ZL33flash_attn_stream_k_fixup_generalILi112ELi1ELi2EEvPfPK15HIP_vector_typeIfLj2EEiiiiS1_IjLj3EES5_S5_S5_: ; @_ZL33flash_attn_stream_k_fixup_generalILi112ELi1ELi2EEvPfPK15HIP_vector_typeIfLj2EEiiiiS1_IjLj3EES5_S5_S5_
; %bb.0:
	s_load_dwordx4 s[8:11], s[0:1], 0x10
	s_load_dword s5, s[0:1], 0x50
	s_mov_b32 s12, 0
	s_waitcnt lgkmcnt(0)
	s_mul_hi_i32 s13, s11, s2
	s_cmp_lg_u64 s[12:13], 0
	s_mul_i32 s18, s11, s2
	s_cbranch_scc0 .LBB51_20
; %bb.1:
	s_add_u32 s6, s5, 0
	s_addc_u32 s7, 0, 0
	s_xor_b64 s[6:7], s[6:7], 0
	v_cvt_f32_u32_e32 v1, s6
	v_cvt_f32_u32_e32 v2, s7
	s_sub_u32 s12, 0, s6
	s_subb_u32 s19, 0, s7
	v_fmamk_f32 v1, v2, 0x4f800000, v1
	v_rcp_f32_e32 v1, v1
	s_nop 0
	v_mul_f32_e32 v1, 0x5f7ffffc, v1
	v_mul_f32_e32 v2, 0x2f800000, v1
	v_trunc_f32_e32 v2, v2
	v_fmamk_f32 v1, v2, 0xcf800000, v1
	v_cvt_u32_f32_e32 v2, v2
	v_cvt_u32_f32_e32 v1, v1
	v_readfirstlane_b32 s20, v2
	v_readfirstlane_b32 s14, v1
	s_mul_i32 s15, s12, s20
	s_mul_hi_u32 s22, s12, s14
	s_mul_i32 s21, s19, s14
	s_add_i32 s15, s22, s15
	s_add_i32 s15, s15, s21
	s_mul_i32 s23, s12, s14
	s_mul_i32 s22, s14, s15
	s_mul_hi_u32 s24, s14, s23
	s_mul_hi_u32 s21, s14, s15
	s_add_u32 s22, s24, s22
	s_addc_u32 s21, 0, s21
	s_mul_hi_u32 s25, s20, s23
	s_mul_i32 s23, s20, s23
	s_add_u32 s22, s22, s23
	s_mul_hi_u32 s24, s20, s15
	s_addc_u32 s21, s21, s25
	s_addc_u32 s22, s24, 0
	s_mul_i32 s15, s20, s15
	s_add_u32 s15, s21, s15
	s_addc_u32 s21, 0, s22
	s_add_u32 s22, s14, s15
	s_cselect_b64 s[14:15], -1, 0
	s_cmp_lg_u64 s[14:15], 0
	s_addc_u32 s20, s20, s21
	s_mul_i32 s14, s12, s20
	s_mul_hi_u32 s15, s12, s22
	s_add_i32 s14, s15, s14
	s_mul_i32 s19, s19, s22
	s_add_i32 s14, s14, s19
	s_mul_i32 s12, s12, s22
	s_mul_hi_u32 s19, s20, s12
	s_mul_i32 s21, s20, s12
	s_mul_i32 s24, s22, s14
	s_mul_hi_u32 s12, s22, s12
	s_mul_hi_u32 s23, s22, s14
	s_add_u32 s12, s12, s24
	s_addc_u32 s23, 0, s23
	s_add_u32 s12, s12, s21
	s_mul_hi_u32 s15, s20, s14
	s_addc_u32 s12, s23, s19
	s_addc_u32 s15, s15, 0
	s_mul_i32 s14, s20, s14
	s_add_u32 s12, s12, s14
	s_addc_u32 s19, 0, s15
	s_add_u32 s21, s22, s12
	s_cselect_b64 s[14:15], -1, 0
	s_cmp_lg_u64 s[14:15], 0
	s_addc_u32 s19, s20, s19
	s_ashr_i32 s14, s13, 31
	s_add_u32 s12, s18, s14
	s_mov_b32 s15, s14
	s_addc_u32 s13, s13, s14
	s_xor_b64 s[12:13], s[12:13], s[14:15]
	s_mul_i32 s22, s12, s19
	s_mul_hi_u32 s23, s12, s21
	s_mul_hi_u32 s20, s12, s19
	s_add_u32 s22, s23, s22
	s_addc_u32 s20, 0, s20
	s_mul_hi_u32 s24, s13, s21
	s_mul_i32 s21, s13, s21
	s_add_u32 s21, s22, s21
	s_mul_hi_u32 s23, s13, s19
	s_addc_u32 s20, s20, s24
	s_addc_u32 s21, s23, 0
	s_mul_i32 s19, s13, s19
	s_add_u32 s19, s20, s19
	s_addc_u32 s24, 0, s21
	s_mul_i32 s20, s6, s24
	s_mul_hi_u32 s21, s6, s19
	s_add_i32 s20, s21, s20
	s_mul_i32 s21, s7, s19
	s_add_i32 s25, s20, s21
	s_sub_i32 s22, s13, s25
	s_mul_i32 s20, s6, s19
	s_sub_u32 s12, s12, s20
	s_cselect_b64 s[20:21], -1, 0
	s_cmp_lg_u64 s[20:21], 0
	s_subb_u32 s26, s22, s7
	s_sub_u32 s27, s12, s6
	s_cselect_b64 s[22:23], -1, 0
	s_cmp_lg_u64 s[22:23], 0
	s_subb_u32 s22, s26, 0
	s_cmp_ge_u32 s22, s7
	s_cselect_b32 s23, -1, 0
	s_cmp_ge_u32 s27, s6
	s_cselect_b32 s26, -1, 0
	s_cmp_eq_u32 s22, s7
	s_cselect_b32 s22, s26, s23
	s_add_u32 s23, s19, 1
	s_addc_u32 s26, s24, 0
	s_add_u32 s27, s19, 2
	s_addc_u32 s28, s24, 0
	s_cmp_lg_u32 s22, 0
	s_cselect_b32 s22, s27, s23
	s_cselect_b32 s23, s28, s26
	s_cmp_lg_u64 s[20:21], 0
	s_subb_u32 s13, s13, s25
	s_cmp_ge_u32 s13, s7
	s_cselect_b32 s20, -1, 0
	s_cmp_ge_u32 s12, s6
	s_cselect_b32 s6, -1, 0
	s_cmp_eq_u32 s13, s7
	s_cselect_b32 s6, s6, s20
	s_cmp_lg_u32 s6, 0
	s_cselect_b32 s7, s23, s24
	s_cselect_b32 s6, s22, s19
	s_xor_b64 s[12:13], s[14:15], 0
	s_xor_b64 s[6:7], s[6:7], s[12:13]
	s_sub_u32 s6, s6, s12
	s_load_dwordx4 s[12:15], s[0:1], 0x44
	s_cbranch_execnz .LBB51_3
.LBB51_2:
	v_cvt_f32_u32_e32 v1, s5
	s_sub_i32 s6, 0, s5
	v_rcp_iflag_f32_e32 v1, v1
	s_nop 0
	v_mul_f32_e32 v1, 0x4f7ffffe, v1
	v_cvt_u32_f32_e32 v1, v1
	s_nop 0
	v_readfirstlane_b32 s7, v1
	s_mul_i32 s6, s6, s7
	s_mul_hi_u32 s6, s7, s6
	s_add_i32 s7, s7, s6
	s_mul_hi_u32 s6, s18, s7
	s_waitcnt lgkmcnt(0)
	s_mul_i32 s15, s6, s5
	s_sub_i32 s15, s18, s15
	s_add_i32 s7, s6, 1
	s_sub_i32 s16, s15, s5
	s_cmp_ge_u32 s15, s5
	s_cselect_b32 s6, s7, s6
	s_cselect_b32 s15, s16, s15
	s_add_i32 s7, s6, 1
	s_cmp_ge_u32 s15, s5
	s_cselect_b32 s6, s7, s6
.LBB51_3:
	s_add_i32 s7, s2, 1
	s_mul_hi_i32 s21, s11, s7
	s_mov_b32 s20, 0
	s_cmp_lg_u64 s[20:21], 0
	s_mul_i32 s7, s11, s7
	s_cbranch_scc0 .LBB51_21
; %bb.4:
	s_add_u32 s16, s5, 0
	s_addc_u32 s17, 0, 0
	s_xor_b64 s[18:19], s[16:17], 0
	v_cvt_f32_u32_e32 v1, s18
	v_cvt_f32_u32_e32 v2, s19
	s_waitcnt lgkmcnt(0)
	s_sub_u32 s15, 0, s18
	s_subb_u32 s20, 0, s19
	v_fmamk_f32 v1, v2, 0x4f800000, v1
	v_rcp_f32_e32 v1, v1
	s_nop 0
	v_mul_f32_e32 v1, 0x5f7ffffc, v1
	v_mul_f32_e32 v2, 0x2f800000, v1
	v_trunc_f32_e32 v2, v2
	v_fmamk_f32 v1, v2, 0xcf800000, v1
	v_cvt_u32_f32_e32 v2, v2
	v_cvt_u32_f32_e32 v1, v1
	v_readfirstlane_b32 s24, v2
	v_readfirstlane_b32 s22, v1
	s_mul_i32 s23, s15, s24
	s_mul_hi_u32 s26, s15, s22
	s_mul_i32 s25, s20, s22
	s_add_i32 s23, s26, s23
	s_add_i32 s23, s23, s25
	s_mul_i32 s27, s15, s22
	s_mul_i32 s26, s22, s23
	s_mul_hi_u32 s28, s22, s27
	s_mul_hi_u32 s25, s22, s23
	s_add_u32 s26, s28, s26
	s_addc_u32 s25, 0, s25
	s_mul_hi_u32 s29, s24, s27
	s_mul_i32 s27, s24, s27
	s_add_u32 s26, s26, s27
	s_mul_hi_u32 s28, s24, s23
	s_addc_u32 s25, s25, s29
	s_addc_u32 s26, s28, 0
	s_mul_i32 s23, s24, s23
	s_add_u32 s23, s25, s23
	s_addc_u32 s25, 0, s26
	s_add_u32 s26, s22, s23
	s_cselect_b64 s[22:23], -1, 0
	s_cmp_lg_u64 s[22:23], 0
	s_addc_u32 s24, s24, s25
	s_mul_i32 s22, s15, s24
	s_mul_hi_u32 s23, s15, s26
	s_add_i32 s22, s23, s22
	s_mul_i32 s20, s20, s26
	s_add_i32 s22, s22, s20
	s_mul_i32 s15, s15, s26
	s_mul_hi_u32 s23, s24, s15
	s_mul_i32 s25, s24, s15
	s_mul_i32 s28, s26, s22
	s_mul_hi_u32 s15, s26, s15
	s_mul_hi_u32 s27, s26, s22
	s_add_u32 s15, s15, s28
	s_addc_u32 s27, 0, s27
	s_add_u32 s15, s15, s25
	s_mul_hi_u32 s20, s24, s22
	s_addc_u32 s15, s27, s23
	s_addc_u32 s20, s20, 0
	s_mul_i32 s22, s24, s22
	s_add_u32 s15, s15, s22
	s_addc_u32 s20, 0, s20
	s_add_u32 s15, s26, s15
	s_cselect_b64 s[22:23], -1, 0
	s_cmp_lg_u64 s[22:23], 0
	s_addc_u32 s24, s24, s20
	s_ashr_i32 s22, s21, 31
	s_add_u32 s20, s7, s22
	s_mov_b32 s23, s22
	s_addc_u32 s21, s21, s22
	s_xor_b64 s[20:21], s[20:21], s[22:23]
	s_mul_i32 s26, s20, s24
	s_mul_hi_u32 s27, s20, s15
	s_mul_hi_u32 s25, s20, s24
	s_add_u32 s26, s27, s26
	s_addc_u32 s25, 0, s25
	s_mul_hi_u32 s28, s21, s15
	s_mul_i32 s15, s21, s15
	s_add_u32 s15, s26, s15
	s_mul_hi_u32 s27, s21, s24
	s_addc_u32 s15, s25, s28
	s_addc_u32 s25, s27, 0
	s_mul_i32 s24, s21, s24
	s_add_u32 s15, s15, s24
	s_addc_u32 s28, 0, s25
	s_mul_i32 s24, s18, s28
	s_mul_hi_u32 s25, s18, s15
	s_add_i32 s24, s25, s24
	s_mul_i32 s25, s19, s15
	s_add_i32 s29, s24, s25
	s_sub_i32 s26, s21, s29
	s_mul_i32 s24, s18, s15
	s_sub_u32 s20, s20, s24
	s_cselect_b64 s[24:25], -1, 0
	s_cmp_lg_u64 s[24:25], 0
	s_subb_u32 s30, s26, s19
	s_sub_u32 s31, s20, s18
	s_cselect_b64 s[26:27], -1, 0
	s_cmp_lg_u64 s[26:27], 0
	s_subb_u32 s26, s30, 0
	s_cmp_ge_u32 s26, s19
	s_cselect_b32 s27, -1, 0
	s_cmp_ge_u32 s31, s18
	s_cselect_b32 s30, -1, 0
	s_cmp_eq_u32 s26, s19
	s_cselect_b32 s26, s30, s27
	s_add_u32 s27, s15, 1
	s_addc_u32 s30, s28, 0
	s_add_u32 s31, s15, 2
	s_addc_u32 s33, s28, 0
	s_cmp_lg_u32 s26, 0
	s_cselect_b32 s26, s31, s27
	s_cselect_b32 s27, s33, s30
	s_cmp_lg_u64 s[24:25], 0
	s_subb_u32 s21, s21, s29
	s_cmp_ge_u32 s21, s19
	s_cselect_b32 s24, -1, 0
	s_cmp_ge_u32 s20, s18
	s_cselect_b32 s18, -1, 0
	s_cmp_eq_u32 s21, s19
	s_cselect_b32 s18, s18, s24
	s_cmp_lg_u32 s18, 0
	s_cselect_b32 s19, s27, s28
	s_cselect_b32 s18, s26, s15
	s_xor_b64 s[20:21], s[22:23], 0
	s_xor_b64 s[18:19], s[18:19], s[20:21]
	s_sub_u32 s18, s18, s20
	s_cbranch_execnz .LBB51_6
.LBB51_5:
	v_cvt_f32_u32_e32 v1, s5
	s_waitcnt lgkmcnt(0)
	s_sub_i32 s15, 0, s5
	v_rcp_iflag_f32_e32 v1, v1
	s_nop 0
	v_mul_f32_e32 v1, 0x4f7ffffe, v1
	v_cvt_u32_f32_e32 v1, v1
	s_nop 0
	v_readfirstlane_b32 s16, v1
	s_mul_i32 s15, s15, s16
	s_mul_hi_u32 s15, s16, s15
	s_add_i32 s16, s16, s15
	s_mul_hi_u32 s15, s7, s16
	s_mul_i32 s17, s15, s5
	s_sub_i32 s7, s7, s17
	s_add_i32 s16, s15, 1
	s_sub_i32 s17, s7, s5
	s_cmp_ge_u32 s7, s5
	s_cselect_b32 s15, s16, s15
	s_cselect_b32 s7, s17, s7
	s_add_i32 s16, s15, 1
	s_cmp_ge_u32 s7, s5
	s_cselect_b32 s18, s16, s15
.LBB51_6:
	s_cmp_eq_u32 s6, s18
	s_waitcnt lgkmcnt(0)
	s_mul_hi_u32 s7, s6, s12
	s_cselect_b64 s[16:17], -1, 0
	s_add_i32 s7, s7, s6
	s_lshr_b32 s7, s7, s13
	s_mul_i32 s15, s7, s14
	s_cmp_eq_u32 s15, s6
	s_mul_hi_u32 s15, s18, s12
	s_cselect_b64 s[20:21], -1, 0
	s_add_i32 s15, s15, s18
	s_lshr_b32 s15, s15, s13
	s_cmp_eq_u32 s7, s15
	s_mul_i32 s15, s15, s14
	s_cselect_b64 s[22:23], -1, 0
	s_cmp_lg_u32 s15, s18
	s_cselect_b64 s[18:19], -1, 0
	s_and_b64 s[18:19], s[22:23], s[18:19]
	s_or_b64 s[16:17], s[16:17], s[20:21]
	s_or_b64 s[16:17], s[16:17], s[18:19]
	s_and_b64 vcc, exec, s[16:17]
	s_cbranch_vccnz .LBB51_23
; %bb.7:
	s_load_dwordx8 s[16:23], s[0:1], 0x20
	s_load_dword s24, s[0:1], 0x40
	s_waitcnt lgkmcnt(0)
	s_mul_hi_u32 s15, s6, s16
	s_add_i32 s15, s15, s6
	s_lshr_b32 s15, s15, s17
	s_mul_i32 s16, s15, s18
	s_sub_i32 s16, s6, s16
	s_mul_hi_u32 s17, s16, s19
	s_add_i32 s17, s16, s17
	s_lshr_b32 s20, s17, s20
	s_mul_i32 s17, s20, s21
	s_sub_i32 s16, s16, s17
	s_mul_hi_u32 s17, s16, s22
	s_add_i32 s17, s16, s17
	s_lshr_b32 s17, s17, s23
	s_mul_i32 s18, s17, s24
	s_sub_i32 s16, s16, s18
	s_lshl_b32 s22, s17, 1
	s_mul_hi_u32 s17, s16, s12
	s_add_i32 s16, s16, s17
	s_lshr_b32 s21, s16, s13
	s_add_i32 s21, s21, s3
	s_cmp_lt_i32 s21, s8
	s_cselect_b64 s[16:17], -1, 0
	s_add_i32 s22, s22, s4
	s_cmp_lt_i32 s22, s10
	s_cselect_b64 s[18:19], -1, 0
	s_and_b64 s[16:17], s[16:17], s[18:19]
	s_andn2_b64 vcc, exec, s[16:17]
	s_cbranch_vccnz .LBB51_23
; %bb.8:
	s_load_dwordx4 s[16:19], s[0:1], 0x0
	s_lshl_b32 s0, s3, 1
	s_add_i32 s1, s0, s4
	s_mov_b32 s0, 0
	s_lshl_b32 s24, s5, 3
	s_mov_b32 s25, s0
	s_waitcnt lgkmcnt(0)
	v_mov_b32_e32 v2, s16
	v_mov_b32_e32 v3, s17
	s_lshl_b64 s[16:17], s[24:25], 2
	s_add_u32 s16, s18, s16
	s_mul_i32 s15, s15, s8
	s_addc_u32 s17, s19, s17
	s_mul_i32 s20, s20, s10
	s_add_i32 s8, s21, s15
	s_mul_i32 s8, s8, s9
	s_add_i32 s9, s22, s20
	s_add_i32 s8, s9, s8
	s_mulk_i32 s8, 0x70
	v_add_u32_e32 v4, s8, v0
	v_ashrrev_i32_e32 v5, 31, v4
	v_lshl_add_u64 v[2:3], v[4:5], 2, v[2:3]
	global_load_dword v1, v[2:3], off
	s_add_i32 s8, s3, s2
	v_cvt_f32_u32_e32 v4, s5
	s_lshl_b32 s8, s8, 1
	s_add_i32 s8, s8, s4
	s_ashr_i32 s9, s8, 31
	s_lshl_b64 s[8:9], s[8:9], 3
	v_rcp_iflag_f32_e32 v4, v4
	s_add_u32 s8, s18, s8
	s_addc_u32 s9, s19, s9
	s_load_dwordx2 s[8:9], s[8:9], 0x0
	v_mul_f32_e32 v4, 0x4f7ffffe, v4
	v_cvt_u32_f32_e32 v7, v4
	s_mulk_i32 s1, 0x70
	s_add_i32 s25, s2, -1
	v_add_u32_e32 v6, s1, v0
	s_add_i32 s10, s5, s3
	s_waitcnt lgkmcnt(0)
	v_mov_b32_e32 v0, s9
	v_mov_b32_e32 v9, s8
	s_mov_b32 s15, 0x3fb8aa3b
	s_mov_b32 s22, 0xc2ce8ed0
	;; [unrolled: 1-line block ×4, first 2 shown]
	v_mov_b32_e32 v8, 0x7f800000
	s_mul_hi_i32 s1, s25, s11
	s_cmp_lg_u64 s[0:1], 0
	s_mul_i32 s20, s25, s11
	s_cbranch_scc0 .LBB51_19
.LBB51_9:
	s_add_u32 s2, s5, 0
	s_addc_u32 s3, 0, 0
	s_xor_b64 s[2:3], s[2:3], 0
	v_cvt_f32_u32_e32 v4, s2
	v_cvt_f32_u32_e32 v5, s3
	s_sub_u32 s21, 0, s2
	s_subb_u32 s26, 0, s3
	v_fmac_f32_e32 v4, 0x4f800000, v5
	v_rcp_f32_e32 v4, v4
	s_nop 0
	v_mul_f32_e32 v4, 0x5f7ffffc, v4
	v_mul_f32_e32 v5, 0x2f800000, v4
	v_trunc_f32_e32 v5, v5
	v_fmac_f32_e32 v4, 0xcf800000, v5
	v_cvt_u32_f32_e32 v5, v5
	v_cvt_u32_f32_e32 v4, v4
	v_readfirstlane_b32 s27, v5
	v_readfirstlane_b32 s8, v4
	s_mul_i32 s9, s21, s27
	s_mul_hi_u32 s29, s21, s8
	s_mul_i32 s28, s26, s8
	s_add_i32 s9, s29, s9
	s_mul_i32 s30, s21, s8
	s_add_i32 s9, s9, s28
	s_mul_i32 s29, s8, s9
	s_mul_hi_u32 s31, s8, s30
	s_mul_hi_u32 s28, s8, s9
	s_add_u32 s29, s31, s29
	s_addc_u32 s28, 0, s28
	s_mul_hi_u32 s33, s27, s30
	s_mul_i32 s30, s27, s30
	s_add_u32 s29, s29, s30
	s_mul_hi_u32 s31, s27, s9
	s_addc_u32 s28, s28, s33
	s_addc_u32 s29, s31, 0
	s_mul_i32 s9, s27, s9
	s_add_u32 s9, s28, s9
	s_addc_u32 s28, 0, s29
	s_add_u32 s29, s8, s9
	s_cselect_b64 s[8:9], -1, 0
	s_cmp_lg_u64 s[8:9], 0
	s_addc_u32 s27, s27, s28
	s_mul_i32 s8, s21, s27
	s_mul_hi_u32 s9, s21, s29
	s_add_i32 s8, s9, s8
	s_mul_i32 s26, s26, s29
	s_add_i32 s8, s8, s26
	s_mul_i32 s21, s21, s29
	s_mul_hi_u32 s26, s27, s21
	s_mul_i32 s28, s27, s21
	s_mul_i32 s31, s29, s8
	s_mul_hi_u32 s21, s29, s21
	s_mul_hi_u32 s30, s29, s8
	s_add_u32 s21, s21, s31
	s_addc_u32 s30, 0, s30
	s_add_u32 s21, s21, s28
	s_mul_hi_u32 s9, s27, s8
	s_addc_u32 s21, s30, s26
	s_addc_u32 s9, s9, 0
	s_mul_i32 s8, s27, s8
	s_add_u32 s8, s21, s8
	s_addc_u32 s21, 0, s9
	s_add_u32 s28, s29, s8
	s_cselect_b64 s[8:9], -1, 0
	s_cmp_lg_u64 s[8:9], 0
	s_addc_u32 s21, s27, s21
	s_ashr_i32 s8, s1, 31
	s_add_u32 s26, s20, s8
	s_mov_b32 s9, s8
	s_addc_u32 s27, s1, s8
	s_xor_b64 s[26:27], s[26:27], s[8:9]
	s_mul_i32 s29, s26, s21
	s_mul_hi_u32 s30, s26, s28
	s_mul_hi_u32 s1, s26, s21
	s_add_u32 s29, s30, s29
	s_addc_u32 s1, 0, s1
	s_mul_hi_u32 s31, s27, s28
	s_mul_i32 s28, s27, s28
	s_add_u32 s28, s29, s28
	s_mul_hi_u32 s30, s27, s21
	s_addc_u32 s1, s1, s31
	s_addc_u32 s28, s30, 0
	s_mul_i32 s21, s27, s21
	s_add_u32 s1, s1, s21
	s_addc_u32 s21, 0, s28
	s_mul_i32 s28, s2, s21
	s_mul_hi_u32 s29, s2, s1
	s_add_i32 s28, s29, s28
	s_mul_i32 s29, s3, s1
	s_add_i32 s33, s28, s29
	s_sub_i32 s30, s27, s33
	s_mul_i32 s28, s2, s1
	s_sub_u32 s26, s26, s28
	s_cselect_b64 s[28:29], -1, 0
	s_cmp_lg_u64 s[28:29], 0
	s_subb_u32 s34, s30, s3
	s_sub_u32 s35, s26, s2
	s_cselect_b64 s[30:31], -1, 0
	s_cmp_lg_u64 s[30:31], 0
	s_subb_u32 s30, s34, 0
	s_cmp_ge_u32 s30, s3
	s_cselect_b32 s31, -1, 0
	s_cmp_ge_u32 s35, s2
	s_cselect_b32 s34, -1, 0
	s_cmp_eq_u32 s30, s3
	s_cselect_b32 s30, s34, s31
	s_add_u32 s31, s1, 1
	s_addc_u32 s34, s21, 0
	s_add_u32 s35, s1, 2
	s_addc_u32 s36, s21, 0
	s_cmp_lg_u32 s30, 0
	s_cselect_b32 s30, s35, s31
	s_cselect_b32 s31, s36, s34
	s_cmp_lg_u64 s[28:29], 0
	s_subb_u32 s27, s27, s33
	s_cmp_ge_u32 s27, s3
	s_cselect_b32 s28, -1, 0
	s_cmp_ge_u32 s26, s2
	s_cselect_b32 s2, -1, 0
	s_cmp_eq_u32 s27, s3
	s_cselect_b32 s2, s2, s28
	s_cmp_lg_u32 s2, 0
	s_cselect_b32 s3, s31, s21
	s_cselect_b32 s2, s30, s1
	s_xor_b64 s[8:9], s[8:9], 0
	s_xor_b64 s[2:3], s[2:3], s[8:9]
	s_sub_u32 s8, s2, s8
	s_cbranch_execnz .LBB51_11
.LBB51_10:
	s_sub_i32 s1, 0, s5
	v_readfirstlane_b32 s2, v7
	s_mul_i32 s1, s1, s2
	s_mul_hi_u32 s1, s2, s1
	s_add_i32 s2, s2, s1
	s_mul_hi_u32 s1, s20, s2
	s_mul_i32 s3, s1, s5
	s_sub_i32 s3, s20, s3
	s_add_i32 s2, s1, 1
	s_sub_i32 s8, s3, s5
	s_cmp_ge_u32 s3, s5
	s_cselect_b32 s1, s2, s1
	s_cselect_b32 s3, s8, s3
	s_add_i32 s2, s1, 1
	s_cmp_ge_u32 s3, s5
	s_cselect_b32 s8, s2, s1
.LBB51_11:
	s_cmp_lg_u32 s6, s8
	s_cbranch_scc0 .LBB51_15
; %bb.12:
	s_add_i32 s1, s10, s25
	s_lshl_b32 s1, s1, 1
	s_add_i32 s2, s1, s4
	s_mov_b32 s3, s0
	s_lshl_b64 s[2:3], s[2:3], 3
	s_add_u32 s20, s18, s2
	s_mul_hi_u32 s1, s8, s12
	s_addc_u32 s21, s19, s3
	s_add_i32 s1, s1, s8
	s_lshr_b32 s1, s1, s13
	s_mul_i32 s2, s1, s14
	s_cmp_eq_u32 s2, s8
	s_cselect_b64 s[2:3], -1, 0
	s_cmp_lt_u32 s1, s7
	s_cselect_b64 s[26:27], -1, 0
	s_or_b64 s[26:27], s[26:27], s[2:3]
	s_mov_b64 s[2:3], -1
	s_and_b64 vcc, exec, s[26:27]
	s_mov_b32 s1, s25
	s_mov_b32 s26, s6
	s_cbranch_vccnz .LBB51_14
; %bb.13:
	s_add_i32 s1, s25, -1
	s_mov_b64 s[2:3], 0
	s_mov_b32 s26, s8
.LBB51_14:
	s_mul_i32 s8, s25, 0xe0
	v_add_u32_e32 v4, s8, v6
	v_ashrrev_i32_e32 v5, 31, v4
	v_lshl_add_u64 v[4:5], v[4:5], 2, s[16:17]
	global_load_dword v5, v[4:5], off
	s_load_dwordx2 s[8:9], s[20:21], 0x0
	v_max_f32_e32 v4, v9, v9
	s_waitcnt lgkmcnt(0)
	v_max_f32_e64 v10, s8, s8
	v_max_f32_e32 v10, v4, v10
	v_sub_f32_e32 v11, v9, v10
	v_sub_f32_e32 v13, s8, v10
	v_mul_f32_e32 v4, 0x3fb8aa3b, v11
	v_mul_f32_e32 v12, 0x3fb8aa3b, v13
	v_fma_f32 v14, v11, s15, -v4
	v_rndne_f32_e32 v15, v4
	v_fma_f32 v16, v13, s15, -v12
	v_rndne_f32_e32 v17, v12
	v_fmac_f32_e32 v14, 0x32a5705f, v11
	v_sub_f32_e32 v4, v4, v15
	v_fmac_f32_e32 v16, 0x32a5705f, v13
	v_sub_f32_e32 v12, v12, v17
	v_add_f32_e32 v4, v4, v14
	v_cvt_i32_f32_e32 v15, v15
	v_add_f32_e32 v12, v12, v16
	v_exp_f32_e32 v14, v4
	v_cvt_i32_f32_e32 v17, v17
	v_exp_f32_e32 v12, v12
	v_cmp_ngt_f32_e32 vcc, s22, v11
	v_ldexp_f32 v14, v14, v15
	v_mov_b32_e32 v4, s9
	v_ldexp_f32 v12, v12, v17
	v_cndmask_b32_e32 v14, 0, v14, vcc
	v_cmp_ngt_f32_e32 vcc, s22, v13
	s_nop 1
	v_cndmask_b32_e32 v12, 0, v12, vcc
	v_cmp_nlt_f32_e32 vcc, s23, v11
	s_nop 1
	v_cndmask_b32_e32 v14, v8, v14, vcc
	v_cmp_nlt_f32_e32 vcc, s23, v13
	s_nop 1
	v_cndmask_b32_e32 v15, v8, v12, vcc
	v_cmp_le_f32_e32 vcc, s24, v11
	s_nop 1
	v_cndmask_b32_e32 v12, 0, v14, vcc
	v_cmp_le_f32_e32 vcc, s24, v13
	s_nop 1
	v_cndmask_b32_e32 v14, 0, v15, vcc
	s_waitcnt vmcnt(0)
	v_pk_mul_f32 v[4:5], v[4:5], v[14:15] op_sel_hi:[1,0]
	s_nop 0
	v_pk_fma_f32 v[4:5], v[0:1], v[12:13], v[4:5] op_sel_hi:[1,0,1]
	s_cbranch_execz .LBB51_16
	s_branch .LBB51_17
.LBB51_15:
                                        ; implicit-def: $vgpr4_vgpr5
                                        ; implicit-def: $sgpr2_sgpr3
                                        ; implicit-def: $vgpr10
                                        ; implicit-def: $sgpr1
                                        ; implicit-def: $sgpr26
.LBB51_16:
	s_add_i32 s1, s25, -1
	s_mov_b64 s[2:3], 0
	s_mov_b32 s26, s6
	v_mov_b32_e32 v10, v9
	s_waitcnt vmcnt(0)
	v_mov_b64_e32 v[4:5], v[0:1]
.LBB51_17:
	s_andn2_b64 vcc, exec, s[2:3]
	s_cbranch_vccz .LBB51_22
; %bb.18:
	s_mov_b32 s6, s26
	s_mov_b32 s25, s1
	v_mov_b32_e32 v9, v10
	s_waitcnt vmcnt(0)
	v_mov_b64_e32 v[0:1], v[4:5]
	s_mul_hi_i32 s1, s25, s11
	s_cmp_lg_u64 s[0:1], 0
	s_mul_i32 s20, s25, s11
	s_cbranch_scc1 .LBB51_9
.LBB51_19:
                                        ; implicit-def: $sgpr8_sgpr9
	s_branch .LBB51_10
.LBB51_20:
                                        ; implicit-def: $sgpr6_sgpr7
	s_load_dwordx4 s[12:15], s[0:1], 0x44
	s_branch .LBB51_2
.LBB51_21:
                                        ; implicit-def: $sgpr18_sgpr19
	s_branch .LBB51_5
.LBB51_22:
	v_div_scale_f32 v0, s[0:1], v4, v4, v5
	s_waitcnt vmcnt(0)
	v_rcp_f32_e32 v1, v0
	v_div_scale_f32 v6, vcc, v5, v4, v5
	v_fma_f32 v7, -v0, v1, 1.0
	v_fmac_f32_e32 v1, v7, v1
	v_mul_f32_e32 v7, v6, v1
	v_fma_f32 v8, -v0, v7, v6
	v_fmac_f32_e32 v7, v8, v1
	v_fma_f32 v0, -v0, v7, v6
	v_div_fmas_f32 v0, v0, v1, v7
	v_div_fixup_f32 v0, v0, v4, v5
	global_store_dword v[2:3], v0, off
.LBB51_23:
	s_endpgm
	.section	.rodata,"a",@progbits
	.p2align	6, 0x0
	.amdhsa_kernel _ZL33flash_attn_stream_k_fixup_generalILi112ELi1ELi2EEvPfPK15HIP_vector_typeIfLj2EEiiiiS1_IjLj3EES5_S5_S5_
		.amdhsa_group_segment_fixed_size 0
		.amdhsa_private_segment_fixed_size 0
		.amdhsa_kernarg_size 336
		.amdhsa_user_sgpr_count 2
		.amdhsa_user_sgpr_dispatch_ptr 0
		.amdhsa_user_sgpr_queue_ptr 0
		.amdhsa_user_sgpr_kernarg_segment_ptr 1
		.amdhsa_user_sgpr_dispatch_id 0
		.amdhsa_user_sgpr_kernarg_preload_length 0
		.amdhsa_user_sgpr_kernarg_preload_offset 0
		.amdhsa_user_sgpr_private_segment_size 0
		.amdhsa_uses_dynamic_stack 0
		.amdhsa_enable_private_segment 0
		.amdhsa_system_sgpr_workgroup_id_x 1
		.amdhsa_system_sgpr_workgroup_id_y 1
		.amdhsa_system_sgpr_workgroup_id_z 1
		.amdhsa_system_sgpr_workgroup_info 0
		.amdhsa_system_vgpr_workitem_id 0
		.amdhsa_next_free_vgpr 18
		.amdhsa_next_free_sgpr 37
		.amdhsa_accum_offset 20
		.amdhsa_reserve_vcc 1
		.amdhsa_float_round_mode_32 0
		.amdhsa_float_round_mode_16_64 0
		.amdhsa_float_denorm_mode_32 3
		.amdhsa_float_denorm_mode_16_64 3
		.amdhsa_dx10_clamp 1
		.amdhsa_ieee_mode 1
		.amdhsa_fp16_overflow 0
		.amdhsa_tg_split 0
		.amdhsa_exception_fp_ieee_invalid_op 0
		.amdhsa_exception_fp_denorm_src 0
		.amdhsa_exception_fp_ieee_div_zero 0
		.amdhsa_exception_fp_ieee_overflow 0
		.amdhsa_exception_fp_ieee_underflow 0
		.amdhsa_exception_fp_ieee_inexact 0
		.amdhsa_exception_int_div_zero 0
	.end_amdhsa_kernel
	.section	.text._ZL33flash_attn_stream_k_fixup_generalILi112ELi1ELi2EEvPfPK15HIP_vector_typeIfLj2EEiiiiS1_IjLj3EES5_S5_S5_,"axG",@progbits,_ZL33flash_attn_stream_k_fixup_generalILi112ELi1ELi2EEvPfPK15HIP_vector_typeIfLj2EEiiiiS1_IjLj3EES5_S5_S5_,comdat
.Lfunc_end51:
	.size	_ZL33flash_attn_stream_k_fixup_generalILi112ELi1ELi2EEvPfPK15HIP_vector_typeIfLj2EEiiiiS1_IjLj3EES5_S5_S5_, .Lfunc_end51-_ZL33flash_attn_stream_k_fixup_generalILi112ELi1ELi2EEvPfPK15HIP_vector_typeIfLj2EEiiiiS1_IjLj3EES5_S5_S5_
                                        ; -- End function
	.set _ZL33flash_attn_stream_k_fixup_generalILi112ELi1ELi2EEvPfPK15HIP_vector_typeIfLj2EEiiiiS1_IjLj3EES5_S5_S5_.num_vgpr, 18
	.set _ZL33flash_attn_stream_k_fixup_generalILi112ELi1ELi2EEvPfPK15HIP_vector_typeIfLj2EEiiiiS1_IjLj3EES5_S5_S5_.num_agpr, 0
	.set _ZL33flash_attn_stream_k_fixup_generalILi112ELi1ELi2EEvPfPK15HIP_vector_typeIfLj2EEiiiiS1_IjLj3EES5_S5_S5_.numbered_sgpr, 37
	.set _ZL33flash_attn_stream_k_fixup_generalILi112ELi1ELi2EEvPfPK15HIP_vector_typeIfLj2EEiiiiS1_IjLj3EES5_S5_S5_.num_named_barrier, 0
	.set _ZL33flash_attn_stream_k_fixup_generalILi112ELi1ELi2EEvPfPK15HIP_vector_typeIfLj2EEiiiiS1_IjLj3EES5_S5_S5_.private_seg_size, 0
	.set _ZL33flash_attn_stream_k_fixup_generalILi112ELi1ELi2EEvPfPK15HIP_vector_typeIfLj2EEiiiiS1_IjLj3EES5_S5_S5_.uses_vcc, 1
	.set _ZL33flash_attn_stream_k_fixup_generalILi112ELi1ELi2EEvPfPK15HIP_vector_typeIfLj2EEiiiiS1_IjLj3EES5_S5_S5_.uses_flat_scratch, 0
	.set _ZL33flash_attn_stream_k_fixup_generalILi112ELi1ELi2EEvPfPK15HIP_vector_typeIfLj2EEiiiiS1_IjLj3EES5_S5_S5_.has_dyn_sized_stack, 0
	.set _ZL33flash_attn_stream_k_fixup_generalILi112ELi1ELi2EEvPfPK15HIP_vector_typeIfLj2EEiiiiS1_IjLj3EES5_S5_S5_.has_recursion, 0
	.set _ZL33flash_attn_stream_k_fixup_generalILi112ELi1ELi2EEvPfPK15HIP_vector_typeIfLj2EEiiiiS1_IjLj3EES5_S5_S5_.has_indirect_call, 0
	.section	.AMDGPU.csdata,"",@progbits
; Kernel info:
; codeLenInByte = 2936
; TotalNumSgprs: 43
; NumVgprs: 18
; NumAgprs: 0
; TotalNumVgprs: 18
; ScratchSize: 0
; MemoryBound: 0
; FloatMode: 240
; IeeeMode: 1
; LDSByteSize: 0 bytes/workgroup (compile time only)
; SGPRBlocks: 5
; VGPRBlocks: 2
; NumSGPRsForWavesPerEU: 43
; NumVGPRsForWavesPerEU: 18
; AccumOffset: 20
; Occupancy: 8
; WaveLimiterHint : 0
; COMPUTE_PGM_RSRC2:SCRATCH_EN: 0
; COMPUTE_PGM_RSRC2:USER_SGPR: 2
; COMPUTE_PGM_RSRC2:TRAP_HANDLER: 0
; COMPUTE_PGM_RSRC2:TGID_X_EN: 1
; COMPUTE_PGM_RSRC2:TGID_Y_EN: 1
; COMPUTE_PGM_RSRC2:TGID_Z_EN: 1
; COMPUTE_PGM_RSRC2:TIDIG_COMP_CNT: 0
; COMPUTE_PGM_RSRC3_GFX90A:ACCUM_OFFSET: 4
; COMPUTE_PGM_RSRC3_GFX90A:TG_SPLIT: 0
	.section	.text._ZL15flash_attn_tileILi112ELi112ELi64ELi1ELb0EEvPKcS1_S1_S1_S1_PKiPfP15HIP_vector_typeIfLj2EEffffjfiS5_IjLj3EEiiiiiiiiiiiliiliiiiil,"axG",@progbits,_ZL15flash_attn_tileILi112ELi112ELi64ELi1ELb0EEvPKcS1_S1_S1_S1_PKiPfP15HIP_vector_typeIfLj2EEffffjfiS5_IjLj3EEiiiiiiiiiiiliiliiiiil,comdat
	.globl	_ZL15flash_attn_tileILi112ELi112ELi64ELi1ELb0EEvPKcS1_S1_S1_S1_PKiPfP15HIP_vector_typeIfLj2EEffffjfiS5_IjLj3EEiiiiiiiiiiiliiliiiiil ; -- Begin function _ZL15flash_attn_tileILi112ELi112ELi64ELi1ELb0EEvPKcS1_S1_S1_S1_PKiPfP15HIP_vector_typeIfLj2EEffffjfiS5_IjLj3EEiiiiiiiiiiiliiliiiiil
	.p2align	8
	.type	_ZL15flash_attn_tileILi112ELi112ELi64ELi1ELb0EEvPKcS1_S1_S1_S1_PKiPfP15HIP_vector_typeIfLj2EEffffjfiS5_IjLj3EEiiiiiiiiiiiliiliiiiil,@function
_ZL15flash_attn_tileILi112ELi112ELi64ELi1ELb0EEvPKcS1_S1_S1_S1_PKiPfP15HIP_vector_typeIfLj2EEffffjfiS5_IjLj3EEiiiiiiiiiiiliiliiiiil: ; @_ZL15flash_attn_tileILi112ELi112ELi64ELi1ELb0EEvPKcS1_S1_S1_S1_PKiPfP15HIP_vector_typeIfLj2EEffffjfiS5_IjLj3EEiiiiiiiiiiiliiliiiiil
; %bb.0:
	s_load_dwordx4 s[64:67], s[0:1], 0x5c
	s_load_dwordx2 s[70:71], s[0:1], 0x80
	s_load_dwordx16 s[48:63], s[0:1], 0x0
	s_load_dwordx2 s[12:13], s[0:1], 0xb8
	s_mov_b64 s[68:69], 0
	s_waitcnt lgkmcnt(0)
	v_cvt_f32_u32_e32 v1, s67
	s_sub_i32 s5, 0, s67
	v_rcp_iflag_f32_e32 v1, v1
	s_nop 0
	v_mul_f32_e32 v1, 0x4f7ffffe, v1
	v_cvt_u32_f32_e32 v1, v1
	s_nop 0
	v_readfirstlane_b32 s6, v1
	s_mul_i32 s5, s5, s6
	s_mul_hi_u32 s5, s6, s5
	s_add_i32 s6, s6, s5
	s_mul_hi_u32 s5, s4, s6
	s_mul_i32 s6, s5, s67
	s_sub_i32 s6, s4, s6
	s_add_i32 s7, s5, 1
	s_sub_i32 s8, s6, s67
	s_cmp_ge_u32 s6, s67
	s_cselect_b32 s5, s7, s5
	s_cselect_b32 s6, s8, s6
	s_add_i32 s7, s5, 1
	s_cmp_ge_u32 s6, s67
	s_cselect_b32 s72, s7, s5
	s_abs_i32 s6, s71
	v_cvt_f32_u32_e32 v1, s6
	s_sub_i32 s9, 0, s6
	s_abs_i32 s8, s67
	s_xor_b32 s7, s67, s71
	v_rcp_iflag_f32_e32 v1, v1
	s_ashr_i32 s7, s7, 31
	s_mul_i32 s5, s72, s67
	s_cmp_eq_u64 s[54:55], 0
	v_mul_f32_e32 v1, 0x4f7ffffe, v1
	v_cvt_u32_f32_e32 v1, v1
	v_mul_lo_u32 v2, s9, v1
	v_mul_hi_u32 v2, v1, v2
	v_add_u32_e32 v1, v1, v2
	v_mul_hi_u32 v1, s8, v1
	v_mul_lo_u32 v2, v1, s6
	v_sub_u32_e32 v2, s8, v2
	v_add_u32_e32 v3, 1, v1
	v_subrev_u32_e32 v4, s6, v2
	v_cmp_le_u32_e32 vcc, s6, v2
	s_nop 1
	v_cndmask_b32_e32 v1, v1, v3, vcc
	v_cndmask_b32_e32 v2, v2, v4, vcc
	v_add_u32_e32 v3, 1, v1
	v_cmp_le_u32_e32 vcc, s6, v2
	s_nop 1
	v_cndmask_b32_e32 v1, v1, v3, vcc
	v_xor_b32_e32 v1, s7, v1
	v_subrev_u32_e32 v5, s7, v1
	v_sub_u32_e32 v1, 0, v5
	s_cbranch_scc1 .LBB52_2
; %bb.1:
	s_abs_i32 s8, s12
	v_cvt_f32_u32_e32 v2, s8
	s_sub_i32 s11, 0, s8
	s_abs_i32 s10, s72
	s_ashr_i32 s9, s72, 31
	v_rcp_iflag_f32_e32 v2, v2
	s_load_dwordx2 s[6:7], s[0:1], 0xc8
	v_mul_f32_e32 v2, 0x4f7ffffe, v2
	v_cvt_u32_f32_e32 v2, v2
	s_nop 0
	v_readfirstlane_b32 s12, v2
	s_mul_i32 s11, s11, s12
	s_mul_hi_u32 s11, s12, s11
	s_add_i32 s12, s12, s11
	s_mul_hi_u32 s11, s10, s12
	s_mul_i32 s11, s11, s8
	s_sub_i32 s10, s10, s11
	s_sub_i32 s11, s10, s8
	s_cmp_ge_u32 s10, s8
	s_cselect_b32 s10, s11, s10
	s_sub_i32 s11, s10, s8
	s_cmp_ge_u32 s10, s8
	s_cselect_b32 s8, s11, s10
	s_xor_b32 s8, s8, s9
	s_sub_i32 s8, s8, s9
	s_ashr_i32 s9, s8, 31
	s_waitcnt lgkmcnt(0)
	s_mul_hi_u32 s10, s6, s8
	s_mul_i32 s9, s6, s9
	s_mul_i32 s7, s7, s8
	s_add_i32 s9, s10, s9
	s_add_i32 s9, s9, s7
	s_mul_i32 s6, s6, s8
	s_add_u32 s68, s54, s6
	s_addc_u32 s69, s55, s9
.LBB52_2:
	s_load_dwordx4 s[8:11], s[0:1], 0x40
	s_sub_i32 s54, s4, s5
	s_load_dword s4, s[0:1], 0x50
	v_max_i32_e32 v4, v5, v1
	v_mov_b32_e32 v115, 1.0
	s_waitcnt lgkmcnt(0)
	v_cmp_le_f32_e64 s[6:7], s9, 0
	s_and_b64 vcc, exec, s[6:7]
	s_cbranch_vccnz .LBB52_4
; %bb.3:
	v_mov_b32_e32 v1, s4
	v_sub_co_u32_e32 v1, vcc, s54, v1
	v_mov_b32_e32 v2, s11
	v_mov_b32_e32 v3, s10
	s_add_i32 s4, s54, 1
	v_lshlrev_b32_e32 v1, 1, v1
	v_cndmask_b32_e32 v2, v2, v3, vcc
	v_or_b32_e32 v1, 1, v1
	v_mov_b32_e32 v3, s4
	v_cndmask_b32_e32 v1, v1, v3, vcc
	v_cvt_f32_i32_e32 v1, v1
	v_cmp_neq_f32_e32 vcc, 1.0, v2
	s_mov_b32 s4, 0x3f2aaaab
	s_movk_i32 s6, 0x204
	v_cndmask_b32_e32 v1, 1.0, v1, vcc
	v_cmp_neq_f32_e32 vcc, 0, v1
	s_mov_b32 s5, 0x42b17218
	s_mov_b32 s7, 0x3fb8aa3b
	v_cndmask_b32_e32 v20, 1.0, v2, vcc
	v_frexp_mant_f32_e64 v2, |v20|
	v_cmp_gt_f32_e32 vcc, s4, v2
	s_mov_b32 s4, 0x3f317218
	s_brev_b32 s9, -2
	v_cndmask_b32_e64 v3, 1.0, 2.0, vcc
	v_mul_f32_e32 v2, v2, v3
	v_add_f32_e32 v7, 1.0, v2
	v_rcp_f32_e32 v12, v7
	v_add_f32_e32 v3, -1.0, v7
	v_sub_f32_e32 v9, v2, v3
	v_add_f32_e32 v3, -1.0, v2
	v_mul_f32_e32 v13, v3, v12
	v_mul_f32_e32 v6, v7, v13
	v_fma_f32 v8, v13, v7, -v6
	v_fmac_f32_e32 v8, v13, v9
	v_add_f32_e32 v2, v6, v8
	v_sub_f32_e32 v7, v3, v2
	v_pk_add_f32 v[10:11], v[2:3], v[6:7] neg_lo:[0,1] neg_hi:[0,1]
	v_mov_b32_e32 v9, v2
	v_pk_add_f32 v[2:3], v[10:11], v[8:9] neg_lo:[0,1] neg_hi:[0,1]
	v_mov_b32_e32 v8, 0x3e91f4c4
	v_add_f32_e32 v2, v2, v3
	v_add_f32_e32 v2, v7, v2
	v_mul_f32_e32 v3, v12, v2
	v_add_f32_e32 v2, v13, v3
	v_sub_f32_e32 v6, v2, v13
	v_sub_f32_e32 v14, v3, v6
	v_mul_f32_e32 v3, v2, v2
	v_fma_f32 v7, v2, v2, -v3
	v_add_f32_e32 v6, v14, v14
	v_fmac_f32_e32 v7, v2, v6
	v_add_f32_e32 v6, v3, v7
	v_fmac_f32_e32 v8, 0x3e76c4e1, v6
	v_fmaak_f32 v8, v6, v8, 0x3ecccdef
	v_sub_f32_e32 v3, v6, v3
	v_sub_f32_e32 v15, v7, v3
	v_mul_f32_e32 v3, v6, v8
	v_fma_f32 v7, v6, v8, -v3
	v_fmac_f32_e32 v7, v15, v8
	v_add_f32_e32 v8, v3, v7
	v_add_f32_e32 v9, 0x3f2aaaaa, v8
	v_sub_f32_e32 v3, v8, v3
	v_sub_f32_e32 v3, v7, v3
	v_add_f32_e32 v7, 0xbf2aaaaa, v9
	v_add_f32_e32 v3, 0x31739010, v3
	v_sub_f32_e32 v7, v8, v7
	v_pk_mul_f32 v[10:11], v[2:3], v[6:7]
	v_pk_add_f32 v[12:13], v[2:3], v[6:7]
	v_fma_f32 v8, v6, v2, -v10
	v_fmac_f32_e32 v8, v6, v14
	v_mov_b32_e32 v11, v13
	v_fmac_f32_e32 v8, v15, v2
	v_pk_add_f32 v[6:7], v[10:11], v[8:9]
	v_ldexp_f32 v16, v14, 1
	v_sub_f32_e32 v3, v6, v10
	v_sub_f32_e32 v3, v8, v3
	;; [unrolled: 1-line block ×3, first 2 shown]
	v_add_f32_e32 v11, v13, v8
	v_pk_mul_f32 v[8:9], v[6:7], v[6:7] op_sel:[0,1] op_sel_hi:[1,0]
	v_cvt_f64_f32_e64 v[12:13], |v20|
	v_frexp_exp_i32_f64_e32 v9, v[12:13]
	v_subbrev_co_u32_e32 v9, vcc, 0, v9, vcc
	v_cvt_f32_i32_e32 v9, v9
	v_fma_f32 v10, v6, v7, -v8
	v_fmac_f32_e32 v10, v6, v11
	v_fmac_f32_e32 v10, v3, v7
	v_mul_f32_e32 v6, 0x3f317218, v9
	v_fma_f32 v3, v9, s4, -v6
	v_fmamk_f32 v12, v9, 0xb102e308, v3
	v_ldexp_f32 v13, v2, 1
	v_add_f32_e32 v7, v8, v10
	v_pk_add_f32 v[2:3], v[6:7], v[12:13]
	v_mov_b32_e32 v14, v7
	v_mov_b32_e32 v15, v3
	;; [unrolled: 1-line block ×3, first 2 shown]
	v_pk_add_f32 v[8:9], v[14:15], v[8:9] neg_lo:[0,1] neg_hi:[0,1]
	v_mov_b32_e32 v11, v7
	v_pk_add_f32 v[8:9], v[10:11], v[8:9] neg_lo:[0,1] neg_hi:[0,1]
	v_mov_b32_e32 v13, v2
	v_add_f32_e32 v7, v16, v8
	v_add_f32_e32 v7, v7, v9
	v_pk_add_f32 v[8:9], v[2:3], v[6:7] neg_lo:[0,1] neg_hi:[0,1]
	v_pk_add_f32 v[10:11], v[2:3], v[6:7]
	v_mov_b32_e32 v18, v3
	v_mov_b32_e32 v9, v11
	v_pk_add_f32 v[14:15], v[12:13], v[8:9] neg_lo:[0,1] neg_hi:[0,1]
	v_pk_add_f32 v[8:9], v[12:13], v[8:9]
	v_mov_b32_e32 v6, v7
	v_pk_add_f32 v[12:13], v[8:9], v[2:3] op_sel:[1,0] op_sel_hi:[0,1] neg_lo:[0,1] neg_hi:[0,1]
	v_pk_add_f32 v[16:17], v[10:11], v[12:13] op_sel_hi:[1,0] neg_lo:[0,1] neg_hi:[0,1]
	v_mov_b32_e32 v10, v11
	v_mov_b32_e32 v11, v9
	;; [unrolled: 1-line block ×3, first 2 shown]
	v_pk_add_f32 v[10:11], v[10:11], v[18:19] neg_lo:[0,1] neg_hi:[0,1]
	v_mov_b32_e32 v7, v2
	v_pk_add_f32 v[2:3], v[6:7], v[10:11] neg_lo:[0,1] neg_hi:[0,1]
	v_mov_b32_e32 v16, v14
	v_pk_add_f32 v[6:7], v[16:17], v[2:3]
	v_mov_b32_e32 v15, v9
	v_pk_add_f32 v[10:11], v[6:7], v[6:7] op_sel:[0,1] op_sel_hi:[1,0]
	s_mov_b32 s4, 0x7f800000
	v_pk_add_f32 v[8:9], v[8:9], v[10:11] op_sel:[1,0] op_sel_hi:[0,1]
	v_mov_b32_e32 v7, v8
	v_pk_add_f32 v[12:13], v[6:7], v[14:15] neg_lo:[0,1] neg_hi:[0,1]
	v_mov_b32_e32 v3, v10
	v_sub_f32_e32 v6, v6, v12
	v_pk_add_f32 v[2:3], v[2:3], v[12:13] neg_lo:[0,1] neg_hi:[0,1]
	v_sub_f32_e32 v6, v14, v6
	v_add_f32_e32 v2, v2, v6
	v_add_f32_e32 v2, v2, v3
	;; [unrolled: 1-line block ×3, first 2 shown]
	v_sub_f32_e32 v6, v3, v8
	v_sub_f32_e32 v2, v2, v6
	v_mul_f32_e32 v6, v1, v3
	v_fma_f32 v3, v1, v3, -v6
	v_fmac_f32_e32 v3, v1, v2
	v_add_f32_e32 v2, v6, v3
	v_cmp_class_f32_e64 vcc, v6, s6
	v_sub_f32_e32 v7, v2, v6
	v_sub_f32_e32 v3, v3, v7
	v_cndmask_b32_e32 v2, v2, v6, vcc
	v_mov_b32_e32 v6, 0x37000000
	v_cmp_eq_f32_e32 vcc, s5, v2
	v_cmp_class_f32_e64 s[10:11], v20, s6
	s_nop 0
	v_cndmask_b32_e32 v6, 0, v6, vcc
	v_sub_f32_e32 v7, v2, v6
	v_mul_f32_e32 v8, 0x3fb8aa3b, v7
	v_fma_f32 v9, v7, s7, -v8
	v_rndne_f32_e32 v10, v8
	v_fmamk_f32 v9, v7, 0x32a5705f, v9
	v_sub_f32_e32 v8, v8, v10
	v_add_f32_e32 v8, v8, v9
	v_exp_f32_e32 v8, v8
	v_cvt_i32_f32_e32 v9, v10
	v_cmp_neq_f32_e64 vcc, |v2|, s4
	s_mov_b32 s4, 0xc2ce8ed0
	s_nop 0
	v_cndmask_b32_e32 v2, 0, v3, vcc
	v_ldexp_f32 v3, v8, v9
	v_cmp_ngt_f32_e32 vcc, s4, v7
	v_add_f32_e32 v2, v6, v2
	v_mov_b32_e32 v6, 0x7f800000
	v_cndmask_b32_e32 v3, 0, v3, vcc
	v_cmp_nlt_f32_e32 vcc, s5, v7
	v_mov_b32_e32 v7, 0x7fc00000
	s_nop 0
	v_cndmask_b32_e32 v3, v6, v3, vcc
	v_fma_f32 v2, v3, v2, v3
	v_cmp_class_f32_e64 vcc, v3, s6
	v_cmp_gt_f32_e64 s[6:7], 0, v1
	s_nop 0
	v_cndmask_b32_e32 v2, v2, v3, vcc
	v_trunc_f32_e32 v3, v1
	v_cmp_eq_f32_e32 vcc, v3, v1
	v_mul_f32_e32 v3, 0.5, v1
	v_trunc_f32_e32 v8, v3
	v_cmp_neq_f32_e64 s[4:5], v8, v3
	s_and_b64 s[4:5], vcc, s[4:5]
	s_nop 0
	v_cndmask_b32_e64 v3, 1.0, v20, s[4:5]
	v_bfi_b32 v2, s9, v2, v3
	v_cndmask_b32_e32 v3, v7, v2, vcc
	v_cmp_gt_f32_e32 vcc, 0, v20
	s_nop 1
	v_cndmask_b32_e32 v2, v2, v3, vcc
	v_cmp_eq_f32_e32 vcc, 0, v20
	s_xor_b64 s[6:7], s[6:7], vcc
	v_cndmask_b32_e64 v1, v6, 0, s[6:7]
	v_cndmask_b32_e64 v3, 0, v20, s[4:5]
	v_bfi_b32 v1, s9, v1, v3
	s_or_b64 vcc, vcc, s[10:11]
	v_cndmask_b32_e32 v1, v2, v1, vcc
	v_cmp_o_f32_e32 vcc, v20, v20
	s_nop 1
	v_cndmask_b32_e32 v115, v7, v1, vcc
.LBB52_4:
	s_load_dwordx4 s[4:7], s[0:1], 0x70
	s_lshl_b32 s33, s2, 6
	v_cvt_f32_u32_e32 v6, v4
	v_bfe_u32 v20, v0, 10, 10
	v_and_b32_e32 v161, 0x3ff, v0
	s_waitcnt lgkmcnt(0)
	s_mul_i32 s6, s72, s6
	s_ashr_i32 s7, s6, 31
	s_mul_i32 s5, s54, s5
	s_add_u32 s6, s48, s6
	s_addc_u32 s7, s49, s7
	s_ashr_i32 s9, s5, 31
	s_add_u32 s6, s6, s5
	s_addc_u32 s7, s7, s9
	v_lshlrev_b32_e32 v18, 3, v20
	s_ashr_i32 s5, s4, 31
	v_lshlrev_b32_e32 v0, 4, v161
	v_mov_b32_e32 v1, 0
	v_cmp_gt_u32_e64 s[48:49], 28, v161
	s_lshr_b64 s[4:5], s[4:5], 2
	v_lshl_add_u64 v[2:3], s[6:7], 0, v[0:1]
	v_add_u32_e32 v1, s33, v18
	scratch_store_dword off, v1, off offset:36 ; 4-byte Folded Spill
	s_and_saveexec_b64 s[6:7], s[48:49]
	s_cbranch_execz .LBB52_6
; %bb.5:
	scratch_load_dword v7, off, off offset:36 ; 4-byte Folded Reload
	s_movk_i32 s9, 0x700
	s_waitcnt vmcnt(0)
	v_mul_hi_u32 v1, v7, s64
	v_add_u32_e32 v1, v7, v1
	v_lshrrev_b32_e32 v1, s65, v1
	v_mul_lo_u32 v1, v1, s66
	v_sub_u32_e32 v1, v7, v1
	v_mad_u64_u32 v[8:9], s[10:11], s4, v1, 0
	v_mov_b32_e32 v10, v9
	v_mad_u64_u32 v[10:11], s[10:11], s5, v1, v[10:11]
	v_mov_b32_e32 v9, v10
	v_lshl_add_u64 v[8:9], v[8:9], 2, v[2:3]
	global_load_dwordx4 v[8:11], v[8:9], off
	v_lshlrev_b32_e32 v1, 3, v161
	v_mad_u32_u24 v1, v20, s9, v1
	s_waitcnt vmcnt(0)
	v_fma_mixlo_f16 v7, s8, v8, 0
	v_mov_b32_e32 v8, v11
	v_pk_mul_f32 v[8:9], s[8:9], v[8:9] op_sel_hi:[0,1]
	v_cvt_pk_f16_f32 v8, v8, v9
	v_fma_mixlo_f16 v10, s8, v10, 0
	v_and_b32_e32 v7, 0xffff, v7
	v_lshlrev_b32_e32 v9, 16, v8
	v_and_b32_e32 v8, 0xffff0000, v8
	v_and_b32_e32 v10, 0xffff, v10
	v_or_b32_e32 v7, v8, v7
	v_or3_b32 v9, v9, v10, 0
	v_or3_b32 v8, 0, 0, v7
	ds_write_b64 v1, v[8:9]
.LBB52_6:
	s_or_b64 exec, exec, s[6:7]
	v_rcp_iflag_f32_e32 v1, v6
	v_or_b32_e32 v17, 1, v18
	v_add_u32_e32 v19, s33, v17
	s_and_saveexec_b64 s[6:7], s[48:49]
	s_cbranch_execz .LBB52_8
; %bb.7:
	v_mul_hi_u32 v6, v19, s64
	v_add_u32_e32 v6, v19, v6
	v_lshrrev_b32_e32 v6, s65, v6
	v_mul_lo_u32 v6, v6, s66
	v_sub_u32_e32 v9, v19, v6
	v_mad_u64_u32 v[6:7], s[10:11], s4, v9, 0
	v_mov_b32_e32 v8, v7
	v_mad_u64_u32 v[8:9], s[10:11], s5, v9, v[8:9]
	v_mov_b32_e32 v7, v8
	v_lshl_add_u64 v[6:7], v[6:7], 2, v[2:3]
	global_load_dwordx4 v[6:9], v[6:7], off
	s_movk_i32 s9, 0xe0
	v_lshlrev_b32_e32 v10, 3, v161
	v_mad_u32_u24 v10, v17, s9, v10
	s_waitcnt vmcnt(0)
	v_fma_mixlo_f16 v11, s8, v6, 0
	v_mov_b32_e32 v6, v9
	v_pk_mul_f32 v[6:7], s[8:9], v[6:7] op_sel_hi:[0,1]
	v_cvt_pk_f16_f32 v6, v6, v7
	v_fma_mixlo_f16 v8, s8, v8, 0
	v_and_b32_e32 v9, 0xffff, v11
	v_lshlrev_b32_e32 v7, 16, v6
	v_and_b32_e32 v6, 0xffff0000, v6
	v_and_b32_e32 v8, 0xffff, v8
	v_or_b32_e32 v6, v6, v9
	v_or3_b32 v7, v7, v8, 0
	v_or3_b32 v6, 0, 0, v6
	ds_write_b64 v10, v[6:7]
.LBB52_8:
	s_or_b64 exec, exec, s[6:7]
	v_mul_f32_e32 v1, 0x4f7ffffe, v1
	v_or_b32_e32 v16, 2, v18
	s_and_saveexec_b64 s[6:7], s[48:49]
	s_cbranch_execz .LBB52_10
; %bb.9:
	v_add_u32_e32 v6, s33, v16
	v_mul_hi_u32 v7, v6, s64
	v_add_u32_e32 v7, v6, v7
	v_lshrrev_b32_e32 v7, s65, v7
	v_mul_lo_u32 v7, v7, s66
	v_sub_u32_e32 v9, v6, v7
	v_mad_u64_u32 v[6:7], s[10:11], s4, v9, 0
	v_mov_b32_e32 v8, v7
	v_mad_u64_u32 v[8:9], s[10:11], s5, v9, v[8:9]
	v_mov_b32_e32 v7, v8
	v_lshl_add_u64 v[6:7], v[6:7], 2, v[2:3]
	global_load_dwordx4 v[6:9], v[6:7], off
	s_movk_i32 s9, 0xe0
	v_lshlrev_b32_e32 v10, 3, v161
	v_mad_u32_u24 v10, v16, s9, v10
	s_waitcnt vmcnt(0)
	v_fma_mixlo_f16 v11, s8, v6, 0
	v_mov_b32_e32 v6, v9
	v_pk_mul_f32 v[6:7], s[8:9], v[6:7] op_sel_hi:[0,1]
	v_cvt_pk_f16_f32 v6, v6, v7
	v_fma_mixlo_f16 v8, s8, v8, 0
	v_and_b32_e32 v9, 0xffff, v11
	v_lshlrev_b32_e32 v7, 16, v6
	v_and_b32_e32 v6, 0xffff0000, v6
	v_and_b32_e32 v8, 0xffff, v8
	v_or_b32_e32 v6, v6, v9
	v_or3_b32 v7, v7, v8, 0
	v_or3_b32 v6, 0, 0, v6
	ds_write_b64 v10, v[6:7]
.LBB52_10:
	s_or_b64 exec, exec, s[6:7]
	v_cvt_u32_f32_e32 v1, v1
	v_sub_u32_e32 v6, 0, v4
	v_or_b32_e32 v15, 3, v18
	s_and_saveexec_b64 s[6:7], s[48:49]
	s_cbranch_execz .LBB52_12
; %bb.11:
	v_add_u32_e32 v7, s33, v15
	v_mul_hi_u32 v8, v7, s64
	v_add_u32_e32 v8, v7, v8
	v_lshrrev_b32_e32 v8, s65, v8
	v_mul_lo_u32 v8, v8, s66
	v_sub_u32_e32 v7, v7, v8
	v_mad_u64_u32 v[8:9], s[10:11], s4, v7, 0
	v_mov_b32_e32 v10, v9
	v_mad_u64_u32 v[10:11], s[10:11], s5, v7, v[10:11]
	v_mov_b32_e32 v9, v10
	v_lshl_add_u64 v[8:9], v[8:9], 2, v[2:3]
	global_load_dwordx4 v[8:11], v[8:9], off
	s_movk_i32 s9, 0xe0
	v_lshlrev_b32_e32 v7, 3, v161
	v_mad_u32_u24 v7, v15, s9, v7
	s_waitcnt vmcnt(0)
	v_fma_mixlo_f16 v12, s8, v8, 0
	v_mov_b32_e32 v8, v11
	v_pk_mul_f32 v[8:9], s[8:9], v[8:9] op_sel_hi:[0,1]
	v_cvt_pk_f16_f32 v8, v8, v9
	v_fma_mixlo_f16 v10, s8, v10, 0
	v_and_b32_e32 v11, 0xffff, v12
	v_lshlrev_b32_e32 v9, 16, v8
	v_and_b32_e32 v8, 0xffff0000, v8
	v_and_b32_e32 v10, 0xffff, v10
	v_or_b32_e32 v8, v8, v11
	v_or3_b32 v9, v9, v10, 0
	v_or3_b32 v8, 0, 0, v8
	ds_write_b64 v7, v[8:9]
.LBB52_12:
	s_or_b64 exec, exec, s[6:7]
	v_mul_lo_u32 v6, v6, v1
	v_or_b32_e32 v14, 4, v18
	s_and_saveexec_b64 s[6:7], s[48:49]
	s_cbranch_execz .LBB52_14
; %bb.13:
	v_add_u32_e32 v7, s33, v14
	v_mul_hi_u32 v8, v7, s64
	v_add_u32_e32 v8, v7, v8
	v_lshrrev_b32_e32 v8, s65, v8
	v_mul_lo_u32 v8, v8, s66
	v_sub_u32_e32 v7, v7, v8
	v_mad_u64_u32 v[8:9], s[10:11], s4, v7, 0
	v_mov_b32_e32 v10, v9
	v_mad_u64_u32 v[10:11], s[10:11], s5, v7, v[10:11]
	v_mov_b32_e32 v9, v10
	v_lshl_add_u64 v[8:9], v[8:9], 2, v[2:3]
	global_load_dwordx4 v[8:11], v[8:9], off
	s_movk_i32 s9, 0xe0
	v_lshlrev_b32_e32 v7, 3, v161
	v_mad_u32_u24 v7, v14, s9, v7
	s_waitcnt vmcnt(0)
	v_fma_mixlo_f16 v12, s8, v8, 0
	v_mov_b32_e32 v8, v11
	v_pk_mul_f32 v[8:9], s[8:9], v[8:9] op_sel_hi:[0,1]
	v_cvt_pk_f16_f32 v8, v8, v9
	v_fma_mixlo_f16 v10, s8, v10, 0
	v_and_b32_e32 v11, 0xffff, v12
	v_lshlrev_b32_e32 v9, 16, v8
	v_and_b32_e32 v8, 0xffff0000, v8
	v_and_b32_e32 v10, 0xffff, v10
	v_or_b32_e32 v8, v8, v11
	v_or3_b32 v9, v9, v10, 0
	v_or3_b32 v8, 0, 0, v8
	ds_write_b64 v7, v[8:9]
.LBB52_14:
	s_or_b64 exec, exec, s[6:7]
	v_mul_hi_u32 v6, v1, v6
	v_or_b32_e32 v13, 5, v18
	s_and_saveexec_b64 s[6:7], s[48:49]
	s_cbranch_execz .LBB52_16
; %bb.15:
	v_add_u32_e32 v7, s33, v13
	v_mul_hi_u32 v8, v7, s64
	v_add_u32_e32 v8, v7, v8
	v_lshrrev_b32_e32 v8, s65, v8
	v_mul_lo_u32 v8, v8, s66
	v_sub_u32_e32 v7, v7, v8
	v_mad_u64_u32 v[8:9], s[10:11], s4, v7, 0
	v_mov_b32_e32 v10, v9
	v_mad_u64_u32 v[10:11], s[10:11], s5, v7, v[10:11]
	v_mov_b32_e32 v9, v10
	v_lshl_add_u64 v[8:9], v[8:9], 2, v[2:3]
	global_load_dwordx4 v[8:11], v[8:9], off
	s_movk_i32 s9, 0xe0
	v_lshlrev_b32_e32 v7, 3, v161
	v_mad_u32_u24 v7, v13, s9, v7
	s_waitcnt vmcnt(0)
	v_fma_mixlo_f16 v12, s8, v8, 0
	v_mov_b32_e32 v8, v11
	v_pk_mul_f32 v[8:9], s[8:9], v[8:9] op_sel_hi:[0,1]
	v_cvt_pk_f16_f32 v8, v8, v9
	v_fma_mixlo_f16 v10, s8, v10, 0
	v_and_b32_e32 v11, 0xffff, v12
	v_lshlrev_b32_e32 v9, 16, v8
	v_and_b32_e32 v8, 0xffff0000, v8
	v_and_b32_e32 v10, 0xffff, v10
	v_or_b32_e32 v8, v8, v11
	v_or3_b32 v9, v9, v10, 0
	v_or3_b32 v8, 0, 0, v8
	ds_write_b64 v7, v[8:9]
.LBB52_16:
	s_or_b64 exec, exec, s[6:7]
	s_abs_i32 s9, s54
	v_add_u32_e32 v1, v1, v6
	v_or_b32_e32 v12, 6, v18
	s_and_saveexec_b64 s[6:7], s[48:49]
	s_cbranch_execz .LBB52_18
; %bb.17:
	v_add_u32_e32 v6, s33, v12
	v_mul_hi_u32 v7, v6, s64
	v_add_u32_e32 v7, v6, v7
	v_lshrrev_b32_e32 v7, s65, v7
	v_mul_lo_u32 v7, v7, s66
	v_sub_u32_e32 v9, v6, v7
	v_mad_u64_u32 v[6:7], s[10:11], s4, v9, 0
	v_mov_b32_e32 v8, v7
	v_mad_u64_u32 v[8:9], s[10:11], s5, v9, v[8:9]
	v_mov_b32_e32 v7, v8
	v_lshl_add_u64 v[6:7], v[6:7], 2, v[2:3]
	global_load_dwordx4 v[6:9], v[6:7], off
	s_movk_i32 s10, 0xe0
	v_lshlrev_b32_e32 v10, 3, v161
	v_mad_u32_u24 v10, v12, s10, v10
	s_waitcnt vmcnt(0)
	v_fma_mixlo_f16 v11, s8, v6, 0
	v_mov_b32_e32 v6, v9
	v_pk_mul_f32 v[6:7], s[8:9], v[6:7] op_sel_hi:[0,1]
	v_cvt_pk_f16_f32 v6, v6, v7
	v_fma_mixlo_f16 v8, s8, v8, 0
	v_and_b32_e32 v9, 0xffff, v11
	v_lshlrev_b32_e32 v7, 16, v6
	v_and_b32_e32 v6, 0xffff0000, v6
	v_and_b32_e32 v8, 0xffff, v8
	v_or_b32_e32 v6, v6, v9
	v_or3_b32 v7, v7, v8, 0
	v_or3_b32 v6, 0, 0, v6
	ds_write_b64 v10, v[6:7]
.LBB52_18:
	s_or_b64 exec, exec, s[6:7]
	v_mul_hi_u32 v1, s9, v1
	v_or_b32_e32 v11, 7, v18
	s_and_saveexec_b64 s[6:7], s[48:49]
	s_cbranch_execz .LBB52_20
; %bb.19:
	v_add_u32_e32 v6, s33, v11
	v_mul_hi_u32 v7, v6, s64
	v_add_u32_e32 v7, v6, v7
	v_lshrrev_b32_e32 v7, s65, v7
	v_mul_lo_u32 v7, v7, s66
	v_sub_u32_e32 v9, v6, v7
	v_mad_u64_u32 v[6:7], s[10:11], s4, v9, 0
	v_mov_b32_e32 v8, v7
	v_mad_u64_u32 v[8:9], s[4:5], s5, v9, v[8:9]
	v_mov_b32_e32 v7, v8
	v_lshl_add_u64 v[2:3], v[6:7], 2, v[2:3]
	global_load_dwordx4 v[6:9], v[2:3], off
	s_movk_i32 s4, 0xe0
	v_lshlrev_b32_e32 v2, 3, v161
	v_mad_u32_u24 v10, v11, s4, v2
	s_waitcnt vmcnt(0)
	v_fma_mixlo_f16 v2, s8, v6, 0
	v_fma_mixlo_f16 v3, s8, v8, 0
	v_mov_b32_e32 v6, v9
	v_and_b32_e32 v8, 0xffff, v2
	v_and_b32_e32 v9, 0xffff, v3
	v_pk_mul_f32 v[2:3], s[8:9], v[6:7] op_sel_hi:[0,1]
	v_cvt_pk_f16_f32 v2, v2, v3
	v_lshlrev_b32_e32 v3, 16, v2
	v_and_b32_e32 v2, 0xffff0000, v2
	v_or_b32_e32 v2, v2, v8
	v_or3_b32 v3, v3, v9, 0
	v_or3_b32 v2, 0, 0, v2
	ds_write_b64 v10, v[2:3]
.LBB52_20:
	s_or_b64 exec, exec, s[6:7]
	s_ashr_i32 s55, s54, 31
	v_ashrrev_i32_e32 v2, 31, v5
	s_cmp_eq_u64 s[58:59], 0
	s_waitcnt lgkmcnt(0)
	s_barrier
	scratch_store_dword off, v20, off offset:40 ; 4-byte Folded Spill
	s_cbranch_scc1 .LBB52_22
; %bb.21:
	s_load_dword s4, s[0:1], 0xd0
	s_mov_b32 s5, 0
	s_waitcnt lgkmcnt(0)
	s_mul_i32 s4, s4, s72
	s_add_i32 s4, s4, s2
	s_lshl_b64 s[4:5], s[4:5], 2
	s_add_u32 s4, s58, s4
	s_addc_u32 s5, s59, s5
	s_load_dword s70, s[4:5], 0x0
.LBB52_22:
	scratch_store_dword off, v19, off offset:56 ; 4-byte Folded Spill
	scratch_store_dword off, v17, off offset:76 ; 4-byte Folded Spill
	scratch_store_dword off, v16, off offset:72 ; 4-byte Folded Spill
	scratch_store_dword off, v15, off offset:88 ; 4-byte Folded Spill
	scratch_store_dword off, v14, off offset:92 ; 4-byte Folded Spill
	scratch_store_dword off, v13, off offset:96 ; 4-byte Folded Spill
	scratch_store_dword off, v12, off offset:100 ; 4-byte Folded Spill
	scratch_store_dword off, v11, off offset:104 ; 4-byte Folded Spill
	s_load_dwordx2 s[10:11], s[0:1], 0x8c
	s_load_dwordx4 s[4:7], s[0:1], 0x98
	scratch_load_dword v9, off, off offset:40 ; 4-byte Folded Reload
	v_mul_lo_u32 v3, v1, v4
	v_sub_u32_e32 v3, s9, v3
	v_add_u32_e32 v5, 1, v1
	v_sub_u32_e32 v6, v3, v4
	v_cmp_ge_u32_e32 vcc, v3, v4
	s_waitcnt lgkmcnt(0)
	s_ashr_i32 s2, s6, 2
	s_ashr_i32 s6, s72, 31
	v_cndmask_b32_e32 v1, v1, v5, vcc
	v_cndmask_b32_e32 v3, v3, v6, vcc
	v_add_u32_e32 v5, 1, v1
	v_cmp_ge_u32_e32 vcc, v3, v4
	s_load_dwordx2 s[14:15], s[0:1], 0xa8
	s_ashr_i32 s74, s10, 2
	s_mul_hi_u32 s8, s4, s72
	s_mul_i32 s10, s4, s6
	v_xor_b32_e32 v2, s55, v2
	v_cndmask_b32_e32 v1, v1, v5, vcc
	s_add_i32 s8, s8, s10
	s_mul_i32 s5, s5, s72
	v_xor_b32_e32 v1, v1, v2
	s_ashr_i32 s73, s13, 1
	s_add_i32 s8, s8, s5
	s_mul_i32 s4, s4, s72
	v_sub_u32_e32 v1, v1, v2
	s_add_u32 s4, s50, s4
	v_mul_lo_u32 v2, v1, s11
	s_addc_u32 s5, s51, s8
	v_ashrrev_i32_e32 v3, 31, v2
	v_lshl_add_u64 v[118:119], s[4:5], 0, v[2:3]
	s_waitcnt lgkmcnt(0)
	s_mul_hi_u32 s4, s14, s72
	s_mul_i32 s5, s14, s6
	s_add_i32 s4, s4, s5
	s_mul_i32 s5, s15, s72
	s_add_i32 s5, s4, s5
	s_mul_i32 s4, s14, s72
	s_add_u32 s4, s52, s4
	v_mul_lo_u32 v2, v1, s7
	v_lshlrev_b32_e32 v8, 2, v161
	s_addc_u32 s5, s53, s5
	v_ashrrev_i32_e32 v3, 31, v2
	s_lshl_b32 s71, s3, 5
	s_sub_i32 s75, s70, 32
	v_lshl_add_u64 v[122:123], s[4:5], 0, v[2:3]
	s_cmp_ge_i32 s71, s75
	v_lshrrev_b32_e32 v1, 1, v161
	v_lshrrev_b32_e32 v3, 2, v161
	v_lshlrev_b32_e32 v4, 7, v161
	v_and_b32_e32 v12, 4, v8
	v_and_b32_e32 v6, 12, v8
	v_lshrrev_b32_e32 v10, 3, v161
	v_mov_b32_e32 v2, v8
	v_and_b32_e32 v8, 28, v8
	v_mbcnt_lo_u32_b32 v11, -1, 0
	scratch_store_dwordx2 off, v[2:3], off offset:80 ; 8-byte Folded Spill
	s_waitcnt vmcnt(1)
	v_lshl_add_u32 v5, v9, 5, v161
	scratch_store_dword off, v18, off offset:52 ; 4-byte Folded Spill
	scratch_store_dwordx2 off, v[8:9], off offset:16 ; 8-byte Folded Spill
	scratch_store_dwordx2 off, v[12:13], off offset:44 ; 8-byte Folded Spill
	scratch_store_dwordx2 off, v[6:7], off offset:60 ; 8-byte Folded Spill
	scratch_store_dword off, v5, off offset:68 ; 4-byte Folded Spill
	s_cbranch_scc1 .LBB52_66
; %bb.23:
	scratch_load_dword v7, off, off offset:36 ; 4-byte Folded Reload
	v_add_u32_e32 v2, v3, v18
	v_add_u32_e32 v3, 0x3860, v4
	v_lshl_add_u32 v1, v9, 4, v1
	scratch_store_dword off, v3, off offset:24 ; 4-byte Folded Spill
	v_lshlrev_b32_e32 v3, 2, v12
	v_add_u32_e32 v188, 0x3800, v4
	v_lshl_or_b32 v4, v1, 7, v3
	v_add_u32_e32 v191, 0x3840, v4
	v_lshlrev_b32_e32 v4, 2, v6
	v_cmp_gt_u32_e64 s[4:5], 32, v5
	v_mul_lo_u32 v124, s74, v5
	v_lshl_or_b32 v5, v2, 7, v4
	v_add_u32_e32 v192, 0x3800, v5
	v_mov_b32_e32 v14, v6
	v_cmp_gt_u32_e64 s[6:7], 32, v1
	v_mul_lo_u32 v126, s74, v1
	s_cmp_lg_u64 s[68:69], 0
	v_cmp_gt_u32_e64 s[10:11], 16, v1
	v_mul_lo_u32 v132, s2, v1
	s_movk_i32 s17, 0x3880
	v_cmp_gt_u32_e64 s[8:9], 32, v2
	s_movk_i32 s16, 0x3800
	v_mov_b32_e32 v129, 0
	v_mul_lo_u32 v130, s74, v2
	s_cselect_b64 s[50:51], -1, 0
	v_cmp_gt_u32_e64 s[12:13], 16, v2
	v_mul_lo_u32 v134, s2, v2
	s_add_u32 s52, s0, 0xd0
	v_mul_u32_u24_e32 v189, 0x700, v9
	v_ashrrev_i32_e32 v125, 31, v124
	v_ashrrev_i32_e32 v127, 31, v126
	;; [unrolled: 1-line block ×5, first 2 shown]
	s_addc_u32 s53, s1, 0
	v_mov_b32_e32 v18, 0xfeffffff
	s_mov_b32 s76, 0x3fb8aa3b
	s_mov_b32 s77, 0xc2ce8ed0
	;; [unrolled: 1-line block ×4, first 2 shown]
	v_lshlrev_b32_e32 v128, 2, v12
	v_mbcnt_hi_u32_b32 v206, -1, v11
	v_mov_b32_e32 v207, 0x7f800000
	v_mov_b32_e32 v168, v129
	;; [unrolled: 1-line block ×24, first 2 shown]
	v_lshlrev_b32_e32 v138, 2, v14
	s_waitcnt vmcnt(1)
	v_mul_hi_u32 v5, s64, v7
	v_add_u32_e32 v5, v7, v5
	v_lshrrev_b32_e32 v5, s65, v5
	v_mul_lo_u32 v5, v5, s66
	v_sub_u32_e32 v5, v7, v5
	v_mul_lo_u32 v5, v5, s73
	scratch_store_dword off, v5, off offset:28 ; 4-byte Folded Spill
	v_or_b32_e32 v5, 1, v7
	v_mul_hi_u32 v6, s64, v5
	v_add_u32_e32 v6, v5, v6
	v_lshrrev_b32_e32 v6, s65, v6
	v_mul_lo_u32 v6, v6, s66
	v_sub_u32_e32 v5, v5, v6
	v_mul_lo_u32 v5, v5, s73
	scratch_store_dword off, v5, off offset:32 ; 4-byte Folded Spill
	v_or_b32_e32 v5, 2, v7
	v_mul_hi_u32 v6, s64, v5
	v_add_u32_e32 v6, v5, v6
	v_lshrrev_b32_e32 v6, s65, v6
	v_mul_lo_u32 v6, v6, s66
	v_sub_u32_e32 v5, v5, v6
	v_mul_lo_u32 v195, v5, s73
	v_or_b32_e32 v5, 3, v7
	v_mul_hi_u32 v6, s64, v5
	v_add_u32_e32 v6, v5, v6
	v_lshrrev_b32_e32 v6, s65, v6
	v_mul_lo_u32 v6, v6, s66
	v_sub_u32_e32 v5, v5, v6
	v_mul_lo_u32 v196, v5, s73
	;; [unrolled: 7-line block ×6, first 2 shown]
	v_mov_b32_e32 v5, 0x4840
	v_lshl_add_u32 v201, v9, 9, v5
	v_lshl_add_u32 v5, v9, 2, v10
	v_mul_u32_u24_e32 v6, 0xe0, v1
	v_mul_u32_u24_e32 v1, 0xe0, v2
	v_or_b32_e32 v3, v6, v3
	v_add3_u32 v203, v1, v4, s17
	v_mul_u32_u24_e32 v1, 0xe0, v5
	v_lshlrev_b32_e32 v2, 2, v8
	v_mul_lo_u32 v136, s2, v5
	v_cmp_gt_u32_e64 s[14:15], 16, v5
	v_add_u32_e32 v202, 0x38c0, v3
	v_add3_u32 v204, v1, v2, s16
	v_ashrrev_i32_e32 v137, 31, v136
	v_add_u32_e32 v205, v201, v0
	v_mov_b32_e32 v0, v129
	v_mov_b32_e32 v1, v129
	;; [unrolled: 1-line block ×8, first 2 shown]
.LBB52_24:                              ; =>This Inner Loop Header: Depth=1
	s_mul_hi_i32 s17, s71, s74
	s_mul_i32 s16, s71, s74
	s_lshl_b64 s[16:17], s[16:17], 2
	v_lshl_add_u64 v[10:11], v[118:119], 0, s[16:17]
	v_lshl_add_u64 v[12:13], v[124:125], 2, v[10:11]
	s_and_saveexec_b64 s[16:17], s[4:5]
	s_cbranch_execnz .LBB52_60
; %bb.25:                               ;   in Loop: Header=BB52_24 Depth=1
	s_or_b64 exec, exec, s[16:17]
	v_lshl_add_u64 v[8:9], v[126:127], 2, v[10:11]
	s_and_saveexec_b64 s[16:17], s[6:7]
	s_cbranch_execnz .LBB52_61
.LBB52_26:                              ;   in Loop: Header=BB52_24 Depth=1
	s_or_b64 exec, exec, s[16:17]
	v_lshl_add_u64 v[10:11], v[130:131], 2, v[10:11]
	s_and_saveexec_b64 s[16:17], s[8:9]
	s_cbranch_execz .LBB52_28
.LBB52_27:                              ;   in Loop: Header=BB52_24 Depth=1
	v_mov_b32_e32 v139, v129
	v_lshl_add_u64 v[14:15], v[10:11], 0, v[138:139]
	global_load_dwordx4 v[14:17], v[14:15], off
	s_waitcnt vmcnt(0)
	ds_write_b128 v192, v[14:17]
.LBB52_28:                              ;   in Loop: Header=BB52_24 Depth=1
	s_or_b64 exec, exec, s[16:17]
	v_mov_b32_e32 v29, 0
	s_waitcnt lgkmcnt(0)
	s_barrier
	ds_read_b128 v[30:33], v188
	ds_read_b128 v[14:17], v189
	ds_read_b128 v[34:37], v189 offset:224
	ds_read_b128 v[38:41], v189 offset:448
	;; [unrolled: 1-line block ×7, first 2 shown]
	s_waitcnt lgkmcnt(7)
	;;#ASMSTART
	v_dot2_f32_f16 v29, v30, v14, v29
	;;#ASMEND
	v_mov_b32_e32 v28, 0
	;;#ASMSTART
	v_dot2_f32_f16 v29, v31, v15, v29
	;;#ASMEND
	v_mov_b32_e32 v27, 0
	;; [unrolled: 4-line block ×3, first 2 shown]
	;;#ASMSTART
	v_dot2_f32_f16 v29, v33, v17, v29
	;;#ASMEND
	s_waitcnt lgkmcnt(6)
	;;#ASMSTART
	v_dot2_f32_f16 v28, v30, v34, v28
	;;#ASMEND
	v_mov_b32_e32 v17, 0
	;;#ASMSTART
	v_dot2_f32_f16 v28, v31, v35, v28
	;;#ASMEND
	v_mov_b32_e32 v16, 0
	;; [unrolled: 4-line block ×3, first 2 shown]
	;;#ASMSTART
	v_dot2_f32_f16 v28, v33, v37, v28
	;;#ASMEND
	s_waitcnt lgkmcnt(5)
	;;#ASMSTART
	v_dot2_f32_f16 v27, v30, v38, v27
	;;#ASMEND
	v_mov_b32_e32 v14, 0
	;;#ASMSTART
	v_dot2_f32_f16 v27, v31, v39, v27
	;;#ASMEND
	s_nop 0
	;;#ASMSTART
	v_dot2_f32_f16 v27, v32, v40, v27
	;;#ASMEND
	s_nop 0
	;;#ASMSTART
	v_dot2_f32_f16 v27, v33, v41, v27
	;;#ASMEND
	s_waitcnt lgkmcnt(4)
	;;#ASMSTART
	v_dot2_f32_f16 v26, v30, v42, v26
	;;#ASMEND
	s_nop 0
	;;#ASMSTART
	v_dot2_f32_f16 v26, v31, v43, v26
	;;#ASMEND
	s_nop 0
	;;#ASMSTART
	v_dot2_f32_f16 v26, v32, v44, v26
	;;#ASMEND
	s_nop 0
	;;#ASMSTART
	v_dot2_f32_f16 v26, v33, v45, v26
	;;#ASMEND
	s_waitcnt lgkmcnt(3)
	;;#ASMSTART
	v_dot2_f32_f16 v17, v30, v46, v17
	;;#ASMEND
	s_nop 0
	;; [unrolled: 16-line block ×5, first 2 shown]
	;;#ASMSTART
	v_dot2_f32_f16 v14, v31, v59, v14
	;;#ASMEND
	s_nop 0
	;;#ASMSTART
	v_dot2_f32_f16 v14, v32, v60, v14
	;;#ASMEND
	s_nop 0
	;;#ASMSTART
	v_dot2_f32_f16 v14, v33, v61, v14
	;;#ASMEND
	ds_read_b128 v[30:33], v188 offset:16
	ds_read_b128 v[34:37], v189 offset:16
	;; [unrolled: 1-line block ×9, first 2 shown]
	s_waitcnt lgkmcnt(7)
	;;#ASMSTART
	v_dot2_f32_f16 v29, v30, v34, v29
	;;#ASMEND
	s_nop 0
	;;#ASMSTART
	v_dot2_f32_f16 v29, v31, v35, v29
	;;#ASMEND
	s_nop 0
	;;#ASMSTART
	v_dot2_f32_f16 v29, v32, v36, v29
	;;#ASMEND
	s_nop 0
	;;#ASMSTART
	v_dot2_f32_f16 v29, v33, v37, v29
	;;#ASMEND
	s_waitcnt lgkmcnt(6)
	;;#ASMSTART
	v_dot2_f32_f16 v28, v30, v38, v28
	;;#ASMEND
	s_nop 0
	;;#ASMSTART
	v_dot2_f32_f16 v28, v31, v39, v28
	;;#ASMEND
	s_nop 0
	;;#ASMSTART
	v_dot2_f32_f16 v28, v32, v40, v28
	;;#ASMEND
	s_nop 0
	;;#ASMSTART
	v_dot2_f32_f16 v28, v33, v41, v28
	;;#ASMEND
	;; [unrolled: 16-line block ×8, first 2 shown]
	ds_read_b128 v[30:33], v188 offset:32
	ds_read_b128 v[34:37], v189 offset:32
	;; [unrolled: 1-line block ×9, first 2 shown]
	s_waitcnt lgkmcnt(7)
	;;#ASMSTART
	v_dot2_f32_f16 v29, v30, v34, v29
	;;#ASMEND
	s_nop 0
	;;#ASMSTART
	v_dot2_f32_f16 v29, v31, v35, v29
	;;#ASMEND
	s_nop 0
	;;#ASMSTART
	v_dot2_f32_f16 v29, v32, v36, v29
	;;#ASMEND
	s_nop 0
	;;#ASMSTART
	v_dot2_f32_f16 v29, v33, v37, v29
	;;#ASMEND
	s_waitcnt lgkmcnt(6)
	;;#ASMSTART
	v_dot2_f32_f16 v28, v30, v38, v28
	;;#ASMEND
	s_nop 0
	;;#ASMSTART
	v_dot2_f32_f16 v28, v31, v39, v28
	;;#ASMEND
	s_nop 0
	;;#ASMSTART
	v_dot2_f32_f16 v28, v32, v40, v28
	;;#ASMEND
	s_nop 0
	;;#ASMSTART
	v_dot2_f32_f16 v28, v33, v41, v28
	;;#ASMEND
	;; [unrolled: 16-line block ×8, first 2 shown]
	ds_read_b128 v[30:33], v188 offset:48
	ds_read_b128 v[34:37], v189 offset:48
	ds_read_b128 v[38:41], v189 offset:272
	ds_read_b128 v[42:45], v189 offset:496
	ds_read_b128 v[46:49], v189 offset:720
	ds_read_b128 v[50:53], v189 offset:944
	ds_read_b128 v[54:57], v189 offset:1168
	ds_read_b128 v[58:61], v189 offset:1392
	ds_read_b128 v[62:65], v189 offset:1616
	s_waitcnt lgkmcnt(7)
	;;#ASMSTART
	v_dot2_f32_f16 v29, v30, v34, v29
	;;#ASMEND
	s_nop 0
	;;#ASMSTART
	v_dot2_f32_f16 v29, v31, v35, v29
	;;#ASMEND
	s_nop 0
	;;#ASMSTART
	v_dot2_f32_f16 v29, v32, v36, v29
	;;#ASMEND
	s_nop 0
	;;#ASMSTART
	v_dot2_f32_f16 v29, v33, v37, v29
	;;#ASMEND
	s_waitcnt lgkmcnt(6)
	;;#ASMSTART
	v_dot2_f32_f16 v28, v30, v38, v28
	;;#ASMEND
	s_nop 0
	;;#ASMSTART
	v_dot2_f32_f16 v28, v31, v39, v28
	;;#ASMEND
	s_nop 0
	;;#ASMSTART
	v_dot2_f32_f16 v28, v32, v40, v28
	;;#ASMEND
	s_nop 0
	;;#ASMSTART
	v_dot2_f32_f16 v28, v33, v41, v28
	;;#ASMEND
	;; [unrolled: 16-line block ×8, first 2 shown]
	ds_read_b128 v[30:33], v188 offset:64
	ds_read_b128 v[34:37], v189 offset:64
	;; [unrolled: 1-line block ×9, first 2 shown]
	s_waitcnt lgkmcnt(7)
	;;#ASMSTART
	v_dot2_f32_f16 v29, v30, v34, v29
	;;#ASMEND
	s_nop 0
	;;#ASMSTART
	v_dot2_f32_f16 v29, v31, v35, v29
	;;#ASMEND
	s_nop 0
	;;#ASMSTART
	v_dot2_f32_f16 v29, v32, v36, v29
	;;#ASMEND
	s_nop 0
	;;#ASMSTART
	v_dot2_f32_f16 v29, v33, v37, v29
	;;#ASMEND
	s_waitcnt lgkmcnt(6)
	;;#ASMSTART
	v_dot2_f32_f16 v28, v30, v38, v28
	;;#ASMEND
	s_nop 0
	;;#ASMSTART
	v_dot2_f32_f16 v28, v31, v39, v28
	;;#ASMEND
	s_nop 0
	;;#ASMSTART
	v_dot2_f32_f16 v28, v32, v40, v28
	;;#ASMEND
	s_nop 0
	;;#ASMSTART
	v_dot2_f32_f16 v28, v33, v41, v28
	;;#ASMEND
	;; [unrolled: 16-line block ×8, first 2 shown]
	ds_read_b128 v[30:33], v188 offset:80
	ds_read_b128 v[34:37], v189 offset:80
	;; [unrolled: 1-line block ×9, first 2 shown]
	s_waitcnt lgkmcnt(7)
	;;#ASMSTART
	v_dot2_f32_f16 v29, v30, v34, v29
	;;#ASMEND
	s_nop 0
	;;#ASMSTART
	v_dot2_f32_f16 v29, v31, v35, v29
	;;#ASMEND
	s_nop 0
	;;#ASMSTART
	v_dot2_f32_f16 v29, v32, v36, v29
	;;#ASMEND
	s_nop 0
	;;#ASMSTART
	v_dot2_f32_f16 v29, v33, v37, v29
	;;#ASMEND
	s_waitcnt lgkmcnt(6)
	;;#ASMSTART
	v_dot2_f32_f16 v28, v30, v38, v28
	;;#ASMEND
	s_nop 0
	;;#ASMSTART
	v_dot2_f32_f16 v28, v31, v39, v28
	;;#ASMEND
	s_nop 0
	;;#ASMSTART
	v_dot2_f32_f16 v28, v32, v40, v28
	;;#ASMEND
	s_nop 0
	;;#ASMSTART
	v_dot2_f32_f16 v28, v33, v41, v28
	;;#ASMEND
	;; [unrolled: 16-line block ×8, first 2 shown]
	ds_read_b128 v[30:33], v188 offset:96
	ds_read_b128 v[34:37], v189 offset:96
	;; [unrolled: 1-line block ×9, first 2 shown]
	s_waitcnt lgkmcnt(7)
	;;#ASMSTART
	v_dot2_f32_f16 v29, v30, v34, v29
	;;#ASMEND
	s_nop 0
	;;#ASMSTART
	v_dot2_f32_f16 v29, v31, v35, v29
	;;#ASMEND
	s_nop 0
	;;#ASMSTART
	v_dot2_f32_f16 v29, v32, v36, v29
	;;#ASMEND
	s_nop 0
	;;#ASMSTART
	v_dot2_f32_f16 v29, v33, v37, v29
	;;#ASMEND
	s_waitcnt lgkmcnt(6)
	;;#ASMSTART
	v_dot2_f32_f16 v28, v30, v38, v28
	;;#ASMEND
	s_nop 0
	;;#ASMSTART
	v_dot2_f32_f16 v28, v31, v39, v28
	;;#ASMEND
	s_nop 0
	;;#ASMSTART
	v_dot2_f32_f16 v28, v32, v40, v28
	;;#ASMEND
	s_nop 0
	;;#ASMSTART
	v_dot2_f32_f16 v28, v33, v41, v28
	;;#ASMEND
	;; [unrolled: 16-line block ×8, first 2 shown]
	s_barrier
	s_and_saveexec_b64 s[16:17], s[4:5]
	s_cbranch_execnz .LBB52_62
; %bb.29:                               ;   in Loop: Header=BB52_24 Depth=1
	s_or_b64 exec, exec, s[16:17]
	s_and_saveexec_b64 s[16:17], s[6:7]
	s_cbranch_execnz .LBB52_63
.LBB52_30:                              ;   in Loop: Header=BB52_24 Depth=1
	s_or_b64 exec, exec, s[16:17]
	s_and_saveexec_b64 s[16:17], s[8:9]
	s_cbranch_execz .LBB52_32
.LBB52_31:                              ;   in Loop: Header=BB52_24 Depth=1
	v_mov_b32_e32 v139, v129
	v_lshl_add_u64 v[8:9], v[10:11], 0, v[138:139]
	global_load_dwordx4 v[8:11], v[8:9], off offset:112
	s_waitcnt vmcnt(0)
	ds_write_b128 v192, v[8:11]
.LBB52_32:                              ;   in Loop: Header=BB52_24 Depth=1
	s_or_b64 exec, exec, s[16:17]
	s_waitcnt lgkmcnt(0)
	s_barrier
	ds_read_b128 v[8:11], v188
	ds_read_b128 v[30:33], v189 offset:112
	ds_read_b128 v[34:37], v189 offset:336
	;; [unrolled: 1-line block ×8, first 2 shown]
	s_waitcnt lgkmcnt(7)
	;;#ASMSTART
	v_dot2_f32_f16 v29, v8, v30, v29
	;;#ASMEND
	v_mov_b32_e32 v12, 0
	;;#ASMSTART
	v_dot2_f32_f16 v29, v9, v31, v29
	;;#ASMEND
	s_andn2_b64 vcc, exec, s[50:51]
	;;#ASMSTART
	v_dot2_f32_f16 v29, v10, v32, v29
	;;#ASMEND
	s_nop 0
	;;#ASMSTART
	v_dot2_f32_f16 v29, v11, v33, v29
	;;#ASMEND
	s_waitcnt lgkmcnt(6)
	;;#ASMSTART
	v_dot2_f32_f16 v28, v8, v34, v28
	;;#ASMEND
	s_nop 0
	;;#ASMSTART
	v_dot2_f32_f16 v28, v9, v35, v28
	;;#ASMEND
	s_nop 0
	;;#ASMSTART
	v_dot2_f32_f16 v28, v10, v36, v28
	;;#ASMEND
	s_nop 0
	;;#ASMSTART
	v_dot2_f32_f16 v28, v11, v37, v28
	;;#ASMEND
	s_waitcnt lgkmcnt(5)
	;;#ASMSTART
	v_dot2_f32_f16 v27, v8, v38, v27
	;;#ASMEND
	s_nop 0
	;;#ASMSTART
	v_dot2_f32_f16 v27, v9, v39, v27
	;;#ASMEND
	s_nop 0
	;;#ASMSTART
	v_dot2_f32_f16 v27, v10, v40, v27
	;;#ASMEND
	s_nop 0
	;;#ASMSTART
	v_dot2_f32_f16 v27, v11, v41, v27
	;;#ASMEND
	s_waitcnt lgkmcnt(4)
	;;#ASMSTART
	v_dot2_f32_f16 v26, v8, v42, v26
	;;#ASMEND
	s_nop 0
	;;#ASMSTART
	v_dot2_f32_f16 v26, v9, v43, v26
	;;#ASMEND
	s_nop 0
	;;#ASMSTART
	v_dot2_f32_f16 v26, v10, v44, v26
	;;#ASMEND
	s_nop 0
	;;#ASMSTART
	v_dot2_f32_f16 v26, v11, v45, v26
	;;#ASMEND
	s_waitcnt lgkmcnt(3)
	;;#ASMSTART
	v_dot2_f32_f16 v17, v8, v46, v17
	;;#ASMEND
	s_nop 0
	;;#ASMSTART
	v_dot2_f32_f16 v17, v9, v47, v17
	;;#ASMEND
	s_nop 0
	;;#ASMSTART
	v_dot2_f32_f16 v17, v10, v48, v17
	;;#ASMEND
	s_nop 0
	;;#ASMSTART
	v_dot2_f32_f16 v17, v11, v49, v17
	;;#ASMEND
	s_waitcnt lgkmcnt(2)
	;;#ASMSTART
	v_dot2_f32_f16 v16, v8, v50, v16
	;;#ASMEND
	s_nop 0
	;;#ASMSTART
	v_dot2_f32_f16 v16, v9, v51, v16
	;;#ASMEND
	s_nop 0
	;;#ASMSTART
	v_dot2_f32_f16 v16, v10, v52, v16
	;;#ASMEND
	s_nop 0
	;;#ASMSTART
	v_dot2_f32_f16 v16, v11, v53, v16
	;;#ASMEND
	s_waitcnt lgkmcnt(1)
	;;#ASMSTART
	v_dot2_f32_f16 v15, v8, v54, v15
	;;#ASMEND
	s_nop 0
	;;#ASMSTART
	v_dot2_f32_f16 v15, v9, v55, v15
	;;#ASMEND
	s_nop 0
	;;#ASMSTART
	v_dot2_f32_f16 v15, v10, v56, v15
	;;#ASMEND
	s_nop 0
	;;#ASMSTART
	v_dot2_f32_f16 v15, v11, v57, v15
	;;#ASMEND
	s_waitcnt lgkmcnt(0)
	;;#ASMSTART
	v_dot2_f32_f16 v14, v8, v58, v14
	;;#ASMEND
	s_nop 0
	;;#ASMSTART
	v_dot2_f32_f16 v14, v9, v59, v14
	;;#ASMEND
	s_nop 0
	;;#ASMSTART
	v_dot2_f32_f16 v14, v10, v60, v14
	;;#ASMEND
	s_nop 0
	;;#ASMSTART
	v_dot2_f32_f16 v14, v11, v61, v14
	;;#ASMEND
	ds_read_b128 v[8:11], v188 offset:16
	ds_read_b128 v[30:33], v189 offset:128
	;; [unrolled: 1-line block ×9, first 2 shown]
	s_waitcnt lgkmcnt(7)
	;;#ASMSTART
	v_dot2_f32_f16 v29, v8, v30, v29
	;;#ASMEND
	s_nop 0
	;;#ASMSTART
	v_dot2_f32_f16 v29, v9, v31, v29
	;;#ASMEND
	s_nop 0
	;;#ASMSTART
	v_dot2_f32_f16 v29, v10, v32, v29
	;;#ASMEND
	s_nop 0
	;;#ASMSTART
	v_dot2_f32_f16 v29, v11, v33, v29
	;;#ASMEND
	s_waitcnt lgkmcnt(6)
	;;#ASMSTART
	v_dot2_f32_f16 v28, v8, v34, v28
	;;#ASMEND
	s_nop 0
	;;#ASMSTART
	v_dot2_f32_f16 v28, v9, v35, v28
	;;#ASMEND
	s_nop 0
	;;#ASMSTART
	v_dot2_f32_f16 v28, v10, v36, v28
	;;#ASMEND
	s_nop 0
	;;#ASMSTART
	v_dot2_f32_f16 v28, v11, v37, v28
	;;#ASMEND
	;; [unrolled: 16-line block ×8, first 2 shown]
	ds_read_b128 v[8:11], v188 offset:32
	ds_read_b128 v[30:33], v189 offset:144
	ds_read_b128 v[34:37], v189 offset:368
	ds_read_b128 v[38:41], v189 offset:592
	ds_read_b128 v[42:45], v189 offset:816
	ds_read_b128 v[46:49], v189 offset:1040
	ds_read_b128 v[50:53], v189 offset:1264
	ds_read_b128 v[54:57], v189 offset:1488
	ds_read_b128 v[58:61], v189 offset:1712
	s_waitcnt lgkmcnt(7)
	;;#ASMSTART
	v_dot2_f32_f16 v29, v8, v30, v29
	;;#ASMEND
	s_nop 0
	;;#ASMSTART
	v_dot2_f32_f16 v29, v9, v31, v29
	;;#ASMEND
	s_nop 0
	;;#ASMSTART
	v_dot2_f32_f16 v29, v10, v32, v29
	;;#ASMEND
	s_nop 0
	;;#ASMSTART
	v_dot2_f32_f16 v29, v11, v33, v29
	;;#ASMEND
	s_waitcnt lgkmcnt(6)
	;;#ASMSTART
	v_dot2_f32_f16 v28, v8, v34, v28
	;;#ASMEND
	s_nop 0
	;;#ASMSTART
	v_dot2_f32_f16 v28, v9, v35, v28
	;;#ASMEND
	s_nop 0
	;;#ASMSTART
	v_dot2_f32_f16 v28, v10, v36, v28
	;;#ASMEND
	s_nop 0
	;;#ASMSTART
	v_dot2_f32_f16 v28, v11, v37, v28
	;;#ASMEND
	;; [unrolled: 16-line block ×8, first 2 shown]
	ds_read_b128 v[8:11], v188 offset:48
	ds_read_b128 v[30:33], v189 offset:160
	ds_read_b128 v[34:37], v189 offset:384
	ds_read_b128 v[38:41], v189 offset:608
	ds_read_b128 v[42:45], v189 offset:832
	ds_read_b128 v[46:49], v189 offset:1056
	ds_read_b128 v[50:53], v189 offset:1280
	ds_read_b128 v[54:57], v189 offset:1504
	ds_read_b128 v[58:61], v189 offset:1728
	s_waitcnt lgkmcnt(7)
	;;#ASMSTART
	v_dot2_f32_f16 v29, v8, v30, v29
	;;#ASMEND
	s_nop 0
	;;#ASMSTART
	v_dot2_f32_f16 v29, v9, v31, v29
	;;#ASMEND
	s_nop 0
	;;#ASMSTART
	v_dot2_f32_f16 v29, v10, v32, v29
	;;#ASMEND
	s_nop 0
	;;#ASMSTART
	v_dot2_f32_f16 v29, v11, v33, v29
	;;#ASMEND
	s_waitcnt lgkmcnt(6)
	;;#ASMSTART
	v_dot2_f32_f16 v28, v8, v34, v28
	;;#ASMEND
	s_nop 0
	;;#ASMSTART
	v_dot2_f32_f16 v28, v9, v35, v28
	;;#ASMEND
	s_nop 0
	;;#ASMSTART
	v_dot2_f32_f16 v28, v10, v36, v28
	;;#ASMEND
	s_nop 0
	;;#ASMSTART
	v_dot2_f32_f16 v28, v11, v37, v28
	;;#ASMEND
	;; [unrolled: 16-line block ×8, first 2 shown]
	ds_read_b128 v[8:11], v188 offset:64
	ds_read_b128 v[30:33], v189 offset:176
	;; [unrolled: 1-line block ×9, first 2 shown]
	s_waitcnt lgkmcnt(7)
	;;#ASMSTART
	v_dot2_f32_f16 v29, v8, v30, v29
	;;#ASMEND
	s_nop 0
	;;#ASMSTART
	v_dot2_f32_f16 v29, v9, v31, v29
	;;#ASMEND
	s_nop 0
	;;#ASMSTART
	v_dot2_f32_f16 v29, v10, v32, v29
	;;#ASMEND
	s_nop 0
	;;#ASMSTART
	v_dot2_f32_f16 v29, v11, v33, v29
	;;#ASMEND
	s_waitcnt lgkmcnt(6)
	;;#ASMSTART
	v_dot2_f32_f16 v28, v8, v34, v28
	;;#ASMEND
	s_nop 0
	;;#ASMSTART
	v_dot2_f32_f16 v28, v9, v35, v28
	;;#ASMEND
	s_nop 0
	;;#ASMSTART
	v_dot2_f32_f16 v28, v10, v36, v28
	;;#ASMEND
	s_nop 0
	;;#ASMSTART
	v_dot2_f32_f16 v28, v11, v37, v28
	;;#ASMEND
	;; [unrolled: 16-line block ×8, first 2 shown]
	ds_read_b128 v[8:11], v188 offset:80
	ds_read_b128 v[30:33], v189 offset:192
	;; [unrolled: 1-line block ×9, first 2 shown]
	s_waitcnt lgkmcnt(7)
	;;#ASMSTART
	v_dot2_f32_f16 v29, v8, v30, v29
	;;#ASMEND
	s_nop 0
	;;#ASMSTART
	v_dot2_f32_f16 v29, v9, v31, v29
	;;#ASMEND
	s_nop 0
	;;#ASMSTART
	v_dot2_f32_f16 v29, v10, v32, v29
	;;#ASMEND
	s_nop 0
	;;#ASMSTART
	v_dot2_f32_f16 v29, v11, v33, v29
	;;#ASMEND
	s_waitcnt lgkmcnt(6)
	;;#ASMSTART
	v_dot2_f32_f16 v28, v8, v34, v28
	;;#ASMEND
	s_nop 0
	;;#ASMSTART
	v_dot2_f32_f16 v28, v9, v35, v28
	;;#ASMEND
	s_nop 0
	;;#ASMSTART
	v_dot2_f32_f16 v28, v10, v36, v28
	;;#ASMEND
	s_nop 0
	;;#ASMSTART
	v_dot2_f32_f16 v28, v11, v37, v28
	;;#ASMEND
	;; [unrolled: 16-line block ×8, first 2 shown]
	ds_read_b128 v[8:11], v188 offset:96
	ds_read_b128 v[30:33], v189 offset:208
	ds_read_b128 v[34:37], v189 offset:432
	ds_read_b128 v[38:41], v189 offset:656
	ds_read_b128 v[42:45], v189 offset:880
	ds_read_b128 v[46:49], v189 offset:1104
	ds_read_b128 v[50:53], v189 offset:1328
	ds_read_b128 v[54:57], v189 offset:1552
	ds_read_b128 v[58:61], v189 offset:1776
	s_waitcnt lgkmcnt(7)
	;;#ASMSTART
	v_dot2_f32_f16 v29, v8, v30, v29
	;;#ASMEND
	s_nop 0
	;;#ASMSTART
	v_dot2_f32_f16 v29, v9, v31, v29
	;;#ASMEND
	s_nop 0
	;;#ASMSTART
	v_dot2_f32_f16 v29, v10, v32, v29
	;;#ASMEND
	s_nop 0
	;;#ASMSTART
	v_dot2_f32_f16 v29, v11, v33, v29
	;;#ASMEND
	s_waitcnt lgkmcnt(6)
	;;#ASMSTART
	v_dot2_f32_f16 v28, v8, v34, v28
	;;#ASMEND
	s_nop 0
	;;#ASMSTART
	v_dot2_f32_f16 v28, v9, v35, v28
	;;#ASMEND
	s_nop 0
	;;#ASMSTART
	v_dot2_f32_f16 v28, v10, v36, v28
	;;#ASMEND
	s_nop 0
	;;#ASMSTART
	v_dot2_f32_f16 v28, v11, v37, v28
	;;#ASMEND
	;; [unrolled: 16-line block ×7, first 2 shown]
	s_waitcnt lgkmcnt(0)
	;;#ASMSTART
	v_dot2_f32_f16 v14, v8, v58, v14
	;;#ASMEND
	v_cndmask_b32_e64 v8, 0, 1, s[50:51]
	;;#ASMSTART
	v_dot2_f32_f16 v14, v9, v59, v14
	;;#ASMEND
	v_add_u32_e32 v9, s71, v161
	;;#ASMSTART
	v_dot2_f32_f16 v14, v10, v60, v14
	;;#ASMEND
	v_cmp_ne_u32_e64 s[16:17], 1, v8
	v_mov_b32_e32 v10, 0
	;;#ASMSTART
	v_dot2_f32_f16 v14, v11, v61, v14
	;;#ASMEND
	s_cbranch_vccnz .LBB52_34
; %bb.33:                               ;   in Loop: Header=BB52_24 Depth=1
	scratch_load_dword v8, off, off offset:28 ; 4-byte Folded Reload
	s_waitcnt vmcnt(0)
	v_add_u32_e32 v10, v9, v8
	v_ashrrev_i32_e32 v11, 31, v10
	v_lshl_add_u64 v[10:11], v[10:11], 1, s[68:69]
	global_load_ushort v8, v[10:11], off
	s_waitcnt vmcnt(0)
	v_cvt_f32_f16_e32 v8, v8
	v_mul_f32_e32 v10, v115, v8
.LBB52_34:                              ;   in Loop: Header=BB52_24 Depth=1
	v_and_b32_e32 v8, 0x60, v206
	v_add_u32_e32 v13, 32, v8
	v_xor_b32_e32 v8, 16, v206
	v_cmp_lt_i32_e32 vcc, v8, v13
	v_add_f32_e32 v29, v29, v10
	v_add_f32_e32 v10, 0x40051340, v29
	v_cndmask_b32_e32 v8, v206, v8, vcc
	v_max_f32_e32 v11, v18, v18
	v_lshlrev_b32_e32 v8, 2, v8
	v_max_f32_e32 v11, v11, v10
	ds_bpermute_b32 v30, v8, v11
	v_xor_b32_e32 v10, 8, v206
	v_cmp_lt_i32_e32 vcc, v10, v13
	s_waitcnt lgkmcnt(0)
	v_max_f32_e32 v30, v30, v30
	v_cndmask_b32_e32 v10, v206, v10, vcc
	v_lshlrev_b32_e32 v10, 2, v10
	v_max_f32_e32 v30, v11, v30
	ds_bpermute_b32 v31, v10, v30
	v_xor_b32_e32 v11, 4, v206
	v_cmp_lt_i32_e32 vcc, v11, v13
	s_waitcnt lgkmcnt(0)
	v_max_f32_e32 v31, v31, v31
	v_cndmask_b32_e32 v11, v206, v11, vcc
	;; [unrolled: 8-line block ×3, first 2 shown]
	v_lshlrev_b32_e32 v31, 2, v31
	v_max_f32_e32 v30, v30, v32
	ds_bpermute_b32 v33, v31, v30
	v_xor_b32_e32 v32, 1, v206
	v_cmp_lt_i32_e32 vcc, v32, v13
	s_nop 1
	v_cndmask_b32_e32 v13, v206, v32, vcc
	v_lshlrev_b32_e32 v32, 2, v13
	s_waitcnt lgkmcnt(0)
	v_max_f32_e32 v13, v33, v33
	v_max_f32_e32 v30, v30, v13
	ds_bpermute_b32 v33, v32, v30
	s_and_b64 vcc, exec, s[16:17]
	s_cbranch_vccnz .LBB52_36
; %bb.35:                               ;   in Loop: Header=BB52_24 Depth=1
	scratch_load_dword v12, off, off offset:32 ; 4-byte Folded Reload
	s_waitcnt vmcnt(0)
	v_add_u32_e32 v12, v9, v12
	v_ashrrev_i32_e32 v13, 31, v12
	v_lshl_add_u64 v[12:13], v[12:13], 1, s[68:69]
	global_load_ushort v12, v[12:13], off
	s_waitcnt vmcnt(0)
	v_cvt_f32_f16_e32 v12, v12
	v_mul_f32_e32 v12, v115, v12
.LBB52_36:                              ;   in Loop: Header=BB52_24 Depth=1
	v_add_f32_e32 v28, v28, v12
	v_add_f32_e32 v12, 0x40051340, v28
	v_max_f32_e32 v13, v25, v25
	v_max_f32_e32 v12, v13, v12
	ds_bpermute_b32 v13, v8, v12
	s_and_b64 vcc, exec, s[16:17]
	s_waitcnt lgkmcnt(0)
	v_max_f32_e32 v13, v13, v13
	v_max_f32_e32 v12, v12, v13
	ds_bpermute_b32 v13, v10, v12
	s_waitcnt lgkmcnt(0)
	v_max_f32_e32 v13, v13, v13
	v_max_f32_e32 v12, v12, v13
	ds_bpermute_b32 v13, v11, v12
	;; [unrolled: 4-line block ×4, first 2 shown]
	v_mov_b32_e32 v12, 0
	v_mov_b32_e32 v13, 0
	s_cbranch_vccnz .LBB52_38
; %bb.37:                               ;   in Loop: Header=BB52_24 Depth=1
	v_add_u32_e32 v36, v9, v195
	v_ashrrev_i32_e32 v37, 31, v36
	v_lshl_add_u64 v[36:37], v[36:37], 1, s[68:69]
	global_load_ushort v13, v[36:37], off
	s_waitcnt vmcnt(0)
	v_cvt_f32_f16_e32 v13, v13
	v_mul_f32_e32 v13, v115, v13
.LBB52_38:                              ;   in Loop: Header=BB52_24 Depth=1
	v_add_f32_e32 v27, v27, v13
	v_add_f32_e32 v13, 0x40051340, v27
	v_max_f32_e32 v36, v24, v24
	v_max_f32_e32 v13, v36, v13
	ds_bpermute_b32 v36, v8, v13
	s_and_b64 vcc, exec, s[16:17]
	s_waitcnt lgkmcnt(0)
	v_max_f32_e32 v36, v36, v36
	v_max_f32_e32 v13, v13, v36
	ds_bpermute_b32 v36, v10, v13
	s_waitcnt lgkmcnt(0)
	v_max_f32_e32 v36, v36, v36
	v_max_f32_e32 v13, v13, v36
	ds_bpermute_b32 v36, v11, v13
	;; [unrolled: 4-line block ×4, first 2 shown]
	s_cbranch_vccnz .LBB52_40
; %bb.39:                               ;   in Loop: Header=BB52_24 Depth=1
	v_add_u32_e32 v12, v9, v196
	v_ashrrev_i32_e32 v13, 31, v12
	v_lshl_add_u64 v[12:13], v[12:13], 1, s[68:69]
	global_load_ushort v12, v[12:13], off
	s_waitcnt vmcnt(0)
	v_cvt_f32_f16_e32 v12, v12
	v_mul_f32_e32 v12, v115, v12
.LBB52_40:                              ;   in Loop: Header=BB52_24 Depth=1
	v_add_f32_e32 v26, v26, v12
	v_add_f32_e32 v12, 0x40051340, v26
	v_max_f32_e32 v13, v23, v23
	v_max_f32_e32 v12, v13, v12
	ds_bpermute_b32 v13, v8, v12
	s_and_b64 vcc, exec, s[16:17]
	s_waitcnt lgkmcnt(0)
	v_max_f32_e32 v13, v13, v13
	v_max_f32_e32 v12, v12, v13
	ds_bpermute_b32 v13, v10, v12
	s_waitcnt lgkmcnt(0)
	v_max_f32_e32 v13, v13, v13
	v_max_f32_e32 v12, v12, v13
	ds_bpermute_b32 v13, v11, v12
	;; [unrolled: 4-line block ×4, first 2 shown]
	v_mov_b32_e32 v13, 0
	v_mov_b32_e32 v12, 0
	s_cbranch_vccnz .LBB52_42
; %bb.41:                               ;   in Loop: Header=BB52_24 Depth=1
	v_add_u32_e32 v42, v9, v197
	v_ashrrev_i32_e32 v43, 31, v42
	v_lshl_add_u64 v[42:43], v[42:43], 1, s[68:69]
	global_load_ushort v12, v[42:43], off
	s_waitcnt vmcnt(0)
	v_cvt_f32_f16_e32 v12, v12
	v_mul_f32_e32 v12, v115, v12
.LBB52_42:                              ;   in Loop: Header=BB52_24 Depth=1
	v_add_f32_e32 v17, v17, v12
	v_add_f32_e32 v12, 0x40051340, v17
	v_max_f32_e32 v36, v22, v22
	v_max_f32_e32 v12, v36, v12
	ds_bpermute_b32 v36, v8, v12
	s_and_b64 vcc, exec, s[16:17]
	s_waitcnt lgkmcnt(0)
	v_max_f32_e32 v36, v36, v36
	v_max_f32_e32 v12, v12, v36
	ds_bpermute_b32 v36, v10, v12
	s_waitcnt lgkmcnt(0)
	v_max_f32_e32 v36, v36, v36
	v_max_f32_e32 v12, v12, v36
	ds_bpermute_b32 v36, v11, v12
	s_waitcnt lgkmcnt(0)
	v_max_f32_e32 v36, v36, v36
	v_max_f32_e32 v12, v12, v36
	ds_bpermute_b32 v36, v31, v12
	s_waitcnt lgkmcnt(0)
	v_max_f32_e32 v36, v36, v36
	v_max_f32_e32 v12, v12, v36
	ds_bpermute_b32 v41, v32, v12
	s_cbranch_vccnz .LBB52_44
; %bb.43:                               ;   in Loop: Header=BB52_24 Depth=1
	v_add_u32_e32 v42, v9, v198
	v_ashrrev_i32_e32 v43, 31, v42
	v_lshl_add_u64 v[42:43], v[42:43], 1, s[68:69]
	global_load_ushort v13, v[42:43], off
	s_waitcnt vmcnt(0)
	v_cvt_f32_f16_e32 v13, v13
	v_mul_f32_e32 v13, v115, v13
.LBB52_44:                              ;   in Loop: Header=BB52_24 Depth=1
	v_add_f32_e32 v16, v16, v13
	v_add_f32_e32 v13, 0x40051340, v16
	v_max_f32_e32 v36, v21, v21
	v_max_f32_e32 v13, v36, v13
	ds_bpermute_b32 v36, v8, v13
	v_mov_b32_e32 v43, 0
	s_and_b64 vcc, exec, s[16:17]
	s_waitcnt lgkmcnt(0)
	v_max_f32_e32 v36, v36, v36
	v_max_f32_e32 v13, v13, v36
	ds_bpermute_b32 v36, v10, v13
	s_waitcnt lgkmcnt(0)
	v_max_f32_e32 v36, v36, v36
	v_max_f32_e32 v13, v13, v36
	ds_bpermute_b32 v36, v11, v13
	;; [unrolled: 4-line block ×4, first 2 shown]
	v_mov_b32_e32 v36, 0
	s_cbranch_vccnz .LBB52_46
; %bb.45:                               ;   in Loop: Header=BB52_24 Depth=1
	v_add_u32_e32 v44, v9, v199
	v_ashrrev_i32_e32 v45, 31, v44
	v_lshl_add_u64 v[44:45], v[44:45], 1, s[68:69]
	global_load_ushort v36, v[44:45], off
	s_waitcnt vmcnt(0)
	v_cvt_f32_f16_e32 v36, v36
	v_mul_f32_e32 v36, v115, v36
.LBB52_46:                              ;   in Loop: Header=BB52_24 Depth=1
	v_add_f32_e32 v36, v15, v36
	v_add_f32_e32 v15, 0x40051340, v36
	v_max_f32_e32 v44, v20, v20
	v_max_f32_e32 v15, v44, v15
	ds_bpermute_b32 v44, v8, v15
	s_and_b64 vcc, exec, s[16:17]
	s_waitcnt lgkmcnt(0)
	v_max_f32_e32 v44, v44, v44
	v_max_f32_e32 v15, v15, v44
	ds_bpermute_b32 v44, v10, v15
	s_waitcnt lgkmcnt(0)
	v_max_f32_e32 v44, v44, v44
	v_max_f32_e32 v15, v15, v44
	ds_bpermute_b32 v44, v11, v15
	s_waitcnt lgkmcnt(0)
	v_max_f32_e32 v44, v44, v44
	v_max_f32_e32 v15, v15, v44
	ds_bpermute_b32 v44, v31, v15
	s_waitcnt lgkmcnt(0)
	v_max_f32_e32 v44, v44, v44
	v_max_f32_e32 v15, v15, v44
	ds_bpermute_b32 v44, v32, v15
	s_cbranch_vccnz .LBB52_48
; %bb.47:                               ;   in Loop: Header=BB52_24 Depth=1
	v_add_u32_e32 v46, v9, v200
	v_ashrrev_i32_e32 v47, 31, v46
	v_lshl_add_u64 v[46:47], v[46:47], 1, s[68:69]
	global_load_ushort v9, v[46:47], off
	s_waitcnt vmcnt(0)
	v_cvt_f32_f16_e32 v9, v9
	v_mul_f32_e32 v43, v115, v9
.LBB52_48:                              ;   in Loop: Header=BB52_24 Depth=1
	v_add_f32_e32 v43, v14, v43
	s_waitcnt lgkmcnt(0)
	v_max_f32_e32 v9, v44, v44
	v_add_f32_e32 v14, 0x40051340, v43
	v_max_f32_e32 v44, v19, v19
	v_max_f32_e32 v44, v44, v14
	ds_bpermute_b32 v8, v8, v44
	v_max_f32_e32 v14, v15, v15
	v_max_f32_e32 v14, v14, v9
	v_max_f32_e32 v9, v42, v42
	v_max_f32_e32 v13, v13, v13
	s_waitcnt lgkmcnt(0)
	v_max_f32_e32 v8, v8, v8
	v_max_f32_e32 v8, v44, v8
	ds_bpermute_b32 v10, v10, v8
	v_max_f32_e32 v13, v13, v9
	v_max_f32_e32 v9, v41, v41
	v_max_f32_e32 v12, v12, v12
	v_max_f32_e32 v12, v12, v9
	s_waitcnt lgkmcnt(0)
	;; [unrolled: 8-line block ×4, first 2 shown]
	v_max_f32_e32 v9, v9, v9
	v_max_f32_e32 v34, v8, v9
	ds_bpermute_b32 v32, v32, v34
	v_max_f32_e32 v9, v31, v15
	v_max_f32_e32 v8, v33, v33
	;; [unrolled: 1-line block ×4, first 2 shown]
	v_sub_f32_e32 v29, v29, v8
	v_mul_f32_e32 v30, 0x3fb8aa3b, v29
	s_waitcnt lgkmcnt(0)
	v_max_f32_e32 v15, v32, v32
	v_fma_f32 v31, v29, s76, -v30
	v_rndne_f32_e32 v32, v30
	v_fmac_f32_e32 v31, 0x32a5705f, v29
	v_sub_f32_e32 v30, v30, v32
	v_add_f32_e32 v30, v30, v31
	v_exp_f32_e32 v30, v30
	v_cvt_i32_f32_e32 v31, v32
	v_sub_f32_e32 v28, v28, v9
	v_cmp_ngt_f32_e32 vcc, s77, v29
	v_sub_f32_e32 v27, v27, v10
	v_ldexp_f32 v30, v30, v31
	v_mul_f32_e32 v31, 0x3fb8aa3b, v28
	v_fma_f32 v32, v28, s76, -v31
	v_rndne_f32_e32 v33, v31
	v_fmac_f32_e32 v32, 0x32a5705f, v28
	v_sub_f32_e32 v31, v31, v33
	v_add_f32_e32 v31, v31, v32
	v_exp_f32_e32 v31, v31
	v_cvt_i32_f32_e32 v32, v33
	v_cndmask_b32_e32 v30, 0, v30, vcc
	v_cmp_nlt_f32_e32 vcc, s78, v29
	v_sub_f32_e32 v26, v26, v11
	v_ldexp_f32 v29, v31, v32
	v_cndmask_b32_e32 v140, v207, v30, vcc
	v_mul_f32_e32 v30, 0x3fb8aa3b, v27
	v_fma_f32 v31, v27, s76, -v30
	v_rndne_f32_e32 v32, v30
	v_fmac_f32_e32 v31, 0x32a5705f, v27
	v_sub_f32_e32 v30, v30, v32
	v_add_f32_e32 v30, v30, v31
	v_exp_f32_e32 v30, v30
	v_cvt_i32_f32_e32 v31, v32
	v_cmp_ngt_f32_e32 vcc, s77, v28
	v_sub_f32_e32 v17, v17, v12
	v_sub_f32_e32 v16, v16, v13
	v_cndmask_b32_e32 v29, 0, v29, vcc
	v_cmp_nlt_f32_e32 vcc, s78, v28
	v_ldexp_f32 v28, v30, v31
	v_max_f32_e32 v15, v34, v15
	v_cndmask_b32_e32 v141, v207, v29, vcc
	v_mul_f32_e32 v29, 0x3fb8aa3b, v26
	v_fma_f32 v30, v26, s76, -v29
	v_rndne_f32_e32 v31, v29
	v_fmac_f32_e32 v30, 0x32a5705f, v26
	v_sub_f32_e32 v29, v29, v31
	v_add_f32_e32 v29, v29, v30
	v_exp_f32_e32 v29, v29
	v_cvt_i32_f32_e32 v30, v31
	v_cmp_ngt_f32_e32 vcc, s77, v27
	s_mul_hi_i32 s17, s71, s2
	s_mul_i32 s16, s71, s2
	v_cndmask_b32_e32 v28, 0, v28, vcc
	v_cmp_nlt_f32_e32 vcc, s78, v27
	v_ldexp_f32 v27, v29, v30
	s_lshl_b64 s[16:17], s[16:17], 2
	v_cndmask_b32_e32 v142, v207, v28, vcc
	v_mul_f32_e32 v28, 0x3fb8aa3b, v17
	v_fma_f32 v29, v17, s76, -v28
	v_rndne_f32_e32 v30, v28
	v_fmac_f32_e32 v29, 0x32a5705f, v17
	v_sub_f32_e32 v28, v28, v30
	v_add_f32_e32 v28, v28, v29
	v_exp_f32_e32 v28, v28
	v_cvt_i32_f32_e32 v29, v30
	v_cmp_ngt_f32_e32 vcc, s77, v26
	s_barrier
	s_nop 0
	v_cndmask_b32_e32 v27, 0, v27, vcc
	v_cmp_nlt_f32_e32 vcc, s78, v26
	v_ldexp_f32 v26, v28, v29
	s_nop 0
	v_cndmask_b32_e32 v143, v207, v27, vcc
	v_mul_f32_e32 v27, 0x3fb8aa3b, v16
	v_fma_f32 v28, v16, s76, -v27
	v_rndne_f32_e32 v29, v27
	v_fmac_f32_e32 v28, 0x32a5705f, v16
	v_sub_f32_e32 v27, v27, v29
	v_add_f32_e32 v27, v27, v28
	v_exp_f32_e32 v27, v27
	v_cvt_i32_f32_e32 v28, v29
	v_cmp_ngt_f32_e32 vcc, s77, v17
	s_nop 1
	v_cndmask_b32_e32 v26, 0, v26, vcc
	v_cmp_nlt_f32_e32 vcc, s78, v17
	v_ldexp_f32 v17, v27, v28
	s_nop 0
	v_cndmask_b32_e32 v144, v207, v26, vcc
	v_sub_f32_e32 v26, v36, v14
	v_mul_f32_e32 v27, 0x3fb8aa3b, v26
	v_fma_f32 v28, v26, s76, -v27
	v_rndne_f32_e32 v29, v27
	v_fmac_f32_e32 v28, 0x32a5705f, v26
	v_sub_f32_e32 v27, v27, v29
	v_add_f32_e32 v27, v27, v28
	v_exp_f32_e32 v27, v27
	v_cvt_i32_f32_e32 v28, v29
	v_cmp_ngt_f32_e32 vcc, s77, v16
	s_nop 1
	v_cndmask_b32_e32 v17, 0, v17, vcc
	v_cmp_nlt_f32_e32 vcc, s78, v16
	v_ldexp_f32 v16, v27, v28
	s_nop 0
	v_cndmask_b32_e32 v145, v207, v17, vcc
	v_sub_f32_e32 v17, v43, v15
	v_mul_f32_e32 v27, 0x3fb8aa3b, v17
	v_fma_f32 v28, v17, s76, -v27
	v_rndne_f32_e32 v29, v27
	v_fmac_f32_e32 v28, 0x32a5705f, v17
	v_sub_f32_e32 v27, v27, v29
	v_add_f32_e32 v27, v27, v28
	v_exp_f32_e32 v27, v27
	v_cvt_i32_f32_e32 v28, v29
	v_cmp_ngt_f32_e32 vcc, s77, v26
	s_nop 1
	v_cndmask_b32_e32 v16, 0, v16, vcc
	v_cmp_nlt_f32_e32 vcc, s78, v26
	v_cvt_pk_f16_f32 v26, v140, v141
	s_nop 0
	v_cndmask_b32_e32 v146, v207, v16, vcc
	v_ldexp_f32 v16, v27, v28
	v_cmp_ngt_f32_e32 vcc, s77, v17
	v_cvt_pk_f16_f32 v28, v144, v145
	v_cvt_pk_f16_f32 v27, v142, v143
	v_cndmask_b32_e32 v16, 0, v16, vcc
	v_cmp_nlt_f32_e32 vcc, s78, v17
	s_nop 1
	v_cndmask_b32_e32 v147, v207, v16, vcc
	v_cvt_pk_f16_f32 v29, v146, v147
	v_lshl_add_u64 v[16:17], v[122:123], 0, s[16:17]
	ds_write_b128 v205, v[26:29]
	s_and_saveexec_b64 s[16:17], s[10:11]
	s_cbranch_execz .LBB52_50
; %bb.49:                               ;   in Loop: Header=BB52_24 Depth=1
	v_lshl_add_u64 v[26:27], v[132:133], 2, v[16:17]
	v_lshl_add_u64 v[26:27], v[26:27], 0, v[128:129]
	global_load_dwordx4 v[26:29], v[26:27], off offset:192
	s_waitcnt vmcnt(0)
	ds_write_b128 v202, v[26:29]
.LBB52_50:                              ;   in Loop: Header=BB52_24 Depth=1
	s_or_b64 exec, exec, s[16:17]
	s_and_saveexec_b64 s[16:17], s[12:13]
	s_cbranch_execz .LBB52_52
; %bb.51:                               ;   in Loop: Header=BB52_24 Depth=1
	v_lshl_add_u64 v[26:27], v[134:135], 2, v[16:17]
	v_mov_b32_e32 v139, v129
	v_lshl_add_u64 v[26:27], v[26:27], 0, v[138:139]
	global_load_dwordx4 v[26:29], v[26:27], off offset:128
	s_waitcnt vmcnt(0)
	ds_write_b128 v203, v[26:29]
.LBB52_52:                              ;   in Loop: Header=BB52_24 Depth=1
	s_or_b64 exec, exec, s[16:17]
	scratch_load_dwordx2 v[26:27], off, off offset:16 ; 8-byte Folded Reload
	s_waitcnt vmcnt(0)
	v_lshlrev_b32_e32 v148, 2, v26
	s_and_saveexec_b64 s[16:17], s[14:15]
	s_cbranch_execz .LBB52_54
; %bb.53:                               ;   in Loop: Header=BB52_24 Depth=1
	v_lshl_add_u64 v[16:17], v[136:137], 2, v[16:17]
	v_mov_b32_e32 v149, v129
	v_lshl_add_u64 v[16:17], v[16:17], 0, v[148:149]
	global_load_dwordx4 v[26:29], v[16:17], off
	s_waitcnt vmcnt(0)
	ds_write_b128 v204, v[26:29]
.LBB52_54:                              ;   in Loop: Header=BB52_24 Depth=1
	s_or_b64 exec, exec, s[16:17]
	v_lshlrev_b32_e32 v16, 3, v161
	v_add_u32_e32 v209, 0x3800, v16
	s_waitcnt lgkmcnt(0)
	s_barrier
	ds_read2_b64 v[44:47], v209 offset1:28
	ds_read_b128 v[108:111], v201
	ds_read_b128 v[104:107], v201 offset:16
	ds_read_b128 v[100:103], v201 offset:32
	;; [unrolled: 1-line block ×3, first 2 shown]
	ds_read2_b64 v[40:43], v209 offset0:56 offset1:84
	ds_read2_b64 v[36:39], v209 offset0:112 offset1:140
	ds_read_b128 v[92:95], v201 offset:64
	ds_read_b128 v[88:91], v201 offset:80
	ds_read2_b64 v[32:35], v209 offset0:168 offset1:196
	ds_read_b128 v[84:87], v201 offset:96
	ds_read_b128 v[80:83], v201 offset:112
	;; [unrolled: 3-line block ×3, first 2 shown]
	v_add_u32_e32 v208, 0x4000, v16
	v_sub_f32_e32 v213, v18, v8
	v_sub_f32_e32 v212, v25, v9
	;; [unrolled: 1-line block ×8, first 2 shown]
	ds_read2_b64 v[24:27], v208 offset0:24 offset1:52
	ds_read_b128 v[68:71], v201 offset:160
	ds_read_b128 v[64:67], v201 offset:176
	ds_read2_b64 v[20:23], v208 offset0:80 offset1:108
	ds_read_b128 v[60:63], v201 offset:192
	ds_read_b128 v[56:59], v201 offset:208
	;; [unrolled: 3-line block ×3, first 2 shown]
	s_or_b32 s58, s71, 16
	s_mul_hi_i32 s59, s58, s2
	s_mul_i32 s58, s58, s2
	s_lshl_b64 s[58:59], s[58:59], 2
	v_cmp_ngt_f32_e64 s[44:45], s77, v213
	v_cmp_nlt_f32_e64 s[46:47], s78, v213
	v_cmp_ngt_f32_e64 s[40:41], s77, v212
	v_cmp_nlt_f32_e64 s[42:43], s78, v212
	;; [unrolled: 2-line block ×7, first 2 shown]
	v_cmp_ngt_f32_e32 vcc, s77, v154
	v_cmp_nlt_f32_e64 s[16:17], s78, v154
	v_lshl_add_u64 v[150:151], v[122:123], 0, s[58:59]
	s_waitcnt lgkmcnt(0)
	s_barrier
	s_and_saveexec_b64 s[58:59], s[10:11]
	s_cbranch_execnz .LBB52_64
; %bb.55:                               ;   in Loop: Header=BB52_24 Depth=1
	s_or_b64 exec, exec, s[58:59]
	s_and_saveexec_b64 s[58:59], s[12:13]
	s_cbranch_execnz .LBB52_65
.LBB52_56:                              ;   in Loop: Header=BB52_24 Depth=1
	s_or_b64 exec, exec, s[58:59]
	s_and_saveexec_b64 s[58:59], s[14:15]
	s_cbranch_execz .LBB52_58
.LBB52_57:                              ;   in Loop: Header=BB52_24 Depth=1
	v_lshl_add_u64 v[150:151], v[136:137], 2, v[150:151]
	v_mov_b32_e32 v149, v129
	v_lshl_add_u64 v[148:149], v[150:151], 0, v[148:149]
	global_load_dwordx4 v[148:151], v[148:149], off
	s_waitcnt vmcnt(0)
	ds_write_b128 v204, v[148:151]
.LBB52_58:                              ;   in Loop: Header=BB52_24 Depth=1
	s_or_b64 exec, exec, s[58:59]
	v_mul_f32_e32 v139, 0x3fb8aa3b, v213
	v_fma_f32 v148, v213, s76, -v139
	v_fmac_f32_e32 v148, 0x32a5705f, v213
	v_mul_f32_e32 v213, 0x3fb8aa3b, v155
	v_fma_f32 v214, v155, s76, -v213
	v_fmac_f32_e32 v214, 0x32a5705f, v155
	v_rndne_f32_e32 v155, v213
	v_sub_f32_e32 v213, v213, v155
	v_add_f32_e32 v213, v213, v214
	v_exp_f32_e32 v213, v213
	v_cvt_i32_f32_e32 v155, v155
	v_rndne_f32_e32 v149, v139
	v_sub_f32_e32 v139, v139, v149
	v_add_f32_e32 v139, v139, v148
	v_ldexp_f32 v155, v213, v155
	v_mul_f32_e32 v213, 0x3fb8aa3b, v152
	v_cvt_i32_f32_e32 v148, v149
	v_mul_f32_e32 v149, 0x3fb8aa3b, v212
	v_fma_f32 v214, v152, s76, -v213
	v_fma_f32 v150, v212, s76, -v149
	v_rndne_f32_e32 v151, v149
	v_fmac_f32_e32 v214, 0x32a5705f, v152
	v_rndne_f32_e32 v152, v213
	v_fmac_f32_e32 v150, 0x32a5705f, v212
	v_sub_f32_e32 v149, v149, v151
	v_sub_f32_e32 v213, v213, v152
	v_add_f32_e32 v149, v149, v150
	v_add_f32_e32 v213, v213, v214
	v_exp_f32_e32 v149, v149
	v_cvt_i32_f32_e32 v150, v151
	v_exp_f32_e32 v213, v213
	v_cvt_i32_f32_e32 v214, v152
	v_cndmask_b32_e64 v152, 0, v155, s[26:27]
	v_ldexp_f32 v149, v149, v150
	v_mul_f32_e32 v150, 0x3fb8aa3b, v211
	v_ldexp_f32 v155, v213, v214
	v_mul_f32_e32 v213, 0x3fb8aa3b, v153
	v_fma_f32 v151, v211, s76, -v150
	v_fma_f32 v214, v153, s76, -v213
	v_fmac_f32_e32 v151, 0x32a5705f, v211
	v_rndne_f32_e32 v211, v150
	v_fmac_f32_e32 v214, 0x32a5705f, v153
	v_rndne_f32_e32 v153, v213
	v_sub_f32_e32 v150, v150, v211
	v_sub_f32_e32 v213, v213, v153
	v_add_f32_e32 v150, v150, v151
	v_add_f32_e32 v213, v213, v214
	v_exp_f32_e32 v150, v150
	v_cvt_i32_f32_e32 v151, v211
	v_exp_f32_e32 v213, v213
	v_cvt_i32_f32_e32 v214, v153
	v_cndmask_b32_e64 v153, 0, v155, s[22:23]
	v_ldexp_f32 v150, v150, v151
	v_mul_f32_e32 v151, 0x3fb8aa3b, v210
	v_ldexp_f32 v155, v213, v214
	v_mul_f32_e32 v213, 0x3fb8aa3b, v154
	v_fma_f32 v212, v210, s76, -v151
	v_fma_f32 v214, v154, s76, -v213
	v_fmac_f32_e32 v212, 0x32a5705f, v210
	v_rndne_f32_e32 v210, v151
	v_fmac_f32_e32 v214, 0x32a5705f, v154
	v_rndne_f32_e32 v154, v213
	v_sub_f32_e32 v151, v151, v210
	v_sub_f32_e32 v213, v213, v154
	v_add_f32_e32 v151, v151, v212
	v_add_f32_e32 v213, v213, v214
	v_exp_f32_e32 v139, v139
	v_exp_f32_e32 v151, v151
	v_cvt_i32_f32_e32 v210, v210
	v_exp_f32_e32 v213, v213
	v_cvt_i32_f32_e32 v214, v154
	v_ldexp_f32 v139, v139, v148
	v_ldexp_f32 v151, v151, v210
	v_cndmask_b32_e64 v154, 0, v155, s[18:19]
	v_ldexp_f32 v155, v213, v214
	v_cndmask_b32_e64 v139, 0, v139, s[44:45]
	v_cndmask_b32_e64 v149, 0, v149, s[40:41]
	v_cndmask_b32_e64 v150, 0, v150, s[36:37]
	v_cndmask_b32_e64 v151, 0, v151, s[30:31]
	v_cndmask_b32_e32 v155, 0, v155, vcc
	v_cndmask_b32_e64 v148, v207, v139, s[46:47]
	v_cndmask_b32_e64 v149, v207, v149, s[42:43]
	;; [unrolled: 1-line block ×8, first 2 shown]
	v_cvt_f16_f32_e32 v139, v148
	v_cvt_f16_f32_e32 v211, v149
	;; [unrolled: 1-line block ×8, first 2 shown]
	v_mul_u32_u24_e32 v139, 0x10001, v139
	v_mul_u32_u24_e32 v211, 0x10001, v211
	v_mul_u32_u24_e32 v212, 0x10001, v212
	v_mul_u32_u24_e32 v210, 0x10001, v210
	v_mul_u32_u24_e32 v214, 0x10001, v215
	v_mul_u32_u24_e32 v215, 0x10001, v216
	v_mul_u32_u24_e32 v216, 0x10001, v217
	v_mul_u32_u24_e32 v213, 0x10001, v213
	v_mul_u32_u24_sdwa v217, v108, s79 dst_sel:DWORD dst_unused:UNUSED_PAD src0_sel:WORD_0 src1_sel:DWORD
	v_mul_u32_u24_sdwa v108, v108, s79 dst_sel:DWORD dst_unused:UNUSED_PAD src0_sel:WORD_1 src1_sel:DWORD
	v_mul_u32_u24_sdwa v218, v109, s79 dst_sel:DWORD dst_unused:UNUSED_PAD src0_sel:WORD_0 src1_sel:DWORD
	v_mul_u32_u24_sdwa v109, v109, s79 dst_sel:DWORD dst_unused:UNUSED_PAD src0_sel:WORD_1 src1_sel:DWORD
	;; [unrolled: 2-line block ×4, first 2 shown]
	v_pk_mul_f16 v181, v181, v139
	v_pk_mul_f16 v139, v182, v139
	;; [unrolled: 1-line block ×16, first 2 shown]
	v_mul_u32_u24_sdwa v221, v104, s79 dst_sel:DWORD dst_unused:UNUSED_PAD src0_sel:WORD_0 src1_sel:DWORD
	v_mul_u32_u24_sdwa v104, v104, s79 dst_sel:DWORD dst_unused:UNUSED_PAD src0_sel:WORD_1 src1_sel:DWORD
	v_mul_u32_u24_sdwa v222, v105, s79 dst_sel:DWORD dst_unused:UNUSED_PAD src0_sel:WORD_0 src1_sel:DWORD
	v_mul_u32_u24_sdwa v105, v105, s79 dst_sel:DWORD dst_unused:UNUSED_PAD src0_sel:WORD_1 src1_sel:DWORD
	v_mul_u32_u24_sdwa v223, v106, s79 dst_sel:DWORD dst_unused:UNUSED_PAD src0_sel:WORD_0 src1_sel:DWORD
	v_mul_u32_u24_sdwa v106, v106, s79 dst_sel:DWORD dst_unused:UNUSED_PAD src0_sel:WORD_1 src1_sel:DWORD
	v_mul_u32_u24_sdwa v224, v107, s79 dst_sel:DWORD dst_unused:UNUSED_PAD src0_sel:WORD_0 src1_sel:DWORD
	v_mul_u32_u24_sdwa v107, v107, s79 dst_sel:DWORD dst_unused:UNUSED_PAD src0_sel:WORD_1 src1_sel:DWORD
	v_pk_fma_f16 v181, v44, v217, v181
	v_pk_fma_f16 v179, v44, v108, v179
	v_pk_fma_f16 v177, v44, v218, v177
	v_pk_fma_f16 v175, v44, v109, v175
	v_pk_fma_f16 v173, v44, v219, v173
	v_pk_fma_f16 v171, v44, v110, v171
	v_pk_fma_f16 v169, v44, v220, v169
	v_pk_fma_f16 v44, v44, v111, v167
	v_pk_fma_f16 v139, v45, v217, v139
	v_pk_fma_f16 v108, v45, v108, v180
	v_pk_fma_f16 v167, v45, v218, v178
	v_pk_fma_f16 v109, v45, v109, v176
	v_pk_fma_f16 v174, v45, v219, v174
	v_pk_fma_f16 v110, v45, v110, v172
	v_pk_fma_f16 v170, v45, v220, v170
	v_pk_fma_f16 v45, v45, v111, v168
	v_mul_u32_u24_sdwa v225, v100, s79 dst_sel:DWORD dst_unused:UNUSED_PAD src0_sel:WORD_0 src1_sel:DWORD
	v_mul_u32_u24_sdwa v100, v100, s79 dst_sel:DWORD dst_unused:UNUSED_PAD src0_sel:WORD_1 src1_sel:DWORD
	v_mul_u32_u24_sdwa v226, v101, s79 dst_sel:DWORD dst_unused:UNUSED_PAD src0_sel:WORD_0 src1_sel:DWORD
	v_mul_u32_u24_sdwa v101, v101, s79 dst_sel:DWORD dst_unused:UNUSED_PAD src0_sel:WORD_1 src1_sel:DWORD
	v_mul_u32_u24_sdwa v227, v102, s79 dst_sel:DWORD dst_unused:UNUSED_PAD src0_sel:WORD_0 src1_sel:DWORD
	v_mul_u32_u24_sdwa v102, v102, s79 dst_sel:DWORD dst_unused:UNUSED_PAD src0_sel:WORD_1 src1_sel:DWORD
	v_mul_u32_u24_sdwa v228, v103, s79 dst_sel:DWORD dst_unused:UNUSED_PAD src0_sel:WORD_0 src1_sel:DWORD
	v_mul_u32_u24_sdwa v103, v103, s79 dst_sel:DWORD dst_unused:UNUSED_PAD src0_sel:WORD_1 src1_sel:DWORD
	v_pk_fma_f16 v111, v46, v221, v181
	v_pk_fma_f16 v168, v46, v104, v179
	v_pk_fma_f16 v172, v46, v222, v177
	v_pk_fma_f16 v175, v46, v105, v175
	v_pk_fma_f16 v173, v46, v223, v173
	v_pk_fma_f16 v171, v46, v106, v171
	v_pk_fma_f16 v169, v46, v224, v169
	v_pk_fma_f16 v44, v46, v107, v44
	v_pk_fma_f16 v46, v47, v221, v139
	v_pk_fma_f16 v104, v47, v104, v108
	v_pk_fma_f16 v108, v47, v222, v167
	v_pk_fma_f16 v105, v47, v105, v109
	v_pk_fma_f16 v109, v47, v223, v174
	v_pk_fma_f16 v106, v47, v106, v110
	v_pk_fma_f16 v110, v47, v224, v170
	v_pk_fma_f16 v45, v47, v107, v45
	;; [unrolled: 24-line block ×15, first 2 shown]
	v_pk_fma_f16 v36, v18, v190, v23
	v_pk_fma_f16 v37, v18, v48, v25
	;; [unrolled: 1-line block ×16, first 2 shown]
	s_waitcnt lgkmcnt(0)
	s_barrier
	ds_read_b128 v[16:19], v201 offset:256
	ds_read2_b64 v[20:23], v209 offset1:28
	ds_read_b128 v[24:27], v201 offset:272
	ds_read_b128 v[28:31], v201 offset:288
	;; [unrolled: 1-line block ×3, first 2 shown]
	s_waitcnt lgkmcnt(4)
	v_mul_u32_u24_sdwa v52, v16, s79 dst_sel:DWORD dst_unused:UNUSED_PAD src0_sel:WORD_0 src1_sel:DWORD
	v_mul_u32_u24_sdwa v16, v16, s79 dst_sel:DWORD dst_unused:UNUSED_PAD src0_sel:WORD_1 src1_sel:DWORD
	v_mul_u32_u24_sdwa v53, v17, s79 dst_sel:DWORD dst_unused:UNUSED_PAD src0_sel:WORD_0 src1_sel:DWORD
	v_mul_u32_u24_sdwa v17, v17, s79 dst_sel:DWORD dst_unused:UNUSED_PAD src0_sel:WORD_1 src1_sel:DWORD
	;; [unrolled: 2-line block ×4, first 2 shown]
	s_waitcnt lgkmcnt(3)
	v_pk_fma_f16 v36, v20, v52, v36
	v_pk_fma_f16 v37, v20, v16, v37
	;; [unrolled: 1-line block ×16, first 2 shown]
	s_waitcnt lgkmcnt(2)
	v_mul_u32_u24_sdwa v21, v24, s79 dst_sel:DWORD dst_unused:UNUSED_PAD src0_sel:WORD_0 src1_sel:DWORD
	v_mul_u32_u24_sdwa v24, v24, s79 dst_sel:DWORD dst_unused:UNUSED_PAD src0_sel:WORD_1 src1_sel:DWORD
	v_mul_u32_u24_sdwa v47, v25, s79 dst_sel:DWORD dst_unused:UNUSED_PAD src0_sel:WORD_0 src1_sel:DWORD
	v_mul_u32_u24_sdwa v25, v25, s79 dst_sel:DWORD dst_unused:UNUSED_PAD src0_sel:WORD_1 src1_sel:DWORD
	;; [unrolled: 2-line block ×4, first 2 shown]
	v_pk_fma_f16 v36, v22, v21, v36
	v_pk_fma_f16 v37, v22, v24, v37
	v_pk_fma_f16 v38, v22, v47, v38
	v_pk_fma_f16 v39, v22, v25, v39
	v_pk_fma_f16 v40, v22, v48, v40
	v_pk_fma_f16 v41, v22, v26, v41
	v_pk_fma_f16 v42, v22, v49, v42
	v_pk_fma_f16 v20, v22, v27, v20
	v_pk_fma_f16 v21, v23, v21, v43
	v_pk_fma_f16 v22, v23, v24, v16
	v_pk_fma_f16 v24, v23, v47, v44
	v_pk_fma_f16 v25, v23, v25, v17
	v_pk_fma_f16 v43, v23, v48, v45
	v_pk_fma_f16 v26, v23, v26, v18
	v_pk_fma_f16 v44, v23, v49, v46
	v_pk_fma_f16 v23, v23, v27, v19
	ds_read2_b64 v[16:19], v209 offset0:56 offset1:84
	s_waitcnt lgkmcnt(2)
	v_mul_u32_u24_sdwa v27, v28, s79 dst_sel:DWORD dst_unused:UNUSED_PAD src0_sel:WORD_0 src1_sel:DWORD
	v_mul_u32_u24_sdwa v28, v28, s79 dst_sel:DWORD dst_unused:UNUSED_PAD src0_sel:WORD_1 src1_sel:DWORD
	v_mul_u32_u24_sdwa v45, v29, s79 dst_sel:DWORD dst_unused:UNUSED_PAD src0_sel:WORD_0 src1_sel:DWORD
	v_mul_u32_u24_sdwa v29, v29, s79 dst_sel:DWORD dst_unused:UNUSED_PAD src0_sel:WORD_1 src1_sel:DWORD
	;; [unrolled: 2-line block ×4, first 2 shown]
	s_waitcnt lgkmcnt(0)
	v_pk_fma_f16 v36, v16, v27, v36
	v_pk_fma_f16 v37, v16, v28, v37
	;; [unrolled: 1-line block ×16, first 2 shown]
	v_mul_u32_u24_sdwa v23, v32, s79 dst_sel:DWORD dst_unused:UNUSED_PAD src0_sel:WORD_0 src1_sel:DWORD
	v_mul_u32_u24_sdwa v28, v32, s79 dst_sel:DWORD dst_unused:UNUSED_PAD src0_sel:WORD_1 src1_sel:DWORD
	v_mul_u32_u24_sdwa v29, v33, s79 dst_sel:DWORD dst_unused:UNUSED_PAD src0_sel:WORD_0 src1_sel:DWORD
	v_mul_u32_u24_sdwa v30, v33, s79 dst_sel:DWORD dst_unused:UNUSED_PAD src0_sel:WORD_1 src1_sel:DWORD
	;; [unrolled: 2-line block ×4, first 2 shown]
	v_pk_fma_f16 v35, v18, v23, v36
	v_pk_fma_f16 v36, v18, v28, v37
	;; [unrolled: 1-line block ×6, first 2 shown]
	ds_read_b128 v[20:23], v201 offset:320
	v_pk_fma_f16 v38, v18, v30, v39
	v_pk_fma_f16 v39, v18, v31, v40
	;; [unrolled: 1-line block ×10, first 2 shown]
	ds_read2_b64 v[16:19], v209 offset0:112 offset1:140
	ds_read_b128 v[24:27], v201 offset:336
	s_waitcnt lgkmcnt(2)
	v_mul_u32_u24_sdwa v44, v20, s79 dst_sel:DWORD dst_unused:UNUSED_PAD src0_sel:WORD_0 src1_sel:DWORD
	v_mul_u32_u24_sdwa v20, v20, s79 dst_sel:DWORD dst_unused:UNUSED_PAD src0_sel:WORD_1 src1_sel:DWORD
	v_mul_u32_u24_sdwa v45, v21, s79 dst_sel:DWORD dst_unused:UNUSED_PAD src0_sel:WORD_0 src1_sel:DWORD
	v_mul_u32_u24_sdwa v21, v21, s79 dst_sel:DWORD dst_unused:UNUSED_PAD src0_sel:WORD_1 src1_sel:DWORD
	;; [unrolled: 2-line block ×4, first 2 shown]
	s_waitcnt lgkmcnt(1)
	v_pk_fma_f16 v35, v16, v44, v35
	v_pk_fma_f16 v36, v16, v20, v36
	;; [unrolled: 1-line block ×16, first 2 shown]
	s_waitcnt lgkmcnt(0)
	v_mul_u32_u24_sdwa v23, v24, s79 dst_sel:DWORD dst_unused:UNUSED_PAD src0_sel:WORD_0 src1_sel:DWORD
	v_mul_u32_u24_sdwa v24, v24, s79 dst_sel:DWORD dst_unused:UNUSED_PAD src0_sel:WORD_1 src1_sel:DWORD
	v_mul_u32_u24_sdwa v31, v25, s79 dst_sel:DWORD dst_unused:UNUSED_PAD src0_sel:WORD_0 src1_sel:DWORD
	v_mul_u32_u24_sdwa v25, v25, s79 dst_sel:DWORD dst_unused:UNUSED_PAD src0_sel:WORD_1 src1_sel:DWORD
	;; [unrolled: 2-line block ×4, first 2 shown]
	v_pk_fma_f16 v34, v18, v23, v35
	v_pk_fma_f16 v35, v18, v24, v36
	;; [unrolled: 1-line block ×11, first 2 shown]
	ds_read_b128 v[20:23], v201 offset:352
	v_pk_fma_f16 v39, v18, v26, v40
	v_pk_fma_f16 v40, v18, v33, v41
	v_pk_fma_f16 v41, v18, v27, v16
	v_pk_fma_f16 v30, v19, v33, v30
	v_pk_fma_f16 v33, v19, v27, v17
	ds_read2_b64 v[16:19], v209 offset0:168 offset1:196
	ds_read_b128 v[24:27], v201 offset:368
	s_waitcnt lgkmcnt(2)
	v_mul_u32_u24_sdwa v44, v20, s79 dst_sel:DWORD dst_unused:UNUSED_PAD src0_sel:WORD_0 src1_sel:DWORD
	v_mul_u32_u24_sdwa v20, v20, s79 dst_sel:DWORD dst_unused:UNUSED_PAD src0_sel:WORD_1 src1_sel:DWORD
	v_mul_u32_u24_sdwa v45, v21, s79 dst_sel:DWORD dst_unused:UNUSED_PAD src0_sel:WORD_0 src1_sel:DWORD
	v_mul_u32_u24_sdwa v21, v21, s79 dst_sel:DWORD dst_unused:UNUSED_PAD src0_sel:WORD_1 src1_sel:DWORD
	v_mul_u32_u24_sdwa v46, v22, s79 dst_sel:DWORD dst_unused:UNUSED_PAD src0_sel:WORD_0 src1_sel:DWORD
	v_mul_u32_u24_sdwa v22, v22, s79 dst_sel:DWORD dst_unused:UNUSED_PAD src0_sel:WORD_1 src1_sel:DWORD
	v_mul_u32_u24_sdwa v47, v23, s79 dst_sel:DWORD dst_unused:UNUSED_PAD src0_sel:WORD_0 src1_sel:DWORD
	v_mul_u32_u24_sdwa v23, v23, s79 dst_sel:DWORD dst_unused:UNUSED_PAD src0_sel:WORD_1 src1_sel:DWORD
	s_waitcnt lgkmcnt(1)
	v_pk_fma_f16 v34, v16, v44, v34
	v_pk_fma_f16 v35, v16, v20, v35
	v_pk_fma_f16 v36, v16, v45, v36
	v_pk_fma_f16 v37, v16, v21, v37
	v_pk_fma_f16 v38, v16, v46, v38
	v_pk_fma_f16 v39, v16, v22, v39
	v_pk_fma_f16 v40, v16, v47, v40
	v_pk_fma_f16 v16, v16, v23, v41
	v_pk_fma_f16 v41, v17, v44, v42
	v_pk_fma_f16 v20, v17, v20, v43
	v_pk_fma_f16 v28, v17, v45, v28
	v_pk_fma_f16 v21, v17, v21, v31
	v_pk_fma_f16 v29, v17, v46, v29
	v_pk_fma_f16 v22, v17, v22, v32
	v_pk_fma_f16 v30, v17, v47, v30
	v_pk_fma_f16 v17, v17, v23, v33
	s_waitcnt lgkmcnt(0)
	v_mul_u32_u24_sdwa v23, v24, s79 dst_sel:DWORD dst_unused:UNUSED_PAD src0_sel:WORD_0 src1_sel:DWORD
	v_mul_u32_u24_sdwa v24, v24, s79 dst_sel:DWORD dst_unused:UNUSED_PAD src0_sel:WORD_1 src1_sel:DWORD
	v_mul_u32_u24_sdwa v31, v25, s79 dst_sel:DWORD dst_unused:UNUSED_PAD src0_sel:WORD_0 src1_sel:DWORD
	v_mul_u32_u24_sdwa v25, v25, s79 dst_sel:DWORD dst_unused:UNUSED_PAD src0_sel:WORD_1 src1_sel:DWORD
	v_mul_u32_u24_sdwa v32, v26, s79 dst_sel:DWORD dst_unused:UNUSED_PAD src0_sel:WORD_0 src1_sel:DWORD
	v_mul_u32_u24_sdwa v26, v26, s79 dst_sel:DWORD dst_unused:UNUSED_PAD src0_sel:WORD_1 src1_sel:DWORD
	v_mul_u32_u24_sdwa v33, v27, s79 dst_sel:DWORD dst_unused:UNUSED_PAD src0_sel:WORD_0 src1_sel:DWORD
	v_mul_u32_u24_sdwa v27, v27, s79 dst_sel:DWORD dst_unused:UNUSED_PAD src0_sel:WORD_1 src1_sel:DWORD
	v_pk_fma_f16 v34, v18, v23, v34
	v_pk_fma_f16 v36, v18, v31, v36
	v_pk_fma_f16 v38, v18, v32, v38
	v_pk_fma_f16 v41, v19, v23, v41
	v_pk_fma_f16 v43, v19, v24, v20
	v_pk_fma_f16 v28, v19, v31, v28
	v_pk_fma_f16 v31, v19, v25, v21
	v_pk_fma_f16 v29, v19, v32, v29
	v_pk_fma_f16 v32, v19, v26, v22
	ds_read_b128 v[20:23], v201 offset:384
	v_pk_fma_f16 v35, v18, v24, v35
	v_pk_fma_f16 v37, v18, v25, v37
	v_pk_fma_f16 v39, v18, v26, v39
	v_pk_fma_f16 v40, v18, v33, v40
	v_pk_fma_f16 v42, v18, v27, v16
	v_pk_fma_f16 v30, v19, v33, v30
	v_pk_fma_f16 v33, v19, v27, v17
	ds_read2_b64 v[16:19], v209 offset0:224 offset1:252
	ds_read_b128 v[24:27], v201 offset:400
	s_waitcnt lgkmcnt(2)
	v_mul_u32_u24_sdwa v44, v20, s79 dst_sel:DWORD dst_unused:UNUSED_PAD src0_sel:WORD_0 src1_sel:DWORD
	v_mul_u32_u24_sdwa v20, v20, s79 dst_sel:DWORD dst_unused:UNUSED_PAD src0_sel:WORD_1 src1_sel:DWORD
	v_mul_u32_u24_sdwa v45, v21, s79 dst_sel:DWORD dst_unused:UNUSED_PAD src0_sel:WORD_0 src1_sel:DWORD
	v_mul_u32_u24_sdwa v21, v21, s79 dst_sel:DWORD dst_unused:UNUSED_PAD src0_sel:WORD_1 src1_sel:DWORD
	v_mul_u32_u24_sdwa v46, v22, s79 dst_sel:DWORD dst_unused:UNUSED_PAD src0_sel:WORD_0 src1_sel:DWORD
	v_mul_u32_u24_sdwa v22, v22, s79 dst_sel:DWORD dst_unused:UNUSED_PAD src0_sel:WORD_1 src1_sel:DWORD
	v_mul_u32_u24_sdwa v47, v23, s79 dst_sel:DWORD dst_unused:UNUSED_PAD src0_sel:WORD_0 src1_sel:DWORD
	v_mul_u32_u24_sdwa v23, v23, s79 dst_sel:DWORD dst_unused:UNUSED_PAD src0_sel:WORD_1 src1_sel:DWORD
	s_waitcnt lgkmcnt(1)
	v_pk_fma_f16 v34, v16, v44, v34
	v_pk_fma_f16 v35, v16, v20, v35
	v_pk_fma_f16 v36, v16, v45, v36
	v_pk_fma_f16 v37, v16, v21, v37
	v_pk_fma_f16 v38, v16, v46, v38
	v_pk_fma_f16 v39, v16, v22, v39
	v_pk_fma_f16 v40, v16, v47, v40
	v_pk_fma_f16 v16, v16, v23, v42
	v_pk_fma_f16 v41, v17, v44, v41
	v_pk_fma_f16 v20, v17, v20, v43
	v_pk_fma_f16 v28, v17, v45, v28
	v_pk_fma_f16 v21, v17, v21, v31
	v_pk_fma_f16 v29, v17, v46, v29
	v_pk_fma_f16 v22, v17, v22, v32
	v_pk_fma_f16 v30, v17, v47, v30
	v_pk_fma_f16 v17, v17, v23, v33
	s_waitcnt lgkmcnt(0)
	v_mul_u32_u24_sdwa v23, v24, s79 dst_sel:DWORD dst_unused:UNUSED_PAD src0_sel:WORD_0 src1_sel:DWORD
	v_mul_u32_u24_sdwa v24, v24, s79 dst_sel:DWORD dst_unused:UNUSED_PAD src0_sel:WORD_1 src1_sel:DWORD
	v_mul_u32_u24_sdwa v31, v25, s79 dst_sel:DWORD dst_unused:UNUSED_PAD src0_sel:WORD_0 src1_sel:DWORD
	v_mul_u32_u24_sdwa v25, v25, s79 dst_sel:DWORD dst_unused:UNUSED_PAD src0_sel:WORD_1 src1_sel:DWORD
	v_mul_u32_u24_sdwa v32, v26, s79 dst_sel:DWORD dst_unused:UNUSED_PAD src0_sel:WORD_0 src1_sel:DWORD
	v_mul_u32_u24_sdwa v26, v26, s79 dst_sel:DWORD dst_unused:UNUSED_PAD src0_sel:WORD_1 src1_sel:DWORD
	v_mul_u32_u24_sdwa v33, v27, s79 dst_sel:DWORD dst_unused:UNUSED_PAD src0_sel:WORD_0 src1_sel:DWORD
	v_mul_u32_u24_sdwa v27, v27, s79 dst_sel:DWORD dst_unused:UNUSED_PAD src0_sel:WORD_1 src1_sel:DWORD
	v_pk_fma_f16 v34, v18, v23, v34
	v_pk_fma_f16 v36, v18, v31, v36
	v_pk_fma_f16 v38, v18, v32, v38
	v_pk_fma_f16 v41, v19, v23, v41
	v_pk_fma_f16 v43, v19, v24, v20
	v_pk_fma_f16 v28, v19, v31, v28
	v_pk_fma_f16 v31, v19, v25, v21
	v_pk_fma_f16 v29, v19, v32, v29
	v_pk_fma_f16 v32, v19, v26, v22
	ds_read_b128 v[20:23], v201 offset:416
	v_pk_fma_f16 v35, v18, v24, v35
	v_pk_fma_f16 v37, v18, v25, v37
	;; [unrolled: 54-line block ×3, first 2 shown]
	v_pk_fma_f16 v39, v18, v26, v39
	v_pk_fma_f16 v40, v18, v33, v40
	;; [unrolled: 1-line block ×5, first 2 shown]
	ds_read2_b64 v[16:19], v208 offset0:80 offset1:108
	ds_read_b128 v[24:27], v201 offset:464
	s_waitcnt lgkmcnt(2)
	v_mul_u32_u24_sdwa v44, v20, s79 dst_sel:DWORD dst_unused:UNUSED_PAD src0_sel:WORD_0 src1_sel:DWORD
	v_mul_u32_u24_sdwa v20, v20, s79 dst_sel:DWORD dst_unused:UNUSED_PAD src0_sel:WORD_1 src1_sel:DWORD
	v_mul_u32_u24_sdwa v45, v21, s79 dst_sel:DWORD dst_unused:UNUSED_PAD src0_sel:WORD_0 src1_sel:DWORD
	v_mul_u32_u24_sdwa v21, v21, s79 dst_sel:DWORD dst_unused:UNUSED_PAD src0_sel:WORD_1 src1_sel:DWORD
	;; [unrolled: 2-line block ×4, first 2 shown]
	s_waitcnt lgkmcnt(1)
	v_pk_fma_f16 v34, v16, v44, v34
	v_pk_fma_f16 v35, v16, v20, v35
	v_pk_fma_f16 v36, v16, v45, v36
	v_pk_fma_f16 v37, v16, v21, v37
	v_pk_fma_f16 v38, v16, v46, v38
	v_pk_fma_f16 v39, v16, v22, v39
	v_pk_fma_f16 v40, v16, v47, v40
	v_pk_fma_f16 v16, v16, v23, v42
	v_pk_fma_f16 v41, v17, v44, v41
	v_pk_fma_f16 v20, v17, v20, v43
	v_pk_fma_f16 v28, v17, v45, v28
	v_pk_fma_f16 v21, v17, v21, v31
	v_pk_fma_f16 v29, v17, v46, v29
	v_pk_fma_f16 v22, v17, v22, v32
	v_pk_fma_f16 v30, v17, v47, v30
	v_pk_fma_f16 v17, v17, v23, v33
	s_waitcnt lgkmcnt(0)
	v_mul_u32_u24_sdwa v23, v24, s79 dst_sel:DWORD dst_unused:UNUSED_PAD src0_sel:WORD_0 src1_sel:DWORD
	v_mul_u32_u24_sdwa v24, v24, s79 dst_sel:DWORD dst_unused:UNUSED_PAD src0_sel:WORD_1 src1_sel:DWORD
	v_mul_u32_u24_sdwa v31, v25, s79 dst_sel:DWORD dst_unused:UNUSED_PAD src0_sel:WORD_0 src1_sel:DWORD
	v_mul_u32_u24_sdwa v25, v25, s79 dst_sel:DWORD dst_unused:UNUSED_PAD src0_sel:WORD_1 src1_sel:DWORD
	v_mul_u32_u24_sdwa v32, v26, s79 dst_sel:DWORD dst_unused:UNUSED_PAD src0_sel:WORD_0 src1_sel:DWORD
	v_mul_u32_u24_sdwa v26, v26, s79 dst_sel:DWORD dst_unused:UNUSED_PAD src0_sel:WORD_1 src1_sel:DWORD
	v_mul_u32_u24_sdwa v33, v27, s79 dst_sel:DWORD dst_unused:UNUSED_PAD src0_sel:WORD_0 src1_sel:DWORD
	v_mul_u32_u24_sdwa v27, v27, s79 dst_sel:DWORD dst_unused:UNUSED_PAD src0_sel:WORD_1 src1_sel:DWORD
	v_pk_fma_f16 v34, v18, v23, v34
	v_pk_fma_f16 v35, v18, v24, v35
	;; [unrolled: 1-line block ×14, first 2 shown]
	ds_read_b128 v[20:23], v201 offset:480
	v_pk_fma_f16 v30, v19, v33, v30
	v_pk_fma_f16 v33, v19, v27, v17
	ds_read2_b64 v[16:19], v208 offset0:136 offset1:164
	ds_read_b128 v[24:27], v201 offset:496
	s_waitcnt lgkmcnt(0)
	s_barrier
	s_load_dword s16, s[52:53], 0x4
	v_mul_u32_u24_sdwa v44, v20, s79 dst_sel:DWORD dst_unused:UNUSED_PAD src0_sel:WORD_0 src1_sel:DWORD
	v_mul_u32_u24_sdwa v20, v20, s79 dst_sel:DWORD dst_unused:UNUSED_PAD src0_sel:WORD_1 src1_sel:DWORD
	v_mul_u32_u24_sdwa v45, v21, s79 dst_sel:DWORD dst_unused:UNUSED_PAD src0_sel:WORD_0 src1_sel:DWORD
	v_mul_u32_u24_sdwa v21, v21, s79 dst_sel:DWORD dst_unused:UNUSED_PAD src0_sel:WORD_1 src1_sel:DWORD
	;; [unrolled: 2-line block ×4, first 2 shown]
	s_waitcnt lgkmcnt(0)
	s_lshl_b32 s16, s16, 5
	v_pk_fma_f16 v34, v16, v44, v34
	v_pk_fma_f16 v35, v16, v20, v35
	;; [unrolled: 1-line block ×16, first 2 shown]
	v_mul_u32_u24_sdwa v23, v24, s79 dst_sel:DWORD dst_unused:UNUSED_PAD src0_sel:WORD_0 src1_sel:DWORD
	v_mul_u32_u24_sdwa v24, v24, s79 dst_sel:DWORD dst_unused:UNUSED_PAD src0_sel:WORD_1 src1_sel:DWORD
	v_mul_u32_u24_sdwa v31, v25, s79 dst_sel:DWORD dst_unused:UNUSED_PAD src0_sel:WORD_0 src1_sel:DWORD
	v_mul_u32_u24_sdwa v25, v25, s79 dst_sel:DWORD dst_unused:UNUSED_PAD src0_sel:WORD_1 src1_sel:DWORD
	;; [unrolled: 2-line block ×4, first 2 shown]
	s_add_i32 s71, s16, s71
	v_pk_fma_f32 v[6:7], v[6:7], v[154:155], v[146:147]
	v_pk_fma_f32 v[4:5], v[4:5], v[152:153], v[144:145]
	;; [unrolled: 1-line block ×4, first 2 shown]
	v_pk_fma_f16 v181, v18, v23, v34
	v_pk_fma_f16 v179, v18, v24, v35
	;; [unrolled: 1-line block ×15, first 2 shown]
	s_cmp_lt_i32 s71, s75
	v_pk_fma_f16 v168, v19, v27, v17
	s_cbranch_scc0 .LBB52_67
; %bb.59:                               ;   in Loop: Header=BB52_24 Depth=1
	v_mov_b32_e32 v18, v8
	v_mov_b32_e32 v25, v9
	;; [unrolled: 1-line block ×8, first 2 shown]
	s_branch .LBB52_24
.LBB52_60:                              ;   in Loop: Header=BB52_24 Depth=1
	global_load_dwordx4 v[14:17], v[12:13], off offset:96
	scratch_load_dword v8, off, off offset:24 ; 4-byte Folded Reload
	s_waitcnt vmcnt(0)
	ds_write_b128 v8, v[14:17]
	s_or_b64 exec, exec, s[16:17]
	v_lshl_add_u64 v[8:9], v[126:127], 2, v[10:11]
	s_and_saveexec_b64 s[16:17], s[6:7]
	s_cbranch_execz .LBB52_26
.LBB52_61:                              ;   in Loop: Header=BB52_24 Depth=1
	v_lshl_add_u64 v[14:15], v[8:9], 0, v[128:129]
	global_load_dwordx4 v[14:17], v[14:15], off offset:64
	s_waitcnt vmcnt(0)
	ds_write_b128 v191, v[14:17]
	s_or_b64 exec, exec, s[16:17]
	v_lshl_add_u64 v[10:11], v[130:131], 2, v[10:11]
	s_and_saveexec_b64 s[16:17], s[8:9]
	s_cbranch_execnz .LBB52_27
	s_branch .LBB52_28
.LBB52_62:                              ;   in Loop: Header=BB52_24 Depth=1
	global_load_dwordx4 v[30:33], v[12:13], off offset:208
	s_nop 0
	scratch_load_dword v12, off, off offset:24 ; 4-byte Folded Reload
	s_waitcnt vmcnt(0)
	ds_write_b128 v12, v[30:33]
	s_or_b64 exec, exec, s[16:17]
	s_and_saveexec_b64 s[16:17], s[6:7]
	s_cbranch_execz .LBB52_30
.LBB52_63:                              ;   in Loop: Header=BB52_24 Depth=1
	v_lshl_add_u64 v[8:9], v[8:9], 0, v[128:129]
	global_load_dwordx4 v[30:33], v[8:9], off offset:176
	s_waitcnt vmcnt(0)
	ds_write_b128 v191, v[30:33]
	s_or_b64 exec, exec, s[16:17]
	s_and_saveexec_b64 s[16:17], s[8:9]
	s_cbranch_execnz .LBB52_31
	s_branch .LBB52_32
.LBB52_64:                              ;   in Loop: Header=BB52_24 Depth=1
	v_lshl_add_u64 v[214:215], v[132:133], 2, v[150:151]
	v_lshl_add_u64 v[214:215], v[214:215], 0, v[128:129]
	global_load_dwordx4 v[214:217], v[214:215], off offset:192
	s_waitcnt vmcnt(0)
	ds_write_b128 v202, v[214:217]
	s_or_b64 exec, exec, s[58:59]
	s_and_saveexec_b64 s[58:59], s[12:13]
	s_cbranch_execz .LBB52_56
.LBB52_65:                              ;   in Loop: Header=BB52_24 Depth=1
	v_lshl_add_u64 v[214:215], v[134:135], 2, v[150:151]
	v_mov_b32_e32 v139, v129
	v_lshl_add_u64 v[214:215], v[214:215], 0, v[138:139]
	global_load_dwordx4 v[214:217], v[214:215], off offset:128
	s_waitcnt vmcnt(0)
	ds_write_b128 v203, v[214:217]
	s_or_b64 exec, exec, s[58:59]
	s_and_saveexec_b64 s[58:59], s[14:15]
	s_cbranch_execnz .LBB52_57
	s_branch .LBB52_58
.LBB52_66:
	v_mov_b32_e32 v8, 0xfeffffff
	v_mov_b32_e32 v7, 0
	v_mov_b32_e32 v9, v8
	v_mov_b32_e32 v10, v8
	v_mov_b32_e32 v11, v8
	v_mov_b32_e32 v12, v8
	v_mov_b32_e32 v13, v8
	v_mov_b32_e32 v14, v8
	v_mov_b32_e32 v15, v8
	v_mov_b32_e32 v181, 0
	v_mov_b32_e32 v6, v7
	v_mov_b32_e32 v5, v7
	v_mov_b32_e32 v4, v7
	v_mov_b32_e32 v3, v7
	v_mov_b32_e32 v2, v7
	v_mov_b32_e32 v1, v7
	v_mov_b32_e32 v0, v7
	v_mov_b32_e32 v182, 0
	v_mov_b32_e32 v179, 0
	v_mov_b32_e32 v180, 0
	v_mov_b32_e32 v177, 0
	v_mov_b32_e32 v178, 0
	v_mov_b32_e32 v175, 0
	v_mov_b32_e32 v176, 0
	v_mov_b32_e32 v173, 0
	v_mov_b32_e32 v174, 0
	v_mov_b32_e32 v171, 0
	v_mov_b32_e32 v172, 0
	v_mov_b32_e32 v169, 0
	v_mov_b32_e32 v170, 0
	v_mov_b32_e32 v167, 0
	v_mov_b32_e32 v168, 0
.LBB52_67:
	s_cmp_gt_i32 s70, s71
	s_cbranch_scc1 .LBB52_69
; %bb.68:
	v_mbcnt_lo_u32_b32 v16, -1, 0
	v_mbcnt_hi_u32_b32 v138, -1, v16
	v_and_b32_e32 v16, 0x60, v138
	v_mov_b64_e32 v[38:39], v[6:7]
	v_add_u32_e32 v139, 32, v16
	v_xor_b32_e32 v141, 16, v138
	v_xor_b32_e32 v144, 8, v138
	;; [unrolled: 1-line block ×5, first 2 shown]
	v_mov_b64_e32 v[36:37], v[4:5]
	v_mov_b64_e32 v[34:35], v[2:3]
	;; [unrolled: 1-line block ×3, first 2 shown]
	s_cbranch_execz .LBB52_70
	s_branch .LBB52_135
.LBB52_69:
                                        ; implicit-def: $vgpr138
                                        ; implicit-def: $vgpr139
                                        ; implicit-def: $vgpr141
                                        ; implicit-def: $vgpr144
                                        ; implicit-def: $vgpr142
                                        ; implicit-def: $vgpr143
                                        ; implicit-def: $vgpr140
                                        ; implicit-def: $vgpr32_vgpr33_vgpr34_vgpr35_vgpr36_vgpr37_vgpr38_vgpr39
.LBB52_70:
	scratch_load_dword v17, off, off offset:68 ; 4-byte Folded Reload
	s_mul_hi_i32 s5, s71, s74
	s_mul_i32 s4, s71, s74
	v_lshlrev_b32_e32 v16, 7, v161
	s_sub_i32 s22, s70, s71
	s_lshl_b64 s[4:5], s[4:5], 2
	v_add_u32_e32 v32, 0x3860, v16
	v_lshl_add_u64 v[18:19], v[118:119], 0, s[4:5]
	s_mov_b64 s[14:15], src_private_base
	s_waitcnt vmcnt(0)
	v_mul_lo_u32 v16, s74, v17
	v_cmp_gt_u32_e64 s[8:9], 32, v17
	v_cmp_gt_i32_e32 vcc, s22, v17
	v_ashrrev_i32_e32 v17, 31, v16
	v_lshl_add_u64 v[24:25], v[16:17], 2, v[18:19]
	s_and_saveexec_b64 s[4:5], s[8:9]
	s_cbranch_execz .LBB52_72
; %bb.71:
	v_mov_b32_e32 v20, 0
	v_mov_b32_e32 v21, v20
	;; [unrolled: 1-line block ×3, first 2 shown]
	s_mov_b64 s[6:7], 0x60
	scratch_store_dword off, v20, off
	scratch_store_dwordx3 off, v[20:22], off offset:4
	v_lshl_add_u64 v[16:17], v[24:25], 0, s[6:7]
	s_nop 0
	v_mov_b32_e32 v20, s15
	v_cndmask_b32_e32 v17, v20, v17, vcc
	v_mov_b32_e32 v20, 0
	v_cndmask_b32_e32 v16, v20, v16, vcc
	flat_load_dwordx4 v[20:23], v[16:17]
	s_waitcnt vmcnt(0) lgkmcnt(0)
	ds_write_b128 v32, v[20:23]
.LBB52_72:
	s_or_b64 exec, exec, s[4:5]
	scratch_load_dword v72, off, off offset:40 ; 4-byte Folded Reload
	v_lshrrev_b32_e32 v16, 1, v161
	s_mov_b64 s[16:17], src_private_base
	s_waitcnt vmcnt(0)
	v_lshl_add_u32 v136, v72, 4, v16
	scratch_load_dwordx2 v[16:17], off, off offset:44 ; 8-byte Folded Reload
	v_cmp_gt_u32_e64 s[10:11], 32, v136
	v_cmp_gt_i32_e64 s[4:5], s22, v136
	s_waitcnt vmcnt(0)
	v_lshlrev_b32_e32 v124, 2, v16
	v_lshl_or_b32 v16, v136, 7, v124
	v_add_u32_e32 v33, 0x3840, v16
	v_mul_lo_u32 v16, s74, v136
	v_ashrrev_i32_e32 v17, 31, v16
	v_lshl_add_u64 v[26:27], v[16:17], 2, v[18:19]
	s_and_saveexec_b64 s[6:7], s[10:11]
	s_cbranch_execz .LBB52_74
; %bb.73:
	v_mov_b32_e32 v20, 0
	v_mov_b32_e32 v125, v20
	v_mov_b32_e32 v21, v20
	v_mov_b32_e32 v22, v20
	v_lshl_add_u64 v[16:17], v[26:27], 0, v[124:125]
	scratch_store_dword off, v20, off
	scratch_store_dwordx3 off, v[20:22], off offset:4
	v_lshl_add_u64 v[16:17], v[16:17], 0, 64
	s_nop 0
	v_mov_b32_e32 v20, s17
	v_cndmask_b32_e64 v17, v20, v17, s[4:5]
	v_mov_b32_e32 v20, 0
	v_cndmask_b32_e64 v16, v20, v16, s[4:5]
	flat_load_dwordx4 v[20:23], v[16:17]
	s_waitcnt vmcnt(0) lgkmcnt(0)
	ds_write_b128 v33, v[20:23]
.LBB52_74:
	s_or_b64 exec, exec, s[6:7]
	v_lshlrev_b32_e32 v16, 7, v161
	v_add_u32_e32 v31, 0x3800, v16
	v_lshlrev_b32_e32 v16, 3, v72
	v_lshrrev_b32_e32 v17, 2, v161
	v_add_u32_e32 v137, v17, v16
	scratch_load_dwordx2 v[16:17], off, off offset:60 ; 8-byte Folded Reload
	v_mul_lo_u32 v20, s74, v137
	v_ashrrev_i32_e32 v21, 31, v20
	s_mov_b64 s[18:19], src_private_base
	v_cmp_gt_u32_e64 s[12:13], 32, v137
	s_waitcnt vmcnt(0)
	v_mov_b32_e32 v17, 0
	v_cmp_gt_i32_e64 s[6:7], s22, v137
	v_lshl_add_u64 v[28:29], v[20:21], 2, v[18:19]
	v_lshlrev_b32_e32 v126, 2, v16
	v_lshl_or_b32 v16, v137, 7, v126
	v_add_u32_e32 v34, 0x3800, v16
	s_and_saveexec_b64 s[20:21], s[12:13]
	s_cbranch_execz .LBB52_76
; %bb.75:
	v_mov_b32_e32 v18, v17
	v_mov_b32_e32 v19, v17
	;; [unrolled: 1-line block ×4, first 2 shown]
	scratch_store_dwordx3 off, v[18:20], off offset:4
	v_mov_b32_e32 v16, s19
	scratch_store_dword off, v17, off
	v_lshl_add_u64 v[18:19], v[28:29], 0, v[126:127]
	v_cndmask_b32_e64 v19, v16, v19, s[6:7]
	v_mov_b32_e32 v16, 0
	v_cndmask_b32_e64 v18, v16, v18, s[6:7]
	flat_load_dwordx4 v[18:21], v[18:19]
	s_waitcnt vmcnt(0) lgkmcnt(0)
	ds_write_b128 v34, v[18:21]
.LBB52_76:
	s_or_b64 exec, exec, s[20:21]
	v_mov_b32_e32 v22, 0
	v_mul_u32_u24_e32 v30, 0x700, v72
	s_waitcnt lgkmcnt(0)
	s_barrier
	ds_read_b128 v[36:39], v31
	ds_read_b128 v[18:21], v30
	ds_read_b128 v[40:43], v30 offset:224
	ds_read_b128 v[44:47], v30 offset:448
	;; [unrolled: 1-line block ×7, first 2 shown]
	s_waitcnt lgkmcnt(7)
	;;#ASMSTART
	v_dot2_f32_f16 v22, v36, v18, v22
	;;#ASMEND
	v_mov_b32_e32 v23, 0
	;;#ASMSTART
	v_dot2_f32_f16 v22, v37, v19, v22
	;;#ASMEND
	v_mov_b32_e32 v18, 0
	;; [unrolled: 4-line block ×3, first 2 shown]
	;;#ASMSTART
	v_dot2_f32_f16 v22, v39, v21, v22
	;;#ASMEND
	s_waitcnt lgkmcnt(6)
	;;#ASMSTART
	v_dot2_f32_f16 v23, v36, v40, v23
	;;#ASMEND
	v_mov_b32_e32 v21, 0
	;;#ASMSTART
	v_dot2_f32_f16 v23, v37, v41, v23
	;;#ASMEND
	v_mov_b32_e32 v19, 0
	;; [unrolled: 4-line block ×3, first 2 shown]
	;;#ASMSTART
	v_dot2_f32_f16 v23, v39, v43, v23
	;;#ASMEND
	s_waitcnt lgkmcnt(5)
	;;#ASMSTART
	v_dot2_f32_f16 v20, v36, v44, v20
	;;#ASMEND
	s_nop 0
	;;#ASMSTART
	v_dot2_f32_f16 v20, v37, v45, v20
	;;#ASMEND
	s_nop 0
	;;#ASMSTART
	v_dot2_f32_f16 v20, v38, v46, v20
	;;#ASMEND
	s_nop 0
	;;#ASMSTART
	v_dot2_f32_f16 v20, v39, v47, v20
	;;#ASMEND
	s_waitcnt lgkmcnt(4)
	;;#ASMSTART
	v_dot2_f32_f16 v21, v36, v48, v21
	;;#ASMEND
	s_nop 0
	;;#ASMSTART
	v_dot2_f32_f16 v21, v37, v49, v21
	;;#ASMEND
	s_nop 0
	;;#ASMSTART
	v_dot2_f32_f16 v21, v38, v50, v21
	;;#ASMEND
	s_nop 0
	;;#ASMSTART
	v_dot2_f32_f16 v21, v39, v51, v21
	;;#ASMEND
	s_waitcnt lgkmcnt(3)
	;;#ASMSTART
	v_dot2_f32_f16 v18, v36, v52, v18
	;;#ASMEND
	s_nop 0
	;;#ASMSTART
	v_dot2_f32_f16 v18, v37, v53, v18
	;;#ASMEND
	s_nop 0
	;;#ASMSTART
	v_dot2_f32_f16 v18, v38, v54, v18
	;;#ASMEND
	s_nop 0
	;;#ASMSTART
	v_dot2_f32_f16 v18, v39, v55, v18
	;;#ASMEND
	s_waitcnt lgkmcnt(2)
	;;#ASMSTART
	v_dot2_f32_f16 v19, v36, v56, v19
	;;#ASMEND
	s_nop 0
	;;#ASMSTART
	v_dot2_f32_f16 v19, v37, v57, v19
	;;#ASMEND
	s_nop 0
	;;#ASMSTART
	v_dot2_f32_f16 v19, v38, v58, v19
	;;#ASMEND
	s_nop 0
	;;#ASMSTART
	v_dot2_f32_f16 v19, v39, v59, v19
	;;#ASMEND
	s_waitcnt lgkmcnt(1)
	;;#ASMSTART
	v_dot2_f32_f16 v16, v36, v60, v16
	;;#ASMEND
	s_nop 0
	;;#ASMSTART
	v_dot2_f32_f16 v16, v37, v61, v16
	;;#ASMEND
	s_nop 0
	;;#ASMSTART
	v_dot2_f32_f16 v16, v38, v62, v16
	;;#ASMEND
	s_nop 0
	;;#ASMSTART
	v_dot2_f32_f16 v16, v39, v63, v16
	;;#ASMEND
	s_waitcnt lgkmcnt(0)
	;;#ASMSTART
	v_dot2_f32_f16 v17, v36, v64, v17
	;;#ASMEND
	s_nop 0
	;;#ASMSTART
	v_dot2_f32_f16 v17, v37, v65, v17
	;;#ASMEND
	s_nop 0
	;;#ASMSTART
	v_dot2_f32_f16 v17, v38, v66, v17
	;;#ASMEND
	s_nop 0
	;;#ASMSTART
	v_dot2_f32_f16 v17, v39, v67, v17
	;;#ASMEND
	ds_read_b128 v[36:39], v31 offset:16
	ds_read_b128 v[40:43], v30 offset:16
	;; [unrolled: 1-line block ×9, first 2 shown]
	s_waitcnt lgkmcnt(7)
	;;#ASMSTART
	v_dot2_f32_f16 v22, v36, v40, v22
	;;#ASMEND
	s_nop 0
	;;#ASMSTART
	v_dot2_f32_f16 v22, v37, v41, v22
	;;#ASMEND
	s_nop 0
	;;#ASMSTART
	v_dot2_f32_f16 v22, v38, v42, v22
	;;#ASMEND
	s_nop 0
	;;#ASMSTART
	v_dot2_f32_f16 v22, v39, v43, v22
	;;#ASMEND
	s_waitcnt lgkmcnt(6)
	;;#ASMSTART
	v_dot2_f32_f16 v23, v36, v44, v23
	;;#ASMEND
	s_nop 0
	;;#ASMSTART
	v_dot2_f32_f16 v23, v37, v45, v23
	;;#ASMEND
	s_nop 0
	;;#ASMSTART
	v_dot2_f32_f16 v23, v38, v46, v23
	;;#ASMEND
	s_nop 0
	;;#ASMSTART
	v_dot2_f32_f16 v23, v39, v47, v23
	;;#ASMEND
	;; [unrolled: 16-line block ×8, first 2 shown]
	ds_read_b128 v[36:39], v31 offset:32
	ds_read_b128 v[40:43], v30 offset:32
	;; [unrolled: 1-line block ×9, first 2 shown]
	s_waitcnt lgkmcnt(7)
	;;#ASMSTART
	v_dot2_f32_f16 v22, v36, v40, v22
	;;#ASMEND
	s_nop 0
	;;#ASMSTART
	v_dot2_f32_f16 v22, v37, v41, v22
	;;#ASMEND
	s_nop 0
	;;#ASMSTART
	v_dot2_f32_f16 v22, v38, v42, v22
	;;#ASMEND
	s_nop 0
	;;#ASMSTART
	v_dot2_f32_f16 v22, v39, v43, v22
	;;#ASMEND
	s_waitcnt lgkmcnt(6)
	;;#ASMSTART
	v_dot2_f32_f16 v23, v36, v44, v23
	;;#ASMEND
	s_nop 0
	;;#ASMSTART
	v_dot2_f32_f16 v23, v37, v45, v23
	;;#ASMEND
	s_nop 0
	;;#ASMSTART
	v_dot2_f32_f16 v23, v38, v46, v23
	;;#ASMEND
	s_nop 0
	;;#ASMSTART
	v_dot2_f32_f16 v23, v39, v47, v23
	;;#ASMEND
	;; [unrolled: 16-line block ×8, first 2 shown]
	ds_read_b128 v[36:39], v31 offset:48
	ds_read_b128 v[40:43], v30 offset:48
	;; [unrolled: 1-line block ×9, first 2 shown]
	s_waitcnt lgkmcnt(7)
	;;#ASMSTART
	v_dot2_f32_f16 v22, v36, v40, v22
	;;#ASMEND
	s_nop 0
	;;#ASMSTART
	v_dot2_f32_f16 v22, v37, v41, v22
	;;#ASMEND
	s_nop 0
	;;#ASMSTART
	v_dot2_f32_f16 v22, v38, v42, v22
	;;#ASMEND
	s_nop 0
	;;#ASMSTART
	v_dot2_f32_f16 v22, v39, v43, v22
	;;#ASMEND
	s_waitcnt lgkmcnt(6)
	;;#ASMSTART
	v_dot2_f32_f16 v23, v36, v44, v23
	;;#ASMEND
	s_nop 0
	;;#ASMSTART
	v_dot2_f32_f16 v23, v37, v45, v23
	;;#ASMEND
	s_nop 0
	;;#ASMSTART
	v_dot2_f32_f16 v23, v38, v46, v23
	;;#ASMEND
	s_nop 0
	;;#ASMSTART
	v_dot2_f32_f16 v23, v39, v47, v23
	;;#ASMEND
	;; [unrolled: 16-line block ×8, first 2 shown]
	ds_read_b128 v[36:39], v31 offset:64
	ds_read_b128 v[40:43], v30 offset:64
	;; [unrolled: 1-line block ×9, first 2 shown]
	s_waitcnt lgkmcnt(7)
	;;#ASMSTART
	v_dot2_f32_f16 v22, v36, v40, v22
	;;#ASMEND
	s_nop 0
	;;#ASMSTART
	v_dot2_f32_f16 v22, v37, v41, v22
	;;#ASMEND
	s_nop 0
	;;#ASMSTART
	v_dot2_f32_f16 v22, v38, v42, v22
	;;#ASMEND
	s_nop 0
	;;#ASMSTART
	v_dot2_f32_f16 v22, v39, v43, v22
	;;#ASMEND
	s_waitcnt lgkmcnt(6)
	;;#ASMSTART
	v_dot2_f32_f16 v23, v36, v44, v23
	;;#ASMEND
	s_nop 0
	;;#ASMSTART
	v_dot2_f32_f16 v23, v37, v45, v23
	;;#ASMEND
	s_nop 0
	;;#ASMSTART
	v_dot2_f32_f16 v23, v38, v46, v23
	;;#ASMEND
	s_nop 0
	;;#ASMSTART
	v_dot2_f32_f16 v23, v39, v47, v23
	;;#ASMEND
	;; [unrolled: 16-line block ×8, first 2 shown]
	ds_read_b128 v[36:39], v31 offset:80
	ds_read_b128 v[40:43], v30 offset:80
	;; [unrolled: 1-line block ×9, first 2 shown]
	s_waitcnt lgkmcnt(7)
	;;#ASMSTART
	v_dot2_f32_f16 v22, v36, v40, v22
	;;#ASMEND
	s_nop 0
	;;#ASMSTART
	v_dot2_f32_f16 v22, v37, v41, v22
	;;#ASMEND
	s_nop 0
	;;#ASMSTART
	v_dot2_f32_f16 v22, v38, v42, v22
	;;#ASMEND
	s_nop 0
	;;#ASMSTART
	v_dot2_f32_f16 v22, v39, v43, v22
	;;#ASMEND
	s_waitcnt lgkmcnt(6)
	;;#ASMSTART
	v_dot2_f32_f16 v23, v36, v44, v23
	;;#ASMEND
	s_nop 0
	;;#ASMSTART
	v_dot2_f32_f16 v23, v37, v45, v23
	;;#ASMEND
	s_nop 0
	;;#ASMSTART
	v_dot2_f32_f16 v23, v38, v46, v23
	;;#ASMEND
	s_nop 0
	;;#ASMSTART
	v_dot2_f32_f16 v23, v39, v47, v23
	;;#ASMEND
	;; [unrolled: 16-line block ×8, first 2 shown]
	ds_read_b128 v[36:39], v31 offset:96
	ds_read_b128 v[40:43], v30 offset:96
	;; [unrolled: 1-line block ×9, first 2 shown]
	s_waitcnt lgkmcnt(7)
	;;#ASMSTART
	v_dot2_f32_f16 v22, v36, v40, v22
	;;#ASMEND
	s_nop 0
	;;#ASMSTART
	v_dot2_f32_f16 v22, v37, v41, v22
	;;#ASMEND
	s_nop 0
	;;#ASMSTART
	v_dot2_f32_f16 v22, v38, v42, v22
	;;#ASMEND
	s_nop 0
	;;#ASMSTART
	v_dot2_f32_f16 v22, v39, v43, v22
	;;#ASMEND
	s_waitcnt lgkmcnt(6)
	;;#ASMSTART
	v_dot2_f32_f16 v23, v36, v44, v23
	;;#ASMEND
	s_nop 0
	;;#ASMSTART
	v_dot2_f32_f16 v23, v37, v45, v23
	;;#ASMEND
	s_nop 0
	;;#ASMSTART
	v_dot2_f32_f16 v23, v38, v46, v23
	;;#ASMEND
	s_nop 0
	;;#ASMSTART
	v_dot2_f32_f16 v23, v39, v47, v23
	;;#ASMEND
	;; [unrolled: 16-line block ×8, first 2 shown]
	s_barrier
	s_and_saveexec_b64 s[20:21], s[8:9]
	s_cbranch_execnz .LBB52_83
; %bb.77:
	s_or_b64 exec, exec, s[20:21]
	s_and_saveexec_b64 s[8:9], s[10:11]
	s_cbranch_execnz .LBB52_84
.LBB52_78:
	s_or_b64 exec, exec, s[8:9]
	s_and_saveexec_b64 s[8:9], s[12:13]
	s_cbranch_execz .LBB52_80
.LBB52_79:
	v_mov_b32_e32 v24, 0
	v_mov_b32_e32 v25, v24
	;; [unrolled: 1-line block ×4, first 2 shown]
	scratch_store_dword off, v24, off
	scratch_store_dwordx3 off, v[24:26], off offset:4
	s_mov_b64 s[10:11], 0x70
	s_nop 0
	v_lshl_add_u64 v[24:25], v[28:29], 0, v[126:127]
	v_lshl_add_u64 v[24:25], v[24:25], 0, s[10:11]
	v_mov_b32_e32 v26, s19
	v_cndmask_b32_e64 v25, v26, v25, s[6:7]
	v_mov_b32_e32 v26, 0
	v_cndmask_b32_e64 v24, v26, v24, s[6:7]
	flat_load_dwordx4 v[24:27], v[24:25]
	s_waitcnt vmcnt(0) lgkmcnt(0)
	ds_write_b128 v34, v[24:27]
.LBB52_80:
	s_or_b64 exec, exec, s[8:9]
	s_waitcnt lgkmcnt(0)
	s_barrier
	ds_read_b128 v[24:27], v31
	ds_read_b128 v[32:35], v30 offset:112
	ds_read_b128 v[36:39], v30 offset:336
	;; [unrolled: 1-line block ×8, first 2 shown]
	s_waitcnt lgkmcnt(7)
	;;#ASMSTART
	v_dot2_f32_f16 v22, v24, v32, v22
	;;#ASMEND
	s_cmp_lg_u64 s[68:69], 0
	;;#ASMSTART
	v_dot2_f32_f16 v22, v25, v33, v22
	;;#ASMEND
	s_cselect_b64 s[10:11], -1, 0
	;;#ASMSTART
	v_dot2_f32_f16 v22, v26, v34, v22
	;;#ASMEND
	v_cmp_gt_i32_e64 s[8:9], s22, v161
	;;#ASMSTART
	v_dot2_f32_f16 v22, v27, v35, v22
	;;#ASMEND
	s_waitcnt lgkmcnt(6)
	;;#ASMSTART
	v_dot2_f32_f16 v23, v24, v36, v23
	;;#ASMEND
	s_nop 0
	;;#ASMSTART
	v_dot2_f32_f16 v23, v25, v37, v23
	;;#ASMEND
	s_nop 0
	;;#ASMSTART
	v_dot2_f32_f16 v23, v26, v38, v23
	;;#ASMEND
	s_nop 0
	;;#ASMSTART
	v_dot2_f32_f16 v23, v27, v39, v23
	;;#ASMEND
	s_waitcnt lgkmcnt(5)
	;;#ASMSTART
	v_dot2_f32_f16 v20, v24, v40, v20
	;;#ASMEND
	s_nop 0
	;;#ASMSTART
	v_dot2_f32_f16 v20, v25, v41, v20
	;;#ASMEND
	s_nop 0
	;;#ASMSTART
	v_dot2_f32_f16 v20, v26, v42, v20
	;;#ASMEND
	s_nop 0
	;;#ASMSTART
	v_dot2_f32_f16 v20, v27, v43, v20
	;;#ASMEND
	s_waitcnt lgkmcnt(4)
	;;#ASMSTART
	v_dot2_f32_f16 v21, v24, v44, v21
	;;#ASMEND
	s_nop 0
	;;#ASMSTART
	v_dot2_f32_f16 v21, v25, v45, v21
	;;#ASMEND
	s_nop 0
	;;#ASMSTART
	v_dot2_f32_f16 v21, v26, v46, v21
	;;#ASMEND
	s_nop 0
	;;#ASMSTART
	v_dot2_f32_f16 v21, v27, v47, v21
	;;#ASMEND
	s_waitcnt lgkmcnt(3)
	;;#ASMSTART
	v_dot2_f32_f16 v18, v24, v48, v18
	;;#ASMEND
	s_nop 0
	;;#ASMSTART
	v_dot2_f32_f16 v18, v25, v49, v18
	;;#ASMEND
	s_nop 0
	;;#ASMSTART
	v_dot2_f32_f16 v18, v26, v50, v18
	;;#ASMEND
	s_nop 0
	;;#ASMSTART
	v_dot2_f32_f16 v18, v27, v51, v18
	;;#ASMEND
	s_waitcnt lgkmcnt(2)
	;;#ASMSTART
	v_dot2_f32_f16 v19, v24, v52, v19
	;;#ASMEND
	s_nop 0
	;;#ASMSTART
	v_dot2_f32_f16 v19, v25, v53, v19
	;;#ASMEND
	s_nop 0
	;;#ASMSTART
	v_dot2_f32_f16 v19, v26, v54, v19
	;;#ASMEND
	s_nop 0
	;;#ASMSTART
	v_dot2_f32_f16 v19, v27, v55, v19
	;;#ASMEND
	s_waitcnt lgkmcnt(1)
	;;#ASMSTART
	v_dot2_f32_f16 v16, v24, v56, v16
	;;#ASMEND
	s_nop 0
	;;#ASMSTART
	v_dot2_f32_f16 v16, v25, v57, v16
	;;#ASMEND
	s_nop 0
	;;#ASMSTART
	v_dot2_f32_f16 v16, v26, v58, v16
	;;#ASMEND
	s_nop 0
	;;#ASMSTART
	v_dot2_f32_f16 v16, v27, v59, v16
	;;#ASMEND
	s_waitcnt lgkmcnt(0)
	;;#ASMSTART
	v_dot2_f32_f16 v17, v24, v60, v17
	;;#ASMEND
	s_nop 0
	;;#ASMSTART
	v_dot2_f32_f16 v17, v25, v61, v17
	;;#ASMEND
	s_nop 0
	;;#ASMSTART
	v_dot2_f32_f16 v17, v26, v62, v17
	;;#ASMEND
	s_nop 0
	;;#ASMSTART
	v_dot2_f32_f16 v17, v27, v63, v17
	;;#ASMEND
	ds_read_b128 v[24:27], v31 offset:16
	ds_read_b128 v[32:35], v30 offset:128
	;; [unrolled: 1-line block ×9, first 2 shown]
	s_waitcnt lgkmcnt(7)
	;;#ASMSTART
	v_dot2_f32_f16 v22, v24, v32, v22
	;;#ASMEND
	s_nop 0
	;;#ASMSTART
	v_dot2_f32_f16 v22, v25, v33, v22
	;;#ASMEND
	s_nop 0
	;;#ASMSTART
	v_dot2_f32_f16 v22, v26, v34, v22
	;;#ASMEND
	s_nop 0
	;;#ASMSTART
	v_dot2_f32_f16 v22, v27, v35, v22
	;;#ASMEND
	s_waitcnt lgkmcnt(6)
	;;#ASMSTART
	v_dot2_f32_f16 v23, v24, v36, v23
	;;#ASMEND
	s_nop 0
	;;#ASMSTART
	v_dot2_f32_f16 v23, v25, v37, v23
	;;#ASMEND
	s_nop 0
	;;#ASMSTART
	v_dot2_f32_f16 v23, v26, v38, v23
	;;#ASMEND
	s_nop 0
	;;#ASMSTART
	v_dot2_f32_f16 v23, v27, v39, v23
	;;#ASMEND
	;; [unrolled: 16-line block ×8, first 2 shown]
	ds_read_b128 v[24:27], v31 offset:32
	ds_read_b128 v[32:35], v30 offset:144
	;; [unrolled: 1-line block ×9, first 2 shown]
	s_waitcnt lgkmcnt(7)
	;;#ASMSTART
	v_dot2_f32_f16 v22, v24, v32, v22
	;;#ASMEND
	s_nop 0
	;;#ASMSTART
	v_dot2_f32_f16 v22, v25, v33, v22
	;;#ASMEND
	s_nop 0
	;;#ASMSTART
	v_dot2_f32_f16 v22, v26, v34, v22
	;;#ASMEND
	s_nop 0
	;;#ASMSTART
	v_dot2_f32_f16 v22, v27, v35, v22
	;;#ASMEND
	s_waitcnt lgkmcnt(6)
	;;#ASMSTART
	v_dot2_f32_f16 v23, v24, v36, v23
	;;#ASMEND
	s_nop 0
	;;#ASMSTART
	v_dot2_f32_f16 v23, v25, v37, v23
	;;#ASMEND
	s_nop 0
	;;#ASMSTART
	v_dot2_f32_f16 v23, v26, v38, v23
	;;#ASMEND
	s_nop 0
	;;#ASMSTART
	v_dot2_f32_f16 v23, v27, v39, v23
	;;#ASMEND
	;; [unrolled: 16-line block ×8, first 2 shown]
	ds_read_b128 v[24:27], v31 offset:48
	ds_read_b128 v[32:35], v30 offset:160
	;; [unrolled: 1-line block ×9, first 2 shown]
	s_waitcnt lgkmcnt(7)
	;;#ASMSTART
	v_dot2_f32_f16 v22, v24, v32, v22
	;;#ASMEND
	s_nop 0
	;;#ASMSTART
	v_dot2_f32_f16 v22, v25, v33, v22
	;;#ASMEND
	s_nop 0
	;;#ASMSTART
	v_dot2_f32_f16 v22, v26, v34, v22
	;;#ASMEND
	s_nop 0
	;;#ASMSTART
	v_dot2_f32_f16 v22, v27, v35, v22
	;;#ASMEND
	s_waitcnt lgkmcnt(6)
	;;#ASMSTART
	v_dot2_f32_f16 v23, v24, v36, v23
	;;#ASMEND
	s_nop 0
	;;#ASMSTART
	v_dot2_f32_f16 v23, v25, v37, v23
	;;#ASMEND
	s_nop 0
	;;#ASMSTART
	v_dot2_f32_f16 v23, v26, v38, v23
	;;#ASMEND
	s_nop 0
	;;#ASMSTART
	v_dot2_f32_f16 v23, v27, v39, v23
	;;#ASMEND
	;; [unrolled: 16-line block ×8, first 2 shown]
	ds_read_b128 v[24:27], v31 offset:64
	ds_read_b128 v[32:35], v30 offset:176
	;; [unrolled: 1-line block ×9, first 2 shown]
	s_waitcnt lgkmcnt(7)
	;;#ASMSTART
	v_dot2_f32_f16 v22, v24, v32, v22
	;;#ASMEND
	s_nop 0
	;;#ASMSTART
	v_dot2_f32_f16 v22, v25, v33, v22
	;;#ASMEND
	s_nop 0
	;;#ASMSTART
	v_dot2_f32_f16 v22, v26, v34, v22
	;;#ASMEND
	s_nop 0
	;;#ASMSTART
	v_dot2_f32_f16 v22, v27, v35, v22
	;;#ASMEND
	s_waitcnt lgkmcnt(6)
	;;#ASMSTART
	v_dot2_f32_f16 v23, v24, v36, v23
	;;#ASMEND
	s_nop 0
	;;#ASMSTART
	v_dot2_f32_f16 v23, v25, v37, v23
	;;#ASMEND
	s_nop 0
	;;#ASMSTART
	v_dot2_f32_f16 v23, v26, v38, v23
	;;#ASMEND
	s_nop 0
	;;#ASMSTART
	v_dot2_f32_f16 v23, v27, v39, v23
	;;#ASMEND
	;; [unrolled: 16-line block ×8, first 2 shown]
	ds_read_b128 v[24:27], v31 offset:80
	ds_read_b128 v[32:35], v30 offset:192
	ds_read_b128 v[36:39], v30 offset:416
	ds_read_b128 v[40:43], v30 offset:640
	ds_read_b128 v[44:47], v30 offset:864
	ds_read_b128 v[48:51], v30 offset:1088
	ds_read_b128 v[52:55], v30 offset:1312
	ds_read_b128 v[56:59], v30 offset:1536
	ds_read_b128 v[60:63], v30 offset:1760
	s_waitcnt lgkmcnt(7)
	;;#ASMSTART
	v_dot2_f32_f16 v22, v24, v32, v22
	;;#ASMEND
	s_nop 0
	;;#ASMSTART
	v_dot2_f32_f16 v22, v25, v33, v22
	;;#ASMEND
	s_nop 0
	;;#ASMSTART
	v_dot2_f32_f16 v22, v26, v34, v22
	;;#ASMEND
	s_nop 0
	;;#ASMSTART
	v_dot2_f32_f16 v22, v27, v35, v22
	;;#ASMEND
	s_waitcnt lgkmcnt(6)
	;;#ASMSTART
	v_dot2_f32_f16 v23, v24, v36, v23
	;;#ASMEND
	s_nop 0
	;;#ASMSTART
	v_dot2_f32_f16 v23, v25, v37, v23
	;;#ASMEND
	s_nop 0
	;;#ASMSTART
	v_dot2_f32_f16 v23, v26, v38, v23
	;;#ASMEND
	s_nop 0
	;;#ASMSTART
	v_dot2_f32_f16 v23, v27, v39, v23
	;;#ASMEND
	;; [unrolled: 16-line block ×8, first 2 shown]
	ds_read_b128 v[24:27], v31 offset:96
	ds_read_b128 v[32:35], v30 offset:208
	;; [unrolled: 1-line block ×9, first 2 shown]
	s_waitcnt lgkmcnt(7)
	;;#ASMSTART
	v_dot2_f32_f16 v22, v24, v32, v22
	;;#ASMEND
	v_add_u32_e32 v32, s71, v161
	;;#ASMSTART
	v_dot2_f32_f16 v22, v25, v33, v22
	;;#ASMEND
	v_mov_b32_e32 v33, v8
	;;#ASMSTART
	v_dot2_f32_f16 v22, v26, v34, v22
	;;#ASMEND
	s_nop 0
	;;#ASMSTART
	v_dot2_f32_f16 v22, v27, v35, v22
	;;#ASMEND
	s_waitcnt lgkmcnt(6)
	;;#ASMSTART
	v_dot2_f32_f16 v23, v24, v36, v23
	;;#ASMEND
	s_nop 0
	;;#ASMSTART
	v_dot2_f32_f16 v23, v25, v37, v23
	;;#ASMEND
	s_nop 0
	;;#ASMSTART
	v_dot2_f32_f16 v23, v26, v38, v23
	;;#ASMEND
	s_nop 0
	;;#ASMSTART
	v_dot2_f32_f16 v23, v27, v39, v23
	;;#ASMEND
	s_waitcnt lgkmcnt(5)
	;;#ASMSTART
	v_dot2_f32_f16 v20, v24, v40, v20
	;;#ASMEND
	s_nop 0
	;;#ASMSTART
	v_dot2_f32_f16 v20, v25, v41, v20
	;;#ASMEND
	s_nop 0
	;; [unrolled: 16-line block ×6, first 2 shown]
	;;#ASMSTART
	v_dot2_f32_f16 v16, v26, v58, v16
	;;#ASMEND
	s_nop 0
	;;#ASMSTART
	v_dot2_f32_f16 v16, v27, v59, v16
	;;#ASMEND
	s_waitcnt lgkmcnt(0)
	;;#ASMSTART
	v_dot2_f32_f16 v17, v24, v28, v17
	;;#ASMEND
	v_cndmask_b32_e64 v24, 0, 1, s[10:11]
	;;#ASMSTART
	v_dot2_f32_f16 v17, v25, v29, v17
	;;#ASMEND
	v_cmp_ne_u32_e64 s[10:11], 1, v24
	;;#ASMSTART
	v_dot2_f32_f16 v17, v26, v30, v17
	;;#ASMEND
	s_nop 0
	;;#ASMSTART
	v_dot2_f32_f16 v17, v27, v31, v17
	;;#ASMEND
	v_mov_b64_e32 v[30:31], v[14:15]
	v_mov_b64_e32 v[28:29], v[12:13]
	;; [unrolled: 1-line block ×4, first 2 shown]
	s_and_saveexec_b64 s[12:13], s[8:9]
	s_cbranch_execz .LBB52_87
; %bb.81:
	s_and_b64 vcc, exec, s[10:11]
	s_cbranch_vccnz .LBB52_85
; %bb.82:
	scratch_load_dword v25, off, off offset:36 ; 4-byte Folded Reload
	s_waitcnt vmcnt(0)
	v_mul_hi_u32 v24, s64, v25
	v_add_u32_e32 v24, v25, v24
	v_lshrrev_b32_e32 v24, s65, v24
	v_mul_lo_u32 v24, v24, s66
	v_sub_u32_e32 v24, v25, v24
	v_mad_u64_u32 v[24:25], s[14:15], v24, s73, v[32:33]
	v_ashrrev_i32_e32 v25, 31, v24
	v_lshl_add_u64 v[24:25], v[24:25], 1, s[68:69]
	global_load_ushort v24, v[24:25], off
	s_waitcnt vmcnt(0)
	v_cvt_f32_f16_e32 v24, v24
	v_mul_f32_e32 v24, v115, v24
	s_branch .LBB52_86
.LBB52_83:
	s_mov_b64 s[8:9], 0xd0
	v_mov_b32_e32 v36, 0
	v_lshl_add_u64 v[24:25], v[24:25], 0, s[8:9]
	v_mov_b32_e32 v35, s15
	v_mov_b32_e32 v37, v36
	;; [unrolled: 1-line block ×3, first 2 shown]
	v_cndmask_b32_e32 v25, v35, v25, vcc
	v_mov_b32_e32 v35, 0
	scratch_store_dword off, v36, off
	scratch_store_dwordx3 off, v[36:38], off offset:4
	v_cndmask_b32_e32 v24, v35, v24, vcc
	flat_load_dwordx4 v[36:39], v[24:25]
	s_waitcnt vmcnt(0) lgkmcnt(0)
	ds_write_b128 v32, v[36:39]
	s_or_b64 exec, exec, s[20:21]
	s_and_saveexec_b64 s[8:9], s[10:11]
	s_cbranch_execz .LBB52_78
.LBB52_84:
	v_mov_b32_e32 v36, 0
	v_mov_b32_e32 v125, v36
	v_lshl_add_u64 v[24:25], v[26:27], 0, v[124:125]
	s_mov_b64 s[10:11], 0xb0
	v_lshl_add_u64 v[24:25], v[24:25], 0, s[10:11]
	v_mov_b32_e32 v26, s17
	v_mov_b32_e32 v37, v36
	;; [unrolled: 1-line block ×3, first 2 shown]
	v_cndmask_b32_e64 v25, v26, v25, s[4:5]
	v_mov_b32_e32 v26, 0
	scratch_store_dword off, v36, off
	scratch_store_dwordx3 off, v[36:38], off offset:4
	v_cndmask_b32_e64 v24, v26, v24, s[4:5]
	flat_load_dwordx4 v[24:27], v[24:25]
	s_waitcnt vmcnt(0) lgkmcnt(0)
	ds_write_b128 v33, v[24:27]
	s_or_b64 exec, exec, s[8:9]
	s_and_saveexec_b64 s[8:9], s[12:13]
	s_cbranch_execnz .LBB52_79
	s_branch .LBB52_80
.LBB52_85:
	v_mov_b32_e32 v24, 0
.LBB52_86:
	v_add_f32_e32 v22, v22, v24
	v_add_f32_e32 v24, 0x40051340, v22
	v_max_f32_e32 v25, v8, v8
	v_max_f32_e32 v33, v25, v24
	v_mov_b64_e32 v[30:31], v[14:15]
	v_mov_b64_e32 v[28:29], v[12:13]
	;; [unrolled: 1-line block ×4, first 2 shown]
.LBB52_87:
	s_or_b64 exec, exec, s[12:13]
	v_mbcnt_lo_u32_b32 v24, -1, 0
	v_mbcnt_hi_u32_b32 v138, -1, v24
	v_and_b32_e32 v24, 0x60, v138
	v_add_u32_e32 v139, 32, v24
	v_xor_b32_e32 v141, 16, v138
	v_cmp_lt_i32_e32 vcc, v141, v139
	v_xor_b32_e32 v144, 8, v138
	v_xor_b32_e32 v142, 4, v138
	v_cndmask_b32_e32 v24, v138, v141, vcc
	v_lshlrev_b32_e32 v36, 2, v24
	ds_bpermute_b32 v24, v36, v33
	v_cmp_lt_i32_e32 vcc, v144, v139
	v_max_f32_e32 v33, v33, v33
	v_xor_b32_e32 v143, 2, v138
	v_cndmask_b32_e32 v34, v138, v144, vcc
	s_waitcnt lgkmcnt(0)
	v_max_f32_e32 v24, v24, v24
	v_lshlrev_b32_e32 v37, 2, v34
	v_max_f32_e32 v24, v33, v24
	ds_bpermute_b32 v34, v37, v24
	v_cmp_lt_i32_e32 vcc, v142, v139
	v_xor_b32_e32 v140, 1, v138
	s_waitcnt lgkmcnt(0)
	v_max_f32_e32 v34, v34, v34
	v_cndmask_b32_e32 v33, v138, v142, vcc
	v_lshlrev_b32_e32 v33, 2, v33
	v_max_f32_e32 v24, v24, v34
	ds_bpermute_b32 v35, v33, v24
	v_cmp_lt_i32_e32 vcc, v143, v139
	s_waitcnt lgkmcnt(0)
	v_max_f32_e32 v35, v35, v35
	v_cndmask_b32_e32 v34, v138, v143, vcc
	v_lshlrev_b32_e32 v34, 2, v34
	v_max_f32_e32 v24, v24, v35
	ds_bpermute_b32 v38, v34, v24
	v_cmp_lt_i32_e32 vcc, v140, v139
	s_waitcnt lgkmcnt(0)
	v_max_f32_e32 v38, v38, v38
	v_cndmask_b32_e32 v35, v138, v140, vcc
	v_lshlrev_b32_e32 v35, 2, v35
	v_max_f32_e32 v24, v24, v38
	ds_bpermute_b32 v38, v35, v24
	s_waitcnt lgkmcnt(0)
	v_max_f32_e32 v38, v38, v38
	v_max_f32_e32 v24, v24, v38
	s_and_saveexec_b64 s[12:13], s[8:9]
	s_cbranch_execz .LBB52_92
; %bb.88:
	s_and_b64 vcc, exec, s[10:11]
	s_cbranch_vccnz .LBB52_90
; %bb.89:
	scratch_load_dword v38, off, off offset:36 ; 4-byte Folded Reload
	s_waitcnt vmcnt(0)
	v_or_b32_e32 v38, 1, v38
	v_mul_hi_u32 v39, s64, v38
	v_add_u32_e32 v39, v38, v39
	v_lshrrev_b32_e32 v39, s65, v39
	v_mul_lo_u32 v39, v39, s66
	v_sub_u32_e32 v38, v38, v39
	v_mad_u64_u32 v[38:39], s[14:15], v38, s73, v[32:33]
	v_ashrrev_i32_e32 v39, 31, v38
	v_lshl_add_u64 v[38:39], v[38:39], 1, s[68:69]
	global_load_ushort v38, v[38:39], off
	s_waitcnt vmcnt(0)
	v_cvt_f32_f16_e32 v38, v38
	v_mul_f32_e32 v38, v115, v38
	s_branch .LBB52_91
.LBB52_90:
	v_mov_b32_e32 v38, 0
.LBB52_91:
	v_add_f32_e32 v23, v23, v38
	v_add_f32_e32 v38, 0x40051340, v23
	v_max_f32_e32 v25, v25, v25
	v_max_f32_e32 v25, v25, v38
.LBB52_92:
	s_or_b64 exec, exec, s[12:13]
	ds_bpermute_b32 v38, v36, v25
	v_max_f32_e32 v25, v25, v25
	s_waitcnt lgkmcnt(0)
	v_max_f32_e32 v38, v38, v38
	v_max_f32_e32 v25, v25, v38
	ds_bpermute_b32 v38, v37, v25
	s_waitcnt lgkmcnt(0)
	v_max_f32_e32 v38, v38, v38
	v_max_f32_e32 v25, v25, v38
	ds_bpermute_b32 v38, v33, v25
	s_waitcnt lgkmcnt(0)
	v_max_f32_e32 v38, v38, v38
	v_max_f32_e32 v25, v25, v38
	ds_bpermute_b32 v38, v34, v25
	s_waitcnt lgkmcnt(0)
	v_max_f32_e32 v38, v38, v38
	v_max_f32_e32 v25, v25, v38
	ds_bpermute_b32 v38, v35, v25
	s_waitcnt lgkmcnt(0)
	v_max_f32_e32 v38, v38, v38
	v_max_f32_e32 v25, v25, v38
	s_and_saveexec_b64 s[12:13], s[8:9]
	s_cbranch_execz .LBB52_97
; %bb.93:
	s_and_b64 vcc, exec, s[10:11]
	s_cbranch_vccnz .LBB52_95
; %bb.94:
	scratch_load_dword v38, off, off offset:36 ; 4-byte Folded Reload
	s_waitcnt vmcnt(0)
	v_or_b32_e32 v38, 2, v38
	v_mul_hi_u32 v39, s64, v38
	v_add_u32_e32 v39, v38, v39
	v_lshrrev_b32_e32 v39, s65, v39
	v_mul_lo_u32 v39, v39, s66
	v_sub_u32_e32 v38, v38, v39
	v_mad_u64_u32 v[38:39], s[14:15], v38, s73, v[32:33]
	v_ashrrev_i32_e32 v39, 31, v38
	v_lshl_add_u64 v[38:39], v[38:39], 1, s[68:69]
	global_load_ushort v38, v[38:39], off
	s_waitcnt vmcnt(0)
	v_cvt_f32_f16_e32 v38, v38
	v_mul_f32_e32 v38, v115, v38
	s_branch .LBB52_96
.LBB52_95:
	v_mov_b32_e32 v38, 0
.LBB52_96:
	v_add_f32_e32 v20, v20, v38
	v_add_f32_e32 v38, 0x40051340, v20
	v_max_f32_e32 v26, v26, v26
	v_max_f32_e32 v26, v26, v38
.LBB52_97:
	s_or_b64 exec, exec, s[12:13]
	ds_bpermute_b32 v38, v36, v26
	v_max_f32_e32 v26, v26, v26
	s_waitcnt lgkmcnt(0)
	v_max_f32_e32 v38, v38, v38
	v_max_f32_e32 v26, v26, v38
	ds_bpermute_b32 v38, v37, v26
	s_waitcnt lgkmcnt(0)
	v_max_f32_e32 v38, v38, v38
	v_max_f32_e32 v26, v26, v38
	ds_bpermute_b32 v38, v33, v26
	s_waitcnt lgkmcnt(0)
	v_max_f32_e32 v38, v38, v38
	v_max_f32_e32 v26, v26, v38
	ds_bpermute_b32 v38, v34, v26
	s_waitcnt lgkmcnt(0)
	v_max_f32_e32 v38, v38, v38
	v_max_f32_e32 v26, v26, v38
	ds_bpermute_b32 v38, v35, v26
	s_waitcnt lgkmcnt(0)
	v_max_f32_e32 v38, v38, v38
	v_max_f32_e32 v26, v26, v38
	s_and_saveexec_b64 s[12:13], s[8:9]
	s_cbranch_execz .LBB52_102
; %bb.98:
	s_and_b64 vcc, exec, s[10:11]
	s_cbranch_vccnz .LBB52_100
; %bb.99:
	scratch_load_dword v38, off, off offset:36 ; 4-byte Folded Reload
	s_waitcnt vmcnt(0)
	v_or_b32_e32 v38, 3, v38
	v_mul_hi_u32 v39, s64, v38
	v_add_u32_e32 v39, v38, v39
	v_lshrrev_b32_e32 v39, s65, v39
	v_mul_lo_u32 v39, v39, s66
	v_sub_u32_e32 v38, v38, v39
	v_mad_u64_u32 v[38:39], s[14:15], v38, s73, v[32:33]
	v_ashrrev_i32_e32 v39, 31, v38
	v_lshl_add_u64 v[38:39], v[38:39], 1, s[68:69]
	global_load_ushort v38, v[38:39], off
	s_waitcnt vmcnt(0)
	v_cvt_f32_f16_e32 v38, v38
	v_mul_f32_e32 v38, v115, v38
	s_branch .LBB52_101
.LBB52_100:
	v_mov_b32_e32 v38, 0
.LBB52_101:
	v_add_f32_e32 v21, v21, v38
	v_add_f32_e32 v38, 0x40051340, v21
	v_max_f32_e32 v27, v27, v27
	v_max_f32_e32 v27, v27, v38
.LBB52_102:
	s_or_b64 exec, exec, s[12:13]
	ds_bpermute_b32 v38, v36, v27
	v_max_f32_e32 v27, v27, v27
	s_waitcnt lgkmcnt(0)
	v_max_f32_e32 v38, v38, v38
	v_max_f32_e32 v27, v27, v38
	ds_bpermute_b32 v38, v37, v27
	s_waitcnt lgkmcnt(0)
	v_max_f32_e32 v38, v38, v38
	v_max_f32_e32 v27, v27, v38
	ds_bpermute_b32 v38, v33, v27
	s_waitcnt lgkmcnt(0)
	v_max_f32_e32 v38, v38, v38
	v_max_f32_e32 v27, v27, v38
	ds_bpermute_b32 v38, v34, v27
	s_waitcnt lgkmcnt(0)
	v_max_f32_e32 v38, v38, v38
	v_max_f32_e32 v27, v27, v38
	ds_bpermute_b32 v38, v35, v27
	s_waitcnt lgkmcnt(0)
	v_max_f32_e32 v38, v38, v38
	v_max_f32_e32 v27, v27, v38
	s_and_saveexec_b64 s[12:13], s[8:9]
	s_cbranch_execz .LBB52_107
; %bb.103:
	s_and_b64 vcc, exec, s[10:11]
	s_cbranch_vccnz .LBB52_105
; %bb.104:
	scratch_load_dword v38, off, off offset:36 ; 4-byte Folded Reload
	s_waitcnt vmcnt(0)
	v_or_b32_e32 v38, 4, v38
	v_mul_hi_u32 v39, s64, v38
	v_add_u32_e32 v39, v38, v39
	v_lshrrev_b32_e32 v39, s65, v39
	v_mul_lo_u32 v39, v39, s66
	v_sub_u32_e32 v38, v38, v39
	v_mad_u64_u32 v[38:39], s[14:15], v38, s73, v[32:33]
	v_ashrrev_i32_e32 v39, 31, v38
	v_lshl_add_u64 v[38:39], v[38:39], 1, s[68:69]
	global_load_ushort v38, v[38:39], off
	s_waitcnt vmcnt(0)
	v_cvt_f32_f16_e32 v38, v38
	v_mul_f32_e32 v38, v115, v38
	s_branch .LBB52_106
.LBB52_105:
	v_mov_b32_e32 v38, 0
.LBB52_106:
	v_add_f32_e32 v18, v18, v38
	v_add_f32_e32 v38, 0x40051340, v18
	v_max_f32_e32 v28, v28, v28
	v_max_f32_e32 v28, v28, v38
.LBB52_107:
	s_or_b64 exec, exec, s[12:13]
	ds_bpermute_b32 v38, v36, v28
	v_max_f32_e32 v28, v28, v28
	s_waitcnt lgkmcnt(0)
	v_max_f32_e32 v38, v38, v38
	v_max_f32_e32 v28, v28, v38
	ds_bpermute_b32 v38, v37, v28
	s_waitcnt lgkmcnt(0)
	v_max_f32_e32 v38, v38, v38
	v_max_f32_e32 v28, v28, v38
	ds_bpermute_b32 v38, v33, v28
	s_waitcnt lgkmcnt(0)
	v_max_f32_e32 v38, v38, v38
	v_max_f32_e32 v28, v28, v38
	ds_bpermute_b32 v38, v34, v28
	s_waitcnt lgkmcnt(0)
	v_max_f32_e32 v38, v38, v38
	v_max_f32_e32 v28, v28, v38
	ds_bpermute_b32 v38, v35, v28
	s_waitcnt lgkmcnt(0)
	v_max_f32_e32 v38, v38, v38
	v_max_f32_e32 v28, v28, v38
	s_and_saveexec_b64 s[12:13], s[8:9]
	s_cbranch_execz .LBB52_112
; %bb.108:
	s_and_b64 vcc, exec, s[10:11]
	s_cbranch_vccnz .LBB52_110
; %bb.109:
	scratch_load_dword v38, off, off offset:36 ; 4-byte Folded Reload
	s_waitcnt vmcnt(0)
	v_or_b32_e32 v38, 5, v38
	v_mul_hi_u32 v39, s64, v38
	v_add_u32_e32 v39, v38, v39
	v_lshrrev_b32_e32 v39, s65, v39
	v_mul_lo_u32 v39, v39, s66
	v_sub_u32_e32 v38, v38, v39
	v_mad_u64_u32 v[38:39], s[14:15], v38, s73, v[32:33]
	v_ashrrev_i32_e32 v39, 31, v38
	v_lshl_add_u64 v[38:39], v[38:39], 1, s[68:69]
	global_load_ushort v38, v[38:39], off
	s_waitcnt vmcnt(0)
	v_cvt_f32_f16_e32 v38, v38
	v_mul_f32_e32 v38, v115, v38
	s_branch .LBB52_111
.LBB52_110:
	v_mov_b32_e32 v38, 0
.LBB52_111:
	v_add_f32_e32 v19, v19, v38
	v_add_f32_e32 v38, 0x40051340, v19
	v_max_f32_e32 v29, v29, v29
	v_max_f32_e32 v29, v29, v38
.LBB52_112:
	s_or_b64 exec, exec, s[12:13]
	ds_bpermute_b32 v38, v36, v29
	v_max_f32_e32 v29, v29, v29
	s_waitcnt lgkmcnt(0)
	v_max_f32_e32 v38, v38, v38
	v_max_f32_e32 v29, v29, v38
	ds_bpermute_b32 v38, v37, v29
	s_waitcnt lgkmcnt(0)
	v_max_f32_e32 v38, v38, v38
	v_max_f32_e32 v29, v29, v38
	ds_bpermute_b32 v38, v33, v29
	s_waitcnt lgkmcnt(0)
	v_max_f32_e32 v38, v38, v38
	v_max_f32_e32 v29, v29, v38
	ds_bpermute_b32 v38, v34, v29
	s_waitcnt lgkmcnt(0)
	v_max_f32_e32 v38, v38, v38
	v_max_f32_e32 v29, v29, v38
	ds_bpermute_b32 v38, v35, v29
	s_waitcnt lgkmcnt(0)
	v_max_f32_e32 v38, v38, v38
	v_max_f32_e32 v29, v29, v38
	s_and_saveexec_b64 s[12:13], s[8:9]
	s_cbranch_execz .LBB52_117
; %bb.113:
	s_and_b64 vcc, exec, s[10:11]
	s_cbranch_vccnz .LBB52_115
; %bb.114:
	scratch_load_dword v38, off, off offset:36 ; 4-byte Folded Reload
	s_waitcnt vmcnt(0)
	v_or_b32_e32 v38, 6, v38
	v_mul_hi_u32 v39, s64, v38
	v_add_u32_e32 v39, v38, v39
	v_lshrrev_b32_e32 v39, s65, v39
	v_mul_lo_u32 v39, v39, s66
	v_sub_u32_e32 v38, v38, v39
	v_mad_u64_u32 v[38:39], s[14:15], v38, s73, v[32:33]
	v_ashrrev_i32_e32 v39, 31, v38
	v_lshl_add_u64 v[38:39], v[38:39], 1, s[68:69]
	global_load_ushort v38, v[38:39], off
	s_waitcnt vmcnt(0)
	v_cvt_f32_f16_e32 v38, v38
	v_mul_f32_e32 v38, v115, v38
	s_branch .LBB52_116
.LBB52_115:
	v_mov_b32_e32 v38, 0
.LBB52_116:
	v_add_f32_e32 v16, v16, v38
	v_add_f32_e32 v38, 0x40051340, v16
	v_max_f32_e32 v30, v30, v30
	v_max_f32_e32 v30, v30, v38
.LBB52_117:
	s_or_b64 exec, exec, s[12:13]
	ds_bpermute_b32 v38, v36, v30
	v_max_f32_e32 v30, v30, v30
	s_waitcnt lgkmcnt(0)
	v_max_f32_e32 v38, v38, v38
	v_max_f32_e32 v30, v30, v38
	ds_bpermute_b32 v38, v37, v30
	s_waitcnt lgkmcnt(0)
	v_max_f32_e32 v38, v38, v38
	v_max_f32_e32 v30, v30, v38
	ds_bpermute_b32 v38, v33, v30
	s_waitcnt lgkmcnt(0)
	v_max_f32_e32 v38, v38, v38
	v_max_f32_e32 v30, v30, v38
	ds_bpermute_b32 v38, v34, v30
	s_waitcnt lgkmcnt(0)
	v_max_f32_e32 v38, v38, v38
	v_max_f32_e32 v30, v30, v38
	ds_bpermute_b32 v38, v35, v30
	s_waitcnt lgkmcnt(0)
	v_max_f32_e32 v38, v38, v38
	v_max_f32_e32 v30, v30, v38
	s_and_saveexec_b64 s[12:13], s[8:9]
	s_cbranch_execz .LBB52_122
; %bb.118:
	s_and_b64 vcc, exec, s[10:11]
	s_cbranch_vccnz .LBB52_120
; %bb.119:
	scratch_load_dword v38, off, off offset:36 ; 4-byte Folded Reload
	s_waitcnt vmcnt(0)
	v_or_b32_e32 v38, 7, v38
	v_mul_hi_u32 v39, s64, v38
	v_add_u32_e32 v39, v38, v39
	v_lshrrev_b32_e32 v39, s65, v39
	v_mul_lo_u32 v39, v39, s66
	v_sub_u32_e32 v38, v38, v39
	v_mad_u64_u32 v[38:39], s[8:9], v38, s73, v[32:33]
	v_ashrrev_i32_e32 v39, 31, v38
	v_lshl_add_u64 v[38:39], v[38:39], 1, s[68:69]
	global_load_ushort v32, v[38:39], off
	s_waitcnt vmcnt(0)
	v_cvt_f32_f16_e32 v32, v32
	v_mul_f32_e32 v32, v115, v32
	s_branch .LBB52_121
.LBB52_120:
	v_mov_b32_e32 v32, 0
.LBB52_121:
	v_add_f32_e32 v17, v17, v32
	v_add_f32_e32 v32, 0x40051340, v17
	v_max_f32_e32 v31, v31, v31
	v_max_f32_e32 v31, v31, v32
.LBB52_122:
	s_or_b64 exec, exec, s[12:13]
	ds_bpermute_b32 v32, v36, v31
	v_max_f32_e32 v31, v31, v31
	s_mov_b64 s[10:11], src_private_base
	v_sub_f32_e32 v22, v22, v24
	s_mov_b32 s10, 0x3fb8aa3b
	s_waitcnt lgkmcnt(0)
	v_max_f32_e32 v32, v32, v32
	v_max_f32_e32 v31, v31, v32
	ds_bpermute_b32 v32, v37, v31
	v_sub_f32_e32 v23, v23, v25
	s_mov_b32 s12, 0xc2ce8ed0
	s_mov_b32 s13, 0x42b17218
	v_cmp_ngt_f32_e32 vcc, s12, v22
	s_waitcnt lgkmcnt(0)
	v_max_f32_e32 v32, v32, v32
	v_max_f32_e32 v31, v31, v32
	ds_bpermute_b32 v32, v33, v31
	v_mul_f32_e32 v33, 0x3fb8aa3b, v22
	v_fma_f32 v36, v22, s10, -v33
	v_rndne_f32_e32 v37, v33
	v_fmac_f32_e32 v36, 0x32a5705f, v22
	s_waitcnt lgkmcnt(0)
	v_max_f32_e32 v32, v32, v32
	v_max_f32_e32 v31, v31, v32
	ds_bpermute_b32 v32, v34, v31
	v_sub_f32_e32 v33, v33, v37
	v_add_f32_e32 v33, v33, v36
	v_cvt_i32_f32_e32 v34, v37
	v_exp_f32_e32 v33, v33
	s_waitcnt lgkmcnt(0)
	v_max_f32_e32 v32, v32, v32
	v_max_f32_e32 v31, v31, v32
	ds_bpermute_b32 v32, v35, v31
	v_ldexp_f32 v33, v33, v34
	v_cndmask_b32_e32 v33, 0, v33, vcc
	v_mov_b32_e32 v39, 0x7f800000
	v_cmp_nlt_f32_e32 vcc, s13, v22
	s_waitcnt lgkmcnt(0)
	v_max_f32_e32 v32, v32, v32
	v_max_f32_e32 v31, v31, v32
	v_mul_f32_e32 v32, 0x3fb8aa3b, v23
	v_fma_f32 v34, v23, s10, -v32
	v_rndne_f32_e32 v35, v32
	v_fmac_f32_e32 v34, 0x32a5705f, v23
	v_sub_f32_e32 v32, v32, v35
	v_add_f32_e32 v32, v32, v34
	v_exp_f32_e32 v34, v32
	v_cvt_i32_f32_e32 v35, v35
	v_sub_f32_e32 v20, v20, v26
	v_cndmask_b32_e32 v22, v39, v33, vcc
	v_cmp_gt_u32_e32 vcc, s22, v161
	v_mul_f32_e32 v33, 0x3fb8aa3b, v20
	v_cmp_ngt_f32_e64 s[8:9], s12, v23
	v_cndmask_b32_e32 v32, 0, v22, vcc
	v_ldexp_f32 v22, v34, v35
	v_fma_f32 v34, v20, s10, -v33
	v_rndne_f32_e32 v35, v33
	v_fmac_f32_e32 v34, 0x32a5705f, v20
	v_sub_f32_e32 v33, v33, v35
	v_add_f32_e32 v33, v33, v34
	v_exp_f32_e32 v34, v33
	v_cvt_i32_f32_e32 v35, v35
	v_cndmask_b32_e64 v22, 0, v22, s[8:9]
	v_cmp_nlt_f32_e64 s[8:9], s13, v23
	v_sub_f32_e32 v21, v21, v27
	v_mul_f32_e32 v23, 0x3fb8aa3b, v21
	v_cndmask_b32_e64 v22, v39, v22, s[8:9]
	v_cndmask_b32_e32 v33, 0, v22, vcc
	v_ldexp_f32 v22, v34, v35
	v_fma_f32 v34, v21, s10, -v23
	v_rndne_f32_e32 v35, v23
	v_fmac_f32_e32 v34, 0x32a5705f, v21
	v_sub_f32_e32 v23, v23, v35
	v_add_f32_e32 v23, v23, v34
	v_exp_f32_e32 v23, v23
	v_cvt_i32_f32_e32 v35, v35
	v_cmp_ngt_f32_e64 s[8:9], s12, v20
	v_sub_f32_e32 v18, v18, v28
	v_sub_f32_e32 v19, v19, v29
	v_cndmask_b32_e64 v22, 0, v22, s[8:9]
	v_cmp_nlt_f32_e64 s[8:9], s13, v20
	v_sub_f32_e32 v16, v16, v30
	v_sub_f32_e32 v17, v17, v31
	v_cndmask_b32_e64 v20, v39, v22, s[8:9]
	v_mul_f32_e32 v22, 0x3fb8aa3b, v18
	v_cndmask_b32_e32 v34, 0, v20, vcc
	v_ldexp_f32 v20, v23, v35
	v_fma_f32 v23, v18, s10, -v22
	v_rndne_f32_e32 v35, v22
	v_fmac_f32_e32 v23, 0x32a5705f, v18
	v_sub_f32_e32 v22, v22, v35
	v_add_f32_e32 v22, v22, v23
	v_exp_f32_e32 v22, v22
	v_cvt_i32_f32_e32 v23, v35
	v_cmp_ngt_f32_e64 s[8:9], s12, v21
	s_barrier
	s_nop 0
	v_cndmask_b32_e64 v20, 0, v20, s[8:9]
	v_cmp_nlt_f32_e64 s[8:9], s13, v21
	v_mul_f32_e32 v21, 0x3fb8aa3b, v19
	s_nop 0
	v_cndmask_b32_e64 v20, v39, v20, s[8:9]
	v_cndmask_b32_e32 v35, 0, v20, vcc
	v_ldexp_f32 v20, v22, v23
	v_fma_f32 v22, v19, s10, -v21
	v_rndne_f32_e32 v23, v21
	v_fmac_f32_e32 v22, 0x32a5705f, v19
	v_sub_f32_e32 v21, v21, v23
	v_add_f32_e32 v21, v21, v22
	v_exp_f32_e32 v21, v21
	v_cvt_i32_f32_e32 v22, v23
	v_cmp_ngt_f32_e64 s[8:9], s12, v18
	v_mul_lo_u32 v132, s2, v136
	v_ashrrev_i32_e32 v133, 31, v132
	v_cndmask_b32_e64 v20, 0, v20, s[8:9]
	v_cmp_nlt_f32_e64 s[8:9], s13, v18
	s_nop 1
	v_cndmask_b32_e64 v18, v39, v20, s[8:9]
	v_mul_f32_e32 v20, 0x3fb8aa3b, v16
	v_cndmask_b32_e32 v36, 0, v18, vcc
	v_ldexp_f32 v18, v21, v22
	v_fma_f32 v21, v16, s10, -v20
	v_rndne_f32_e32 v22, v20
	v_fmac_f32_e32 v21, 0x32a5705f, v16
	v_sub_f32_e32 v20, v20, v22
	v_add_f32_e32 v20, v20, v21
	v_exp_f32_e32 v20, v20
	v_cvt_i32_f32_e32 v21, v22
	v_cmp_ngt_f32_e64 s[8:9], s12, v19
	s_nop 1
	v_cndmask_b32_e64 v18, 0, v18, s[8:9]
	v_cmp_nlt_f32_e64 s[8:9], s13, v19
	v_mul_f32_e32 v19, 0x3fb8aa3b, v17
	s_nop 0
	v_cndmask_b32_e64 v18, v39, v18, s[8:9]
	v_cndmask_b32_e32 v37, 0, v18, vcc
	v_ldexp_f32 v18, v20, v21
	v_fma_f32 v20, v17, s10, -v19
	v_rndne_f32_e32 v21, v19
	v_fmac_f32_e32 v20, 0x32a5705f, v17
	v_sub_f32_e32 v19, v19, v21
	v_add_f32_e32 v19, v19, v20
	v_exp_f32_e32 v19, v19
	v_cvt_i32_f32_e32 v20, v21
	v_cmp_ngt_f32_e64 s[8:9], s12, v16
	s_nop 1
	v_cndmask_b32_e64 v18, 0, v18, s[8:9]
	v_cmp_nlt_f32_e64 s[8:9], s13, v16
	s_nop 1
	v_cndmask_b32_e64 v16, v39, v18, s[8:9]
	v_cndmask_b32_e32 v38, 0, v16, vcc
	v_ldexp_f32 v16, v19, v20
	v_cmp_ngt_f32_e64 s[8:9], s12, v17
	v_cvt_pk_f16_f32 v18, v36, v37
	s_mul_i32 s12, s71, s2
	v_cndmask_b32_e64 v16, 0, v16, s[8:9]
	v_cmp_nlt_f32_e64 s[8:9], s13, v17
	v_cvt_pk_f16_f32 v17, v34, v35
	s_mul_hi_i32 s13, s71, s2
	v_cndmask_b32_e64 v16, v39, v16, s[8:9]
	v_cndmask_b32_e32 v39, 0, v16, vcc
	v_mov_b32_e32 v16, 0x4840
	v_lshl_add_u32 v145, v72, 9, v16
	v_lshl_add_u32 v20, v161, 4, v145
	v_cvt_pk_f16_f32 v19, v38, v39
	v_cvt_pk_f16_f32 v16, v32, v33
	ds_write_b128 v20, v[16:19]
	scratch_load_dwordx2 v[18:19], off, off offset:44 ; 8-byte Folded Reload
	v_mul_u32_u24_e32 v16, 0xe0, v136
	s_lshl_b64 s[12:13], s[12:13], 2
	v_cmp_gt_u32_e64 s[8:9], 16, v136
	v_lshl_add_u64 v[20:21], v[122:123], 0, s[12:13]
	s_waitcnt vmcnt(0)
	v_lshl_or_b32 v16, v18, 2, v16
	v_add_u32_e32 v183, 0x38c0, v16
	s_and_saveexec_b64 s[12:13], s[8:9]
	s_cbranch_execz .LBB52_124
; %bb.123:
	v_mov_b32_e32 v16, 0
	v_mov_b32_e32 v17, v16
	;; [unrolled: 1-line block ×3, first 2 shown]
	scratch_store_dwordx3 off, v[16:18], off offset:4
	v_mov_b32_e32 v125, v16
	scratch_store_dword off, v16, off
	v_lshl_add_u64 v[18:19], v[132:133], 2, v[20:21]
	v_lshl_add_u64 v[16:17], v[18:19], 0, v[124:125]
	s_mov_b64 s[14:15], 0xc0
	v_lshl_add_u64 v[16:17], v[16:17], 0, s[14:15]
	v_mov_b32_e32 v18, s11
	v_cndmask_b32_e64 v17, v18, v17, s[4:5]
	v_mov_b32_e32 v18, 0
	v_cndmask_b32_e64 v16, v18, v16, s[4:5]
	flat_load_dwordx4 v[16:19], v[16:17]
	s_waitcnt vmcnt(0) lgkmcnt(0)
	ds_write_b128 v183, v[16:19]
.LBB52_124:
	s_or_b64 exec, exec, s[12:13]
	v_mul_u32_u24_e32 v16, 0xe0, v137
	s_movk_i32 s10, 0x3880
	v_mul_lo_u32 v134, s2, v137
	s_mov_b64 s[14:15], src_private_base
	v_cmp_gt_u32_e64 s[4:5], 16, v137
	v_add3_u32 v184, v16, v126, s10
	v_ashrrev_i32_e32 v135, 31, v134
	s_and_saveexec_b64 s[12:13], s[4:5]
	s_cbranch_execz .LBB52_126
; %bb.125:
	v_mov_b32_e32 v16, 0
	v_mov_b32_e32 v17, v16
	;; [unrolled: 1-line block ×3, first 2 shown]
	scratch_store_dwordx3 off, v[16:18], off offset:4
	v_mov_b32_e32 v127, v16
	scratch_store_dword off, v16, off
	v_lshl_add_u64 v[18:19], v[134:135], 2, v[20:21]
	v_lshl_add_u64 v[16:17], v[18:19], 0, v[126:127]
	s_mov_b64 s[16:17], 0x80
	v_lshl_add_u64 v[16:17], v[16:17], 0, s[16:17]
	v_mov_b32_e32 v18, s15
	v_cndmask_b32_e64 v17, v18, v17, s[6:7]
	v_mov_b32_e32 v18, 0
	v_cndmask_b32_e64 v16, v18, v16, s[6:7]
	flat_load_dwordx4 v[16:19], v[16:17]
	s_waitcnt vmcnt(0) lgkmcnt(0)
	ds_write_b128 v184, v[16:19]
.LBB52_126:
	s_or_b64 exec, exec, s[12:13]
	scratch_load_dwordx2 v[18:19], off, off offset:16 ; 8-byte Folded Reload
	v_lshrrev_b32_e32 v16, 3, v161
	v_lshl_add_u32 v154, v72, 2, v16
	v_mul_u32_u24_e32 v17, 0xe0, v154
	s_movk_i32 s6, 0x3800
	v_mul_lo_u32 v130, s2, v154
	s_mov_b64 s[12:13], src_private_base
	v_cmp_gt_u32_e32 vcc, 16, v154
	v_mov_b32_e32 v16, 0
	v_ashrrev_i32_e32 v131, 31, v130
	s_waitcnt vmcnt(0)
	v_lshlrev_b32_e32 v128, 2, v18
	v_add3_u32 v155, v17, v128, s6
	s_and_saveexec_b64 s[16:17], vcc
	s_cbranch_execz .LBB52_128
; %bb.127:
	v_mov_b32_e32 v17, v16
	v_mov_b32_e32 v18, v16
	scratch_store_dwordx3 off, v[16:18], off offset:4
	v_mov_b32_e32 v129, v16
	scratch_store_dword off, v16, off
	v_lshl_add_u64 v[18:19], v[130:131], 2, v[20:21]
	v_lshl_add_u64 v[16:17], v[18:19], 0, v[128:129]
	v_mov_b32_e32 v18, s13
	v_cmp_gt_i32_e64 s[6:7], s22, v154
	s_nop 1
	v_cndmask_b32_e64 v17, v18, v17, s[6:7]
	v_mov_b32_e32 v18, 0
	v_cndmask_b32_e64 v16, v18, v16, s[6:7]
	flat_load_dwordx4 v[16:19], v[16:17]
	s_waitcnt vmcnt(0) lgkmcnt(0)
	ds_write_b128 v155, v[16:19]
.LBB52_128:
	s_or_b64 exec, exec, s[16:17]
	v_sub_f32_e32 v8, v8, v24
	s_mov_b32 s10, 0x3fb8aa3b
	v_mul_f32_e32 v16, 0x3fb8aa3b, v8
	v_fma_f32 v17, v8, s10, -v16
	v_rndne_f32_e32 v18, v16
	v_fmac_f32_e32 v17, 0x32a5705f, v8
	v_sub_f32_e32 v16, v16, v18
	v_sub_f32_e32 v9, v9, v25
	v_add_f32_e32 v16, v16, v17
	v_cvt_i32_f32_e32 v17, v18
	v_mul_f32_e32 v18, 0x3fb8aa3b, v9
	v_exp_f32_e32 v16, v16
	v_fma_f32 v19, v9, s10, -v18
	v_rndne_f32_e32 v20, v18
	v_fmac_f32_e32 v19, 0x32a5705f, v9
	v_sub_f32_e32 v18, v18, v20
	v_add_f32_e32 v18, v18, v19
	s_mov_b32 s12, 0xc2ce8ed0
	v_exp_f32_e32 v18, v18
	v_cvt_i32_f32_e32 v19, v20
	v_ldexp_f32 v16, v16, v17
	v_cmp_ngt_f32_e64 s[6:7], s12, v8
	s_mov_b32 s14, 0x42b17218
	v_mov_b32_e32 v17, 0x7f800000
	v_cndmask_b32_e64 v16, 0, v16, s[6:7]
	v_cmp_nlt_f32_e64 s[6:7], s14, v8
	v_sub_f32_e32 v10, v10, v26
	v_ldexp_f32 v8, v18, v19
	v_cndmask_b32_e64 v146, v17, v16, s[6:7]
	v_mul_f32_e32 v16, 0x3fb8aa3b, v10
	v_fma_f32 v18, v10, s10, -v16
	v_rndne_f32_e32 v19, v16
	v_fmac_f32_e32 v18, 0x32a5705f, v10
	v_sub_f32_e32 v16, v16, v19
	v_add_f32_e32 v16, v16, v18
	v_exp_f32_e32 v16, v16
	v_cvt_i32_f32_e32 v18, v19
	v_cmp_ngt_f32_e64 s[6:7], s12, v9
	s_waitcnt lgkmcnt(0)
	s_barrier
	v_cndmask_b32_e64 v8, 0, v8, s[6:7]
	v_cmp_nlt_f32_e64 s[6:7], s14, v9
	v_sub_f32_e32 v9, v11, v27
	v_mul_f32_e32 v11, 0x3fb8aa3b, v9
	v_cndmask_b32_e64 v147, v17, v8, s[6:7]
	v_ldexp_f32 v8, v16, v18
	v_fma_f32 v16, v9, s10, -v11
	v_rndne_f32_e32 v18, v11
	v_fmac_f32_e32 v16, 0x32a5705f, v9
	v_sub_f32_e32 v11, v11, v18
	v_add_f32_e32 v11, v11, v16
	v_exp_f32_e32 v11, v11
	v_cvt_i32_f32_e32 v16, v18
	v_cmp_ngt_f32_e64 s[6:7], s12, v10
	v_cvt_f16_f32_e32 v129, v146
	s_nop 0
	v_cndmask_b32_e64 v8, 0, v8, s[6:7]
	v_cmp_nlt_f32_e64 s[6:7], s14, v10
	v_sub_f32_e32 v10, v12, v28
	v_cvt_f16_f32_e32 v185, v147
	v_cndmask_b32_e64 v148, v17, v8, s[6:7]
	v_ldexp_f32 v8, v11, v16
	v_mul_f32_e32 v11, 0x3fb8aa3b, v10
	v_fma_f32 v12, v10, s10, -v11
	v_rndne_f32_e32 v16, v11
	v_fmac_f32_e32 v12, 0x32a5705f, v10
	v_sub_f32_e32 v11, v11, v16
	v_add_f32_e32 v11, v11, v12
	v_exp_f32_e32 v11, v11
	v_cvt_i32_f32_e32 v12, v16
	v_cmp_ngt_f32_e64 s[6:7], s12, v9
	v_cvt_f16_f32_e32 v186, v148
	s_add_i32 s22, s22, -16
	v_cndmask_b32_e64 v8, 0, v8, s[6:7]
	v_cmp_nlt_f32_e64 s[6:7], s14, v9
	v_sub_f32_e32 v9, v13, v29
	s_nop 0
	v_cndmask_b32_e64 v149, v17, v8, s[6:7]
	v_ldexp_f32 v8, v11, v12
	v_mul_f32_e32 v11, 0x3fb8aa3b, v9
	v_fma_f32 v12, v9, s10, -v11
	v_rndne_f32_e32 v13, v11
	v_fmac_f32_e32 v12, 0x32a5705f, v9
	v_sub_f32_e32 v11, v11, v13
	v_add_f32_e32 v11, v11, v12
	v_exp_f32_e32 v11, v11
	v_cvt_i32_f32_e32 v12, v13
	v_cmp_ngt_f32_e64 s[6:7], s12, v10
	v_cvt_f16_f32_e32 v187, v149
	s_nop 0
	v_cndmask_b32_e64 v8, 0, v8, s[6:7]
	v_cmp_nlt_f32_e64 s[6:7], s14, v10
	v_sub_f32_e32 v10, v14, v30
	s_nop 0
	v_cndmask_b32_e64 v150, v17, v8, s[6:7]
	v_ldexp_f32 v8, v11, v12
	v_mul_f32_e32 v11, 0x3fb8aa3b, v10
	v_fma_f32 v12, v10, s10, -v11
	v_rndne_f32_e32 v13, v11
	v_fmac_f32_e32 v12, 0x32a5705f, v10
	v_sub_f32_e32 v11, v11, v13
	v_add_f32_e32 v11, v11, v12
	v_exp_f32_e32 v11, v11
	v_cvt_i32_f32_e32 v12, v13
	v_cmp_ngt_f32_e64 s[6:7], s12, v9
	v_cvt_f16_f32_e32 v188, v150
	s_nop 0
	;; [unrolled: 17-line block ×3, first 2 shown]
	v_cndmask_b32_e64 v8, 0, v8, s[6:7]
	v_cmp_nlt_f32_e64 s[6:7], s14, v10
	s_nop 1
	v_cndmask_b32_e64 v152, v17, v8, s[6:7]
	v_ldexp_f32 v8, v11, v12
	v_cmp_ngt_f32_e64 s[6:7], s12, v9
	v_cvt_f16_f32_e32 v190, v152
	s_nop 0
	v_cndmask_b32_e64 v8, 0, v8, s[6:7]
	v_cmp_nlt_f32_e64 s[6:7], s14, v9
	v_lshlrev_b32_e32 v9, 3, v161
	s_nop 0
	v_cndmask_b32_e64 v153, v17, v8, s[6:7]
	v_add_u32_e32 v8, 0x3800, v9
	ds_read2_b64 v[52:55], v8 offset1:28
	ds_read_b128 v[116:119], v145
	ds_read_b128 v[112:115], v145 offset:16
	ds_read_b128 v[108:111], v145 offset:32
	;; [unrolled: 1-line block ×3, first 2 shown]
	ds_read2_b64 v[48:51], v8 offset0:56 offset1:84
	ds_read2_b64 v[44:47], v8 offset0:112 offset1:140
	ds_read_b128 v[100:103], v145 offset:64
	ds_read_b128 v[96:99], v145 offset:80
	ds_read2_b64 v[40:43], v8 offset0:168 offset1:196
	ds_read_b128 v[92:95], v145 offset:96
	ds_read_b128 v[88:91], v145 offset:112
	;; [unrolled: 3-line block ×3, first 2 shown]
	v_add_u32_e32 v8, 0x4000, v9
	ds_read2_b64 v[16:19], v8 offset0:24 offset1:52
	ds_read_b128 v[76:79], v145 offset:160
	ds_read_b128 v[72:75], v145 offset:176
	ds_read2_b64 v[12:15], v8 offset0:80 offset1:108
	ds_read_b128 v[68:71], v145 offset:192
	ds_read_b128 v[64:67], v145 offset:208
	;; [unrolled: 3-line block ×3, first 2 shown]
	v_cvt_f16_f32_e32 v191, v153
	s_or_b32 s6, s71, 16
	s_mul_hi_i32 s7, s6, s2
	s_mul_i32 s6, s6, s2
	s_lshl_b64 s[6:7], s[6:7], 2
	v_lshl_add_u64 v[122:123], v[122:123], 0, s[6:7]
	s_waitcnt lgkmcnt(0)
	s_barrier
	s_and_saveexec_b64 s[16:17], s[8:9]
	s_cbranch_execz .LBB52_130
; %bb.129:
	v_mov_b32_e32 v192, 0
	v_lshl_add_u64 v[132:133], v[132:133], 2, v[122:123]
	v_mov_b32_e32 v125, v192
	v_lshl_add_u64 v[124:125], v[132:133], 0, v[124:125]
	s_mov_b64 s[6:7], 0xc0
	v_lshl_add_u64 v[124:125], v[124:125], 0, s[6:7]
	v_mov_b32_e32 v120, s11
	v_cmp_gt_i32_e64 s[6:7], s22, v136
	v_mov_b32_e32 v193, v192
	v_mov_b32_e32 v194, v192
	v_cndmask_b32_e64 v125, v120, v125, s[6:7]
	v_mov_b32_e32 v120, 0
	scratch_store_dword off, v192, off
	scratch_store_dwordx3 off, v[192:194], off offset:4
	v_cndmask_b32_e64 v124, v120, v124, s[6:7]
	flat_load_dwordx4 v[192:195], v[124:125]
	s_waitcnt vmcnt(0) lgkmcnt(0)
	ds_write_b128 v183, v[192:195]
.LBB52_130:
	s_or_b64 exec, exec, s[16:17]
	s_mov_b32 s2, 0x10001
	s_and_saveexec_b64 s[6:7], s[4:5]
	s_cbranch_execz .LBB52_132
; %bb.131:
	v_mov_b32_e32 v192, 0
	v_lshl_add_u64 v[124:125], v[134:135], 2, v[122:123]
	v_mov_b32_e32 v127, v192
	v_lshl_add_u64 v[124:125], v[124:125], 0, v[126:127]
	s_mov_b64 s[4:5], 0x80
	v_lshl_add_u64 v[124:125], v[124:125], 0, s[4:5]
	v_mov_b32_e32 v120, s15
	v_cmp_gt_i32_e64 s[4:5], s22, v137
	v_mov_b32_e32 v193, v192
	v_mov_b32_e32 v194, v192
	v_cndmask_b32_e64 v125, v120, v125, s[4:5]
	v_mov_b32_e32 v120, 0
	scratch_store_dword off, v192, off
	scratch_store_dwordx3 off, v[192:194], off offset:4
	v_cndmask_b32_e64 v124, v120, v124, s[4:5]
	flat_load_dwordx4 v[124:127], v[124:125]
	s_waitcnt vmcnt(0) lgkmcnt(0)
	ds_write_b128 v184, v[124:127]
.LBB52_132:
	s_or_b64 exec, exec, s[6:7]
	v_mul_u32_u24_e32 v244, 0x10001, v129
	v_mul_u32_u24_e32 v243, 0x10001, v185
	v_mul_u32_u24_e32 v242, 0x10001, v186
	v_mul_u32_u24_e32 v241, 0x10001, v187
	v_mul_u32_u24_e32 v240, 0x10001, v188
	v_mul_u32_u24_e32 v239, 0x10001, v189
	v_mul_u32_u24_e32 v238, 0x10001, v190
	v_mul_u32_u24_e32 v237, 0x10001, v191
	v_mul_u32_u24_sdwa v229, v116, s2 dst_sel:DWORD dst_unused:UNUSED_PAD src0_sel:WORD_0 src1_sel:DWORD
	v_mul_u32_u24_sdwa v230, v116, s2 dst_sel:DWORD dst_unused:UNUSED_PAD src0_sel:WORD_1 src1_sel:DWORD
	v_mul_u32_u24_sdwa v231, v117, s2 dst_sel:DWORD dst_unused:UNUSED_PAD src0_sel:WORD_0 src1_sel:DWORD
	v_mul_u32_u24_sdwa v232, v117, s2 dst_sel:DWORD dst_unused:UNUSED_PAD src0_sel:WORD_1 src1_sel:DWORD
	;; [unrolled: 2-line block ×64, first 2 shown]
	s_and_saveexec_b64 s[4:5], vcc
	s_cbranch_execz .LBB52_134
; %bb.133:
	v_mov_b32_e32 v246, 0
	v_lshl_add_u64 v[122:123], v[130:131], 2, v[122:123]
	v_mov_b32_e32 v129, v246
	v_lshl_add_u64 v[122:123], v[122:123], 0, v[128:129]
	v_mov_b32_e32 v120, s13
	v_cmp_gt_i32_e32 vcc, s22, v154
	v_mov_b32_e32 v247, v246
	v_mov_b32_e32 v248, v246
	v_cndmask_b32_e32 v123, v120, v123, vcc
	v_mov_b32_e32 v120, 0
	scratch_store_dword off, v246, off
	scratch_store_dwordx3 off, v[246:248], off offset:4
	v_cndmask_b32_e32 v122, v120, v122, vcc
	flat_load_dwordx4 v[128:131], v[122:123]
	s_waitcnt vmcnt(0) lgkmcnt(0)
	ds_write_b128 v155, v[128:131]
.LBB52_134:
	s_or_b64 exec, exec, s[4:5]
	v_pk_mul_f16 v120, v181, v244
	v_pk_mul_f16 v121, v182, v244
	;; [unrolled: 1-line block ×16, first 2 shown]
	v_pk_fma_f16 v120, v52, v229, v120
	v_pk_fma_f16 v122, v52, v230, v122
	;; [unrolled: 1-line block ×238, first 2 shown]
	v_lshlrev_b32_e32 v57, 3, v161
	v_pk_fma_f16 v20, v9, v68, v22
	v_pk_fma_f16 v22, v9, v69, v40
	;; [unrolled: 1-line block ×4, first 2 shown]
	v_add_u32_e32 v52, 0x3800, v57
	v_pk_fma_f16 v42, v10, v60, v15
	v_pk_fma_f16 v44, v10, v56, v17
	;; [unrolled: 1-line block ×14, first 2 shown]
	v_fmac_f32_e32 v32, v0, v146
	v_fmac_f32_e32 v33, v1, v147
	;; [unrolled: 1-line block ×8, first 2 shown]
	s_waitcnt lgkmcnt(0)
	s_barrier
	ds_read2_b64 v[0:3], v52 offset1:28
	ds_read_b128 v[4:7], v145 offset:256
	ds_read_b128 v[8:11], v145 offset:272
	;; [unrolled: 1-line block ×4, first 2 shown]
	s_waitcnt lgkmcnt(3)
	v_mul_u32_u24_sdwa v53, v4, s2 dst_sel:DWORD dst_unused:UNUSED_PAD src0_sel:WORD_0 src1_sel:DWORD
	v_mul_u32_u24_sdwa v4, v4, s2 dst_sel:DWORD dst_unused:UNUSED_PAD src0_sel:WORD_1 src1_sel:DWORD
	v_mul_u32_u24_sdwa v54, v5, s2 dst_sel:DWORD dst_unused:UNUSED_PAD src0_sel:WORD_0 src1_sel:DWORD
	v_mul_u32_u24_sdwa v5, v5, s2 dst_sel:DWORD dst_unused:UNUSED_PAD src0_sel:WORD_1 src1_sel:DWORD
	;; [unrolled: 2-line block ×4, first 2 shown]
	v_pk_fma_f16 v42, v0, v53, v42
	v_pk_fma_f16 v44, v0, v4, v44
	;; [unrolled: 1-line block ×16, first 2 shown]
	s_waitcnt lgkmcnt(2)
	v_mul_u32_u24_sdwa v7, v8, s2 dst_sel:DWORD dst_unused:UNUSED_PAD src0_sel:WORD_0 src1_sel:DWORD
	v_mul_u32_u24_sdwa v8, v8, s2 dst_sel:DWORD dst_unused:UNUSED_PAD src0_sel:WORD_1 src1_sel:DWORD
	v_mul_u32_u24_sdwa v40, v9, s2 dst_sel:DWORD dst_unused:UNUSED_PAD src0_sel:WORD_0 src1_sel:DWORD
	v_mul_u32_u24_sdwa v9, v9, s2 dst_sel:DWORD dst_unused:UNUSED_PAD src0_sel:WORD_1 src1_sel:DWORD
	;; [unrolled: 2-line block ×4, first 2 shown]
	v_pk_fma_f16 v42, v2, v7, v42
	v_pk_fma_f16 v44, v2, v8, v44
	;; [unrolled: 1-line block ×16, first 2 shown]
	ds_read2_b64 v[0:3], v52 offset0:56 offset1:84
	s_waitcnt lgkmcnt(2)
	v_mul_u32_u24_sdwa v20, v12, s2 dst_sel:DWORD dst_unused:UNUSED_PAD src0_sel:WORD_0 src1_sel:DWORD
	v_mul_u32_u24_sdwa v12, v12, s2 dst_sel:DWORD dst_unused:UNUSED_PAD src0_sel:WORD_1 src1_sel:DWORD
	v_mul_u32_u24_sdwa v22, v13, s2 dst_sel:DWORD dst_unused:UNUSED_PAD src0_sel:WORD_0 src1_sel:DWORD
	v_mul_u32_u24_sdwa v13, v13, s2 dst_sel:DWORD dst_unused:UNUSED_PAD src0_sel:WORD_1 src1_sel:DWORD
	v_mul_u32_u24_sdwa v40, v14, s2 dst_sel:DWORD dst_unused:UNUSED_PAD src0_sel:WORD_0 src1_sel:DWORD
	v_mul_u32_u24_sdwa v14, v14, s2 dst_sel:DWORD dst_unused:UNUSED_PAD src0_sel:WORD_1 src1_sel:DWORD
	v_mul_u32_u24_sdwa v46, v15, s2 dst_sel:DWORD dst_unused:UNUSED_PAD src0_sel:WORD_0 src1_sel:DWORD
	v_mul_u32_u24_sdwa v15, v15, s2 dst_sel:DWORD dst_unused:UNUSED_PAD src0_sel:WORD_1 src1_sel:DWORD
	s_waitcnt lgkmcnt(0)
	v_pk_fma_f16 v44, v0, v12, v44
	v_pk_fma_f16 v21, v0, v13, v21
	;; [unrolled: 1-line block ×12, first 2 shown]
	v_mul_u32_u24_sdwa v11, v16, s2 dst_sel:DWORD dst_unused:UNUSED_PAD src0_sel:WORD_0 src1_sel:DWORD
	v_mul_u32_u24_sdwa v12, v16, s2 dst_sel:DWORD dst_unused:UNUSED_PAD src0_sel:WORD_1 src1_sel:DWORD
	v_mul_u32_u24_sdwa v13, v17, s2 dst_sel:DWORD dst_unused:UNUSED_PAD src0_sel:WORD_0 src1_sel:DWORD
	v_mul_u32_u24_sdwa v14, v17, s2 dst_sel:DWORD dst_unused:UNUSED_PAD src0_sel:WORD_1 src1_sel:DWORD
	v_mul_u32_u24_sdwa v16, v18, s2 dst_sel:DWORD dst_unused:UNUSED_PAD src0_sel:WORD_1 src1_sel:DWORD
	v_mul_u32_u24_sdwa v17, v19, s2 dst_sel:DWORD dst_unused:UNUSED_PAD src0_sel:WORD_0 src1_sel:DWORD
	v_pk_fma_f16 v42, v0, v20, v42
	v_pk_fma_f16 v45, v0, v22, v45
	;; [unrolled: 1-line block ×4, first 2 shown]
	v_mul_u32_u24_sdwa v15, v18, s2 dst_sel:DWORD dst_unused:UNUSED_PAD src0_sel:WORD_0 src1_sel:DWORD
	v_mul_u32_u24_sdwa v18, v19, s2 dst_sel:DWORD dst_unused:UNUSED_PAD src0_sel:WORD_1 src1_sel:DWORD
	v_pk_fma_f16 v20, v2, v12, v44
	v_pk_fma_f16 v21, v2, v14, v21
	;; [unrolled: 1-line block ×8, first 2 shown]
	ds_read_b128 v[4:7], v145 offset:320
	v_pk_fma_f16 v19, v2, v11, v42
	v_pk_fma_f16 v22, v2, v13, v45
	;; [unrolled: 1-line block ×8, first 2 shown]
	ds_read2_b64 v[0:3], v52 offset0:112 offset1:140
	ds_read_b128 v[8:11], v145 offset:336
	s_waitcnt lgkmcnt(2)
	v_mul_u32_u24_sdwa v44, v4, s2 dst_sel:DWORD dst_unused:UNUSED_PAD src0_sel:WORD_0 src1_sel:DWORD
	v_mul_u32_u24_sdwa v4, v4, s2 dst_sel:DWORD dst_unused:UNUSED_PAD src0_sel:WORD_1 src1_sel:DWORD
	v_mul_u32_u24_sdwa v45, v5, s2 dst_sel:DWORD dst_unused:UNUSED_PAD src0_sel:WORD_0 src1_sel:DWORD
	v_mul_u32_u24_sdwa v5, v5, s2 dst_sel:DWORD dst_unused:UNUSED_PAD src0_sel:WORD_1 src1_sel:DWORD
	;; [unrolled: 2-line block ×4, first 2 shown]
	s_waitcnt lgkmcnt(1)
	v_pk_fma_f16 v19, v0, v44, v19
	v_pk_fma_f16 v20, v0, v4, v20
	;; [unrolled: 1-line block ×16, first 2 shown]
	s_waitcnt lgkmcnt(0)
	v_mul_u32_u24_sdwa v7, v8, s2 dst_sel:DWORD dst_unused:UNUSED_PAD src0_sel:WORD_0 src1_sel:DWORD
	v_mul_u32_u24_sdwa v8, v8, s2 dst_sel:DWORD dst_unused:UNUSED_PAD src0_sel:WORD_1 src1_sel:DWORD
	v_mul_u32_u24_sdwa v15, v9, s2 dst_sel:DWORD dst_unused:UNUSED_PAD src0_sel:WORD_0 src1_sel:DWORD
	v_mul_u32_u24_sdwa v9, v9, s2 dst_sel:DWORD dst_unused:UNUSED_PAD src0_sel:WORD_1 src1_sel:DWORD
	;; [unrolled: 2-line block ×4, first 2 shown]
	v_pk_fma_f16 v18, v2, v7, v19
	v_pk_fma_f16 v19, v2, v8, v20
	;; [unrolled: 1-line block ×10, first 2 shown]
	ds_read_b128 v[4:7], v145 offset:352
	v_pk_fma_f16 v21, v2, v9, v21
	v_pk_fma_f16 v23, v2, v10, v40
	;; [unrolled: 1-line block ×6, first 2 shown]
	ds_read2_b64 v[0:3], v52 offset0:168 offset1:196
	ds_read_b128 v[8:11], v145 offset:368
	s_waitcnt lgkmcnt(2)
	v_mul_u32_u24_sdwa v44, v4, s2 dst_sel:DWORD dst_unused:UNUSED_PAD src0_sel:WORD_0 src1_sel:DWORD
	v_mul_u32_u24_sdwa v4, v4, s2 dst_sel:DWORD dst_unused:UNUSED_PAD src0_sel:WORD_1 src1_sel:DWORD
	v_mul_u32_u24_sdwa v45, v5, s2 dst_sel:DWORD dst_unused:UNUSED_PAD src0_sel:WORD_0 src1_sel:DWORD
	v_mul_u32_u24_sdwa v5, v5, s2 dst_sel:DWORD dst_unused:UNUSED_PAD src0_sel:WORD_1 src1_sel:DWORD
	;; [unrolled: 2-line block ×4, first 2 shown]
	s_waitcnt lgkmcnt(1)
	v_pk_fma_f16 v18, v0, v44, v18
	v_pk_fma_f16 v19, v0, v4, v19
	;; [unrolled: 1-line block ×16, first 2 shown]
	s_waitcnt lgkmcnt(0)
	v_mul_u32_u24_sdwa v7, v8, s2 dst_sel:DWORD dst_unused:UNUSED_PAD src0_sel:WORD_0 src1_sel:DWORD
	v_mul_u32_u24_sdwa v8, v8, s2 dst_sel:DWORD dst_unused:UNUSED_PAD src0_sel:WORD_1 src1_sel:DWORD
	v_mul_u32_u24_sdwa v15, v9, s2 dst_sel:DWORD dst_unused:UNUSED_PAD src0_sel:WORD_0 src1_sel:DWORD
	v_mul_u32_u24_sdwa v9, v9, s2 dst_sel:DWORD dst_unused:UNUSED_PAD src0_sel:WORD_1 src1_sel:DWORD
	v_mul_u32_u24_sdwa v16, v10, s2 dst_sel:DWORD dst_unused:UNUSED_PAD src0_sel:WORD_0 src1_sel:DWORD
	v_mul_u32_u24_sdwa v10, v10, s2 dst_sel:DWORD dst_unused:UNUSED_PAD src0_sel:WORD_1 src1_sel:DWORD
	v_mul_u32_u24_sdwa v17, v11, s2 dst_sel:DWORD dst_unused:UNUSED_PAD src0_sel:WORD_0 src1_sel:DWORD
	v_mul_u32_u24_sdwa v11, v11, s2 dst_sel:DWORD dst_unused:UNUSED_PAD src0_sel:WORD_1 src1_sel:DWORD
	v_pk_fma_f16 v18, v2, v7, v18
	v_pk_fma_f16 v20, v2, v15, v20
	v_pk_fma_f16 v22, v2, v16, v22
	v_pk_fma_f16 v41, v3, v7, v41
	v_pk_fma_f16 v43, v3, v8, v4
	v_pk_fma_f16 v12, v3, v15, v12
	v_pk_fma_f16 v15, v3, v9, v5
	v_pk_fma_f16 v13, v3, v16, v13
	v_pk_fma_f16 v16, v3, v10, v6
	ds_read_b128 v[4:7], v145 offset:384
	v_pk_fma_f16 v19, v2, v8, v19
	v_pk_fma_f16 v21, v2, v9, v21
	;; [unrolled: 1-line block ×7, first 2 shown]
	ds_read2_b64 v[0:3], v52 offset0:224 offset1:252
	ds_read_b128 v[8:11], v145 offset:400
	s_waitcnt lgkmcnt(2)
	v_mul_u32_u24_sdwa v44, v4, s2 dst_sel:DWORD dst_unused:UNUSED_PAD src0_sel:WORD_0 src1_sel:DWORD
	v_mul_u32_u24_sdwa v4, v4, s2 dst_sel:DWORD dst_unused:UNUSED_PAD src0_sel:WORD_1 src1_sel:DWORD
	v_mul_u32_u24_sdwa v45, v5, s2 dst_sel:DWORD dst_unused:UNUSED_PAD src0_sel:WORD_0 src1_sel:DWORD
	v_mul_u32_u24_sdwa v5, v5, s2 dst_sel:DWORD dst_unused:UNUSED_PAD src0_sel:WORD_1 src1_sel:DWORD
	;; [unrolled: 2-line block ×4, first 2 shown]
	s_waitcnt lgkmcnt(1)
	v_pk_fma_f16 v18, v0, v44, v18
	v_pk_fma_f16 v19, v0, v4, v19
	;; [unrolled: 1-line block ×16, first 2 shown]
	s_waitcnt lgkmcnt(0)
	v_mul_u32_u24_sdwa v7, v8, s2 dst_sel:DWORD dst_unused:UNUSED_PAD src0_sel:WORD_0 src1_sel:DWORD
	v_mul_u32_u24_sdwa v8, v8, s2 dst_sel:DWORD dst_unused:UNUSED_PAD src0_sel:WORD_1 src1_sel:DWORD
	v_mul_u32_u24_sdwa v15, v9, s2 dst_sel:DWORD dst_unused:UNUSED_PAD src0_sel:WORD_0 src1_sel:DWORD
	v_mul_u32_u24_sdwa v9, v9, s2 dst_sel:DWORD dst_unused:UNUSED_PAD src0_sel:WORD_1 src1_sel:DWORD
	;; [unrolled: 2-line block ×4, first 2 shown]
	v_pk_fma_f16 v18, v2, v7, v18
	v_pk_fma_f16 v20, v2, v15, v20
	;; [unrolled: 1-line block ×9, first 2 shown]
	ds_read_b128 v[4:7], v145 offset:416
	v_add_u32_e32 v44, 0x4000, v57
	v_pk_fma_f16 v19, v2, v8, v19
	v_pk_fma_f16 v21, v2, v9, v21
	;; [unrolled: 1-line block ×7, first 2 shown]
	ds_read2_b64 v[0:3], v44 offset0:24 offset1:52
	ds_read_b128 v[8:11], v145 offset:432
	s_waitcnt lgkmcnt(2)
	v_mul_u32_u24_sdwa v45, v4, s2 dst_sel:DWORD dst_unused:UNUSED_PAD src0_sel:WORD_0 src1_sel:DWORD
	v_mul_u32_u24_sdwa v4, v4, s2 dst_sel:DWORD dst_unused:UNUSED_PAD src0_sel:WORD_1 src1_sel:DWORD
	v_mul_u32_u24_sdwa v46, v5, s2 dst_sel:DWORD dst_unused:UNUSED_PAD src0_sel:WORD_0 src1_sel:DWORD
	v_mul_u32_u24_sdwa v5, v5, s2 dst_sel:DWORD dst_unused:UNUSED_PAD src0_sel:WORD_1 src1_sel:DWORD
	;; [unrolled: 2-line block ×4, first 2 shown]
	s_waitcnt lgkmcnt(1)
	v_pk_fma_f16 v18, v0, v45, v18
	v_pk_fma_f16 v19, v0, v4, v19
	;; [unrolled: 1-line block ×16, first 2 shown]
	s_waitcnt lgkmcnt(0)
	v_mul_u32_u24_sdwa v7, v8, s2 dst_sel:DWORD dst_unused:UNUSED_PAD src0_sel:WORD_0 src1_sel:DWORD
	v_mul_u32_u24_sdwa v8, v8, s2 dst_sel:DWORD dst_unused:UNUSED_PAD src0_sel:WORD_1 src1_sel:DWORD
	v_mul_u32_u24_sdwa v15, v9, s2 dst_sel:DWORD dst_unused:UNUSED_PAD src0_sel:WORD_0 src1_sel:DWORD
	v_mul_u32_u24_sdwa v9, v9, s2 dst_sel:DWORD dst_unused:UNUSED_PAD src0_sel:WORD_1 src1_sel:DWORD
	;; [unrolled: 2-line block ×4, first 2 shown]
	v_pk_fma_f16 v18, v2, v7, v18
	v_pk_fma_f16 v20, v2, v15, v20
	;; [unrolled: 1-line block ×9, first 2 shown]
	ds_read_b128 v[4:7], v145 offset:448
	v_pk_fma_f16 v19, v2, v8, v19
	v_pk_fma_f16 v21, v2, v9, v21
	;; [unrolled: 1-line block ×7, first 2 shown]
	ds_read2_b64 v[0:3], v44 offset0:80 offset1:108
	ds_read_b128 v[8:11], v145 offset:464
	s_waitcnt lgkmcnt(2)
	v_mul_u32_u24_sdwa v45, v4, s2 dst_sel:DWORD dst_unused:UNUSED_PAD src0_sel:WORD_0 src1_sel:DWORD
	v_mul_u32_u24_sdwa v4, v4, s2 dst_sel:DWORD dst_unused:UNUSED_PAD src0_sel:WORD_1 src1_sel:DWORD
	v_mul_u32_u24_sdwa v46, v5, s2 dst_sel:DWORD dst_unused:UNUSED_PAD src0_sel:WORD_0 src1_sel:DWORD
	v_mul_u32_u24_sdwa v5, v5, s2 dst_sel:DWORD dst_unused:UNUSED_PAD src0_sel:WORD_1 src1_sel:DWORD
	;; [unrolled: 2-line block ×4, first 2 shown]
	s_waitcnt lgkmcnt(1)
	v_pk_fma_f16 v18, v0, v45, v18
	v_pk_fma_f16 v19, v0, v4, v19
	;; [unrolled: 1-line block ×16, first 2 shown]
	s_waitcnt lgkmcnt(0)
	v_mul_u32_u24_sdwa v7, v8, s2 dst_sel:DWORD dst_unused:UNUSED_PAD src0_sel:WORD_0 src1_sel:DWORD
	v_mul_u32_u24_sdwa v8, v8, s2 dst_sel:DWORD dst_unused:UNUSED_PAD src0_sel:WORD_1 src1_sel:DWORD
	v_mul_u32_u24_sdwa v15, v9, s2 dst_sel:DWORD dst_unused:UNUSED_PAD src0_sel:WORD_0 src1_sel:DWORD
	v_mul_u32_u24_sdwa v9, v9, s2 dst_sel:DWORD dst_unused:UNUSED_PAD src0_sel:WORD_1 src1_sel:DWORD
	;; [unrolled: 2-line block ×4, first 2 shown]
	v_pk_fma_f16 v18, v2, v7, v18
	v_pk_fma_f16 v20, v2, v15, v20
	;; [unrolled: 1-line block ×9, first 2 shown]
	ds_read_b128 v[4:7], v145 offset:480
	v_pk_fma_f16 v19, v2, v8, v19
	v_pk_fma_f16 v21, v2, v9, v21
	;; [unrolled: 1-line block ×7, first 2 shown]
	ds_read2_b64 v[0:3], v44 offset0:136 offset1:164
	ds_read_b128 v[8:11], v145 offset:496
	s_waitcnt lgkmcnt(2)
	v_mul_u32_u24_sdwa v44, v4, s2 dst_sel:DWORD dst_unused:UNUSED_PAD src0_sel:WORD_0 src1_sel:DWORD
	v_mul_u32_u24_sdwa v4, v4, s2 dst_sel:DWORD dst_unused:UNUSED_PAD src0_sel:WORD_1 src1_sel:DWORD
	v_mul_u32_u24_sdwa v45, v5, s2 dst_sel:DWORD dst_unused:UNUSED_PAD src0_sel:WORD_0 src1_sel:DWORD
	v_mul_u32_u24_sdwa v5, v5, s2 dst_sel:DWORD dst_unused:UNUSED_PAD src0_sel:WORD_1 src1_sel:DWORD
	;; [unrolled: 2-line block ×4, first 2 shown]
	s_waitcnt lgkmcnt(1)
	v_pk_fma_f16 v18, v0, v44, v18
	v_pk_fma_f16 v19, v0, v4, v19
	;; [unrolled: 1-line block ×16, first 2 shown]
	s_waitcnt lgkmcnt(0)
	v_mul_u32_u24_sdwa v7, v8, s2 dst_sel:DWORD dst_unused:UNUSED_PAD src0_sel:WORD_0 src1_sel:DWORD
	v_mul_u32_u24_sdwa v8, v8, s2 dst_sel:DWORD dst_unused:UNUSED_PAD src0_sel:WORD_1 src1_sel:DWORD
	v_mul_u32_u24_sdwa v15, v9, s2 dst_sel:DWORD dst_unused:UNUSED_PAD src0_sel:WORD_0 src1_sel:DWORD
	v_mul_u32_u24_sdwa v9, v9, s2 dst_sel:DWORD dst_unused:UNUSED_PAD src0_sel:WORD_1 src1_sel:DWORD
	;; [unrolled: 2-line block ×4, first 2 shown]
	v_pk_fma_f16 v179, v2, v8, v19
	v_pk_fma_f16 v177, v2, v15, v20
	;; [unrolled: 1-line block ×12, first 2 shown]
	v_mov_b64_e32 v[8:9], v[24:25]
	v_pk_fma_f16 v181, v2, v7, v18
	v_pk_fma_f16 v173, v2, v16, v22
	;; [unrolled: 1-line block ×4, first 2 shown]
	v_mov_b64_e32 v[10:11], v[26:27]
	v_mov_b64_e32 v[12:13], v[28:29]
	;; [unrolled: 1-line block ×3, first 2 shown]
	s_barrier
.LBB52_135:
	v_cmp_lt_i32_e32 vcc, v141, v139
	s_cmp_eq_u64 s[56:57], 0
	s_cselect_b64 s[4:5], -1, 0
	v_cndmask_b32_e32 v0, v138, v141, vcc
	v_lshlrev_b32_e32 v17, 2, v0
	ds_bpermute_b32 v4, v17, v34
	ds_bpermute_b32 v5, v17, v35
	v_cmp_lt_i32_e32 vcc, v144, v139
	ds_bpermute_b32 v0, v17, v32
	ds_bpermute_b32 v1, v17, v33
	v_cndmask_b32_e32 v2, v138, v144, vcc
	v_cmp_lt_i32_e32 vcc, v142, v139
	v_lshlrev_b32_e32 v23, 2, v2
	s_waitcnt lgkmcnt(2)
	v_pk_add_f32 v[4:5], v[34:35], v[4:5]
	v_cndmask_b32_e32 v2, v138, v142, vcc
	v_cmp_lt_i32_e32 vcc, v143, v139
	ds_bpermute_b32 v7, v23, v5
	v_lshlrev_b32_e32 v24, 2, v2
	v_cndmask_b32_e32 v6, v138, v143, vcc
	v_lshlrev_b32_e32 v25, 2, v6
	ds_bpermute_b32 v6, v23, v4
	ds_bpermute_b32 v18, v17, v38
	;; [unrolled: 1-line block ×3, first 2 shown]
	s_waitcnt lgkmcnt(4)
	v_pk_add_f32 v[0:1], v[32:33], v[0:1]
	v_cmp_lt_i32_e32 vcc, v140, v139
	s_waitcnt lgkmcnt(2)
	v_pk_add_f32 v[4:5], v[4:5], v[6:7]
	ds_bpermute_b32 v6, v24, v4
	ds_bpermute_b32 v7, v24, v5
	s_waitcnt lgkmcnt(2)
	v_pk_add_f32 v[18:19], v[38:39], v[18:19]
	ds_bpermute_b32 v2, v23, v0
	ds_bpermute_b32 v3, v23, v1
	v_cndmask_b32_e32 v16, v138, v140, vcc
	s_waitcnt lgkmcnt(2)
	v_pk_add_f32 v[4:5], v[4:5], v[6:7]
	ds_bpermute_b32 v6, v17, v36
	ds_bpermute_b32 v7, v17, v37
	;; [unrolled: 1-line block ×3, first 2 shown]
	v_lshlrev_b32_e32 v29, 2, v16
	ds_bpermute_b32 v16, v25, v4
	ds_bpermute_b32 v17, v25, v5
	s_waitcnt lgkmcnt(3)
	v_pk_add_f32 v[6:7], v[36:37], v[6:7]
	ds_bpermute_b32 v20, v23, v6
	ds_bpermute_b32 v21, v23, v7
	;; [unrolled: 1-line block ×3, first 2 shown]
	v_pk_add_f32 v[0:1], v[0:1], v[2:3]
	ds_bpermute_b32 v2, v24, v0
	ds_bpermute_b32 v3, v24, v1
	s_waitcnt lgkmcnt(3)
	v_pk_add_f32 v[6:7], v[6:7], v[20:21]
	s_waitcnt lgkmcnt(2)
	v_pk_add_f32 v[18:19], v[18:19], v[22:23]
	v_pk_add_f32 v[4:5], v[4:5], v[16:17]
	ds_bpermute_b32 v16, v24, v6
	ds_bpermute_b32 v17, v24, v7
	;; [unrolled: 1-line block ×4, first 2 shown]
	s_waitcnt lgkmcnt(4)
	v_pk_add_f32 v[0:1], v[0:1], v[2:3]
	ds_bpermute_b32 v2, v25, v0
	s_waitcnt lgkmcnt(3)
	v_pk_add_f32 v[6:7], v[6:7], v[16:17]
	ds_bpermute_b32 v3, v25, v1
	;; [unrolled: 3-line block ×3, first 2 shown]
	ds_bpermute_b32 v17, v25, v7
	ds_bpermute_b32 v20, v25, v18
	;; [unrolled: 1-line block ×3, first 2 shown]
	s_waitcnt lgkmcnt(4)
	v_pk_add_f32 v[0:1], v[0:1], v[2:3]
	ds_bpermute_b32 v2, v29, v0
	s_waitcnt lgkmcnt(3)
	v_pk_add_f32 v[6:7], v[6:7], v[16:17]
	ds_bpermute_b32 v3, v29, v1
	;; [unrolled: 3-line block ×3, first 2 shown]
	ds_bpermute_b32 v25, v29, v5
	ds_bpermute_b32 v16, v29, v6
	;; [unrolled: 1-line block ×5, first 2 shown]
	s_cmp_lg_u32 s3, 0
	s_cselect_b64 s[6:7], -1, 0
	s_or_b64 s[4:5], s[6:7], s[4:5]
	s_waitcnt lgkmcnt(6)
	v_pk_add_f32 v[22:23], v[0:1], v[2:3]
	s_waitcnt lgkmcnt(4)
	v_pk_add_f32 v[20:21], v[4:5], v[24:25]
	;; [unrolled: 2-line block ×4, first 2 shown]
	s_and_b64 vcc, exec, s[4:5]
	s_cbranch_vccnz .LBB52_137
; %bb.136:
	s_lshl_b64 s[4:5], s[54:55], 2
	s_add_u32 s4, s56, s4
	s_addc_u32 s5, s57, s5
	v_mov_b32_e32 v0, 0
	global_load_dword v31, v0, s[4:5]
	v_max_f32_e32 v0, v8, v8
	v_max_f32_e32 v1, v9, v9
	s_mov_b32 s5, 0x3fb8aa3b
	v_max_f32_e32 v2, v10, v10
	s_mov_b32 s2, 0xc2ce8ed0
	s_mov_b32 s4, 0x42b17218
	v_mov_b32_e32 v32, 0x7f800000
	s_waitcnt vmcnt(0)
	v_max_f32_e32 v7, v31, v31
	v_max_f32_e32 v0, v0, v7
	v_sub_f32_e32 v3, v8, v0
	v_max_f32_e32 v1, v1, v7
	v_sub_f32_e32 v4, v31, v0
	v_mul_f32_e32 v8, 0x3fb8aa3b, v3
	v_sub_f32_e32 v5, v9, v1
	v_mul_f32_e32 v9, 0x3fb8aa3b, v4
	v_fma_f32 v29, v3, s5, -v8
	v_rndne_f32_e32 v30, v8
	v_max_f32_e32 v2, v2, v7
	v_sub_f32_e32 v6, v31, v1
	v_mul_f32_e32 v24, 0x3fb8aa3b, v5
	v_fma_f32 v33, v4, s5, -v9
	v_rndne_f32_e32 v34, v9
	v_fmac_f32_e32 v29, 0x32a5705f, v3
	v_sub_f32_e32 v8, v8, v30
	v_sub_f32_e32 v10, v10, v2
	v_mul_f32_e32 v25, 0x3fb8aa3b, v6
	v_fma_f32 v35, v5, s5, -v24
	v_rndne_f32_e32 v36, v24
	v_fmac_f32_e32 v33, 0x32a5705f, v4
	v_sub_f32_e32 v9, v9, v34
	v_add_f32_e32 v8, v8, v29
	v_mul_f32_e32 v27, 0x3fb8aa3b, v10
	v_fma_f32 v37, v6, s5, -v25
	v_rndne_f32_e32 v38, v25
	v_cvt_i32_f32_e32 v30, v30
	v_fmac_f32_e32 v35, 0x32a5705f, v5
	v_sub_f32_e32 v24, v24, v36
	v_add_f32_e32 v9, v9, v33
	v_exp_f32_e32 v8, v8
	v_fma_f32 v39, v10, s5, -v27
	v_rndne_f32_e32 v40, v27
	v_cvt_i32_f32_e32 v34, v34
	v_fmac_f32_e32 v37, 0x32a5705f, v6
	v_sub_f32_e32 v25, v25, v38
	v_add_f32_e32 v24, v24, v35
	v_exp_f32_e32 v9, v9
	v_cvt_i32_f32_e32 v36, v36
	v_fmac_f32_e32 v39, 0x32a5705f, v10
	v_sub_f32_e32 v27, v27, v40
	v_add_f32_e32 v25, v25, v37
	v_exp_f32_e32 v24, v24
	v_cvt_i32_f32_e32 v38, v38
	v_add_f32_e32 v27, v27, v39
	v_exp_f32_e32 v25, v25
	v_cvt_i32_f32_e32 v40, v40
	v_exp_f32_e32 v27, v27
	v_ldexp_f32 v8, v8, v30
	v_cmp_ngt_f32_e32 vcc, s2, v3
	v_ldexp_f32 v9, v9, v34
	v_ldexp_f32 v24, v24, v36
	v_cndmask_b32_e32 v8, 0, v8, vcc
	v_cmp_ngt_f32_e32 vcc, s2, v4
	v_sub_f32_e32 v26, v31, v2
	v_ldexp_f32 v25, v25, v38
	v_cndmask_b32_e32 v9, 0, v9, vcc
	v_cmp_ngt_f32_e32 vcc, s2, v5
	v_mul_f32_e32 v28, 0x3fb8aa3b, v26
	v_ldexp_f32 v27, v27, v40
	v_cndmask_b32_e32 v29, 0, v24, vcc
	v_cmp_ngt_f32_e32 vcc, s2, v6
	v_fma_f32 v41, v26, s5, -v28
	v_rndne_f32_e32 v42, v28
	v_cndmask_b32_e32 v25, 0, v25, vcc
	v_cmp_ngt_f32_e32 vcc, s2, v10
	v_fmac_f32_e32 v41, 0x32a5705f, v26
	v_sub_f32_e32 v28, v28, v42
	v_cndmask_b32_e32 v27, 0, v27, vcc
	v_cmp_nlt_f32_e32 vcc, s4, v3
	v_add_f32_e32 v28, v28, v41
	v_cvt_i32_f32_e32 v42, v42
	v_cndmask_b32_e32 v8, v32, v8, vcc
	v_cvt_f16_f32_e32 v3, v8
	v_exp_f32_e32 v28, v28
	v_cmp_nlt_f32_e32 vcc, s4, v4
	v_mul_u32_u24_e32 v3, 0x10001, v3
	s_nop 0
	v_cndmask_b32_e32 v24, v32, v9, vcc
	v_cmp_nlt_f32_e32 vcc, s4, v5
	v_pk_mul_f16 v181, v181, v3
	v_pk_mul_f16 v182, v182, v3
	v_cndmask_b32_e32 v9, v32, v29, vcc
	v_cmp_nlt_f32_e32 vcc, s4, v6
	v_ldexp_f32 v3, v28, v42
	v_cvt_f16_f32_e32 v4, v9
	v_cndmask_b32_e32 v25, v32, v25, vcc
	v_cmp_nlt_f32_e32 vcc, s4, v10
	v_pk_fma_f32 v[22:23], v[22:23], v[8:9], v[24:25]
	v_mul_u32_u24_e32 v4, 0x10001, v4
	v_cndmask_b32_e32 v10, v32, v27, vcc
	v_cmp_ngt_f32_e32 vcc, s2, v26
	v_pk_mul_f16 v179, v179, v4
	v_pk_mul_f16 v180, v180, v4
	v_cndmask_b32_e32 v3, 0, v3, vcc
	v_cmp_nlt_f32_e32 vcc, s4, v26
	v_cvt_f16_f32_e32 v4, v10
	v_mul_u32_u24_e32 v4, 0x10001, v4
	v_cndmask_b32_e32 v26, v32, v3, vcc
	v_max_f32_e32 v3, v11, v11
	v_max_f32_e32 v3, v3, v7
	v_sub_f32_e32 v5, v11, v3
	v_mul_f32_e32 v6, 0x3fb8aa3b, v5
	v_fma_f32 v11, v5, s5, -v6
	v_rndne_f32_e32 v27, v6
	v_fmac_f32_e32 v11, 0x32a5705f, v5
	v_sub_f32_e32 v6, v6, v27
	v_add_f32_e32 v6, v6, v11
	v_exp_f32_e32 v6, v6
	v_cvt_i32_f32_e32 v11, v27
	v_pk_mul_f16 v177, v177, v4
	v_pk_mul_f16 v178, v178, v4
	v_cmp_ngt_f32_e32 vcc, s2, v5
	v_ldexp_f32 v4, v6, v11
	v_sub_f32_e32 v6, v31, v3
	v_mul_f32_e32 v11, 0x3fb8aa3b, v6
	v_fma_f32 v27, v6, s5, -v11
	v_rndne_f32_e32 v28, v11
	v_fmac_f32_e32 v27, 0x32a5705f, v6
	v_sub_f32_e32 v11, v11, v28
	v_add_f32_e32 v11, v11, v27
	v_exp_f32_e32 v27, v11
	v_cvt_i32_f32_e32 v28, v28
	v_cndmask_b32_e32 v4, 0, v4, vcc
	v_cmp_nlt_f32_e32 vcc, s4, v5
	s_nop 1
	v_cndmask_b32_e32 v11, v32, v4, vcc
	v_ldexp_f32 v4, v27, v28
	v_cmp_ngt_f32_e32 vcc, s2, v6
	v_cvt_f16_f32_e32 v5, v11
	v_mul_u32_u24_e32 v5, 0x10001, v5
	v_cndmask_b32_e32 v4, 0, v4, vcc
	v_cmp_nlt_f32_e32 vcc, s4, v6
	v_pk_mul_f16 v175, v175, v5
	v_pk_mul_f16 v176, v176, v5
	v_cndmask_b32_e32 v27, v32, v4, vcc
	v_max_f32_e32 v4, v12, v12
	v_max_f32_e32 v4, v4, v7
	v_sub_f32_e32 v6, v12, v4
	v_mul_f32_e32 v12, 0x3fb8aa3b, v6
	v_fma_f32 v28, v6, s5, -v12
	v_rndne_f32_e32 v29, v12
	v_fmac_f32_e32 v28, 0x32a5705f, v6
	v_sub_f32_e32 v12, v12, v29
	v_add_f32_e32 v12, v12, v28
	v_exp_f32_e32 v12, v12
	v_cvt_i32_f32_e32 v28, v29
	v_cmp_ngt_f32_e32 vcc, s2, v6
	v_pk_fma_f32 v[20:21], v[20:21], v[10:11], v[26:27]
	v_ldexp_f32 v5, v12, v28
	v_sub_f32_e32 v28, v31, v4
	v_mul_f32_e32 v12, 0x3fb8aa3b, v28
	v_fma_f32 v29, v28, s5, -v12
	v_rndne_f32_e32 v30, v12
	v_fmac_f32_e32 v29, 0x32a5705f, v28
	v_sub_f32_e32 v12, v12, v30
	v_add_f32_e32 v12, v12, v29
	v_exp_f32_e32 v29, v12
	v_cvt_i32_f32_e32 v30, v30
	v_cndmask_b32_e32 v5, 0, v5, vcc
	v_cmp_nlt_f32_e32 vcc, s4, v6
	s_nop 1
	v_cndmask_b32_e32 v12, v32, v5, vcc
	v_ldexp_f32 v5, v29, v30
	v_cmp_ngt_f32_e32 vcc, s2, v28
	v_cvt_f16_f32_e32 v6, v12
	v_mul_u32_u24_e32 v6, 0x10001, v6
	v_cndmask_b32_e32 v5, 0, v5, vcc
	v_cmp_nlt_f32_e32 vcc, s4, v28
	v_pk_mul_f16 v173, v173, v6
	v_pk_mul_f16 v174, v174, v6
	v_cndmask_b32_e32 v28, v32, v5, vcc
	v_max_f32_e32 v5, v13, v13
	v_max_f32_e32 v5, v5, v7
	v_sub_f32_e32 v13, v13, v5
	v_mul_f32_e32 v29, 0x3fb8aa3b, v13
	v_fma_f32 v30, v13, s5, -v29
	v_rndne_f32_e32 v33, v29
	v_fmac_f32_e32 v30, 0x32a5705f, v13
	v_sub_f32_e32 v29, v29, v33
	v_add_f32_e32 v29, v29, v30
	v_exp_f32_e32 v29, v29
	v_cvt_i32_f32_e32 v30, v33
	v_cmp_ngt_f32_e32 vcc, s2, v13
	v_ldexp_f32 v6, v29, v30
	v_sub_f32_e32 v29, v31, v5
	v_mul_f32_e32 v30, 0x3fb8aa3b, v29
	v_fma_f32 v33, v29, s5, -v30
	v_rndne_f32_e32 v34, v30
	v_fmac_f32_e32 v33, 0x32a5705f, v29
	v_sub_f32_e32 v30, v30, v34
	v_add_f32_e32 v30, v30, v33
	v_exp_f32_e32 v30, v30
	v_cvt_i32_f32_e32 v33, v34
	v_cndmask_b32_e32 v6, 0, v6, vcc
	v_cmp_nlt_f32_e32 vcc, s4, v13
	s_nop 1
	v_cndmask_b32_e32 v13, v32, v6, vcc
	v_ldexp_f32 v6, v30, v33
	v_cmp_ngt_f32_e32 vcc, s2, v29
	v_cvt_f16_f32_e32 v30, v13
	v_mul_u32_u24_e32 v30, 0x10001, v30
	v_cndmask_b32_e32 v6, 0, v6, vcc
	v_cmp_nlt_f32_e32 vcc, s4, v29
	v_pk_mul_f16 v171, v171, v30
	v_pk_mul_f16 v172, v172, v30
	v_cndmask_b32_e32 v29, v32, v6, vcc
	v_max_f32_e32 v6, v14, v14
	v_max_f32_e32 v6, v6, v7
	v_sub_f32_e32 v14, v14, v6
	v_mul_f32_e32 v33, 0x3fb8aa3b, v14
	v_fma_f32 v34, v14, s5, -v33
	v_rndne_f32_e32 v35, v33
	v_fmac_f32_e32 v34, 0x32a5705f, v14
	v_sub_f32_e32 v33, v33, v35
	v_add_f32_e32 v33, v33, v34
	v_exp_f32_e32 v33, v33
	v_cvt_i32_f32_e32 v34, v35
	v_cmp_ngt_f32_e32 vcc, s2, v14
	v_pk_fma_f32 v[18:19], v[18:19], v[12:13], v[28:29]
	v_ldexp_f32 v30, v33, v34
	v_sub_f32_e32 v33, v31, v6
	v_mul_f32_e32 v34, 0x3fb8aa3b, v33
	v_fma_f32 v35, v33, s5, -v34
	v_rndne_f32_e32 v36, v34
	v_fmac_f32_e32 v35, 0x32a5705f, v33
	v_sub_f32_e32 v34, v34, v36
	v_add_f32_e32 v34, v34, v35
	v_exp_f32_e32 v34, v34
	v_cvt_i32_f32_e32 v35, v36
	v_cndmask_b32_e32 v30, 0, v30, vcc
	v_cmp_nlt_f32_e32 vcc, s4, v14
	s_nop 1
	v_cndmask_b32_e32 v14, v32, v30, vcc
	v_ldexp_f32 v30, v34, v35
	v_max_f32_e32 v34, v15, v15
	v_max_f32_e32 v7, v34, v7
	v_sub_f32_e32 v15, v15, v7
	v_mul_f32_e32 v34, 0x3fb8aa3b, v15
	v_fma_f32 v35, v15, s5, -v34
	v_rndne_f32_e32 v36, v34
	v_cmp_ngt_f32_e32 vcc, s2, v33
	v_fmac_f32_e32 v35, 0x32a5705f, v15
	v_sub_f32_e32 v34, v34, v36
	v_cndmask_b32_e32 v30, 0, v30, vcc
	v_cmp_nlt_f32_e32 vcc, s4, v33
	v_cvt_f16_f32_e32 v33, v14
	v_add_f32_e32 v34, v34, v35
	v_exp_f32_e32 v34, v34
	v_cvt_i32_f32_e32 v35, v36
	v_mul_u32_u24_e32 v33, 0x10001, v33
	v_sub_f32_e32 v31, v31, v7
	v_pk_mul_f16 v169, v169, v33
	v_pk_mul_f16 v170, v170, v33
	v_ldexp_f32 v33, v34, v35
	v_mul_f32_e32 v34, 0x3fb8aa3b, v31
	v_fma_f32 v35, v31, s5, -v34
	v_rndne_f32_e32 v36, v34
	v_fmac_f32_e32 v35, 0x32a5705f, v31
	v_sub_f32_e32 v34, v34, v36
	v_add_f32_e32 v34, v34, v35
	v_exp_f32_e32 v34, v34
	v_cvt_i32_f32_e32 v35, v36
	v_cndmask_b32_e32 v30, v32, v30, vcc
	v_cmp_ngt_f32_e32 vcc, s2, v15
	s_nop 1
	v_cndmask_b32_e32 v33, 0, v33, vcc
	v_cmp_nlt_f32_e32 vcc, s4, v15
	s_nop 1
	v_cndmask_b32_e32 v15, v32, v33, vcc
	v_ldexp_f32 v33, v34, v35
	v_cvt_f16_f32_e32 v34, v15
	v_cmp_ngt_f32_e32 vcc, s2, v31
	s_nop 1
	v_cndmask_b32_e32 v33, 0, v33, vcc
	v_cmp_nlt_f32_e32 vcc, s4, v31
	s_nop 1
	v_cndmask_b32_e32 v31, v32, v33, vcc
	v_mul_u32_u24_e32 v32, 0x10001, v34
	v_pk_fma_f32 v[16:17], v[16:17], v[14:15], v[30:31]
	v_mov_b64_e32 v[14:15], v[6:7]
	v_pk_mul_f16 v167, v167, v32
	v_pk_mul_f16 v168, v168, v32
	v_mov_b64_e32 v[12:13], v[4:5]
	v_mov_b64_e32 v[10:11], v[2:3]
	;; [unrolled: 1-line block ×3, first 2 shown]
.LBB52_137:
	scratch_load_dword v0, off, off offset:36 ; 4-byte Folded Reload
	s_waitcnt vmcnt(0)
	v_cmp_gt_i32_e32 vcc, s66, v0
	s_and_saveexec_b64 s[4:5], vcc
	s_cbranch_execz .LBB52_193
; %bb.138:
	s_load_dword s2, s[0:1], 0xd4
	v_mov_b32_e32 v0, 1.0
	s_waitcnt lgkmcnt(0)
	s_cmp_lg_u32 s2, 1
	s_cselect_b64 s[0:1], -1, 0
	s_cmp_eq_u32 s2, 1
	s_cselect_b64 s[6:7], -1, 0
	s_and_b64 vcc, exec, s[0:1]
	s_cbranch_vccnz .LBB52_140
; %bb.139:
	v_div_scale_f32 v0, s[4:5], v22, v22, 1.0
	v_rcp_f32_e32 v1, v0
	v_div_scale_f32 v2, vcc, 1.0, v22, 1.0
	v_fma_f32 v3, -v0, v1, 1.0
	v_fmac_f32_e32 v1, v3, v1
	v_mul_f32_e32 v3, v2, v1
	v_fma_f32 v4, -v0, v3, v2
	v_fmac_f32_e32 v3, v4, v1
	v_fma_f32 v0, -v0, v3, v2
	v_div_fmas_f32 v0, v0, v1, v3
	v_div_fixup_f32 v0, v0, v22, 1.0
.LBB52_140:
	scratch_load_dword v1, off, off offset:52 ; 4-byte Folded Reload
	s_mul_i32 s8, s72, s66
	s_add_i32 s8, s8, s33
	s_waitcnt vmcnt(0)
	v_add_u32_e32 v1, s8, v1
	v_mul_lo_u32 v1, v1, s67
	v_add_u32_e32 v1, s54, v1
	v_mul_lo_u32 v1, s2, v1
	v_add_u32_e32 v2, s3, v1
	s_and_saveexec_b64 s[4:5], s[48:49]
	s_cbranch_execz .LBB52_142
; %bb.141:
	v_cvt_f32_f16_sdwa v7, v181 dst_sel:DWORD dst_unused:UNUSED_PAD src0_sel:WORD_1
	v_cvt_f32_f16_e32 v6, v181
	v_cvt_f32_f16_sdwa v25, v182 dst_sel:DWORD dst_unused:UNUSED_PAD src0_sel:WORD_1
	v_cvt_f32_f16_e32 v24, v182
	s_movk_i32 s9, 0x70
	v_lshlrev_b32_e32 v4, 2, v161
	v_mad_u64_u32 v[4:5], s[10:11], v2, s9, v[4:5]
	v_mov_b32_e32 v5, 0
	v_lshl_add_u64 v[26:27], v[4:5], 2, s[60:61]
	v_pk_mul_f32 v[4:5], v[0:1], v[6:7] op_sel_hi:[0,1]
	v_pk_mul_f32 v[6:7], v[0:1], v[24:25] op_sel_hi:[0,1]
	global_store_dwordx4 v[26:27], v[4:7], off
.LBB52_142:
	s_or_b64 exec, exec, s[4:5]
	v_cmp_eq_u32_e32 vcc, 0, v161
	s_and_b64 s[4:5], vcc, s[0:1]
	s_and_saveexec_b64 s[0:1], s[4:5]
	s_cbranch_execz .LBB52_144
; %bb.143:
	v_ashrrev_i32_e32 v3, 31, v2
	v_lshl_add_u64 v[0:1], v[2:3], 3, s[62:63]
	v_mov_b32_e32 v2, v8
	v_mov_b32_e32 v3, v22
	global_store_dwordx2 v[0:1], v[2:3], off
.LBB52_144:
	s_or_b64 exec, exec, s[0:1]
	scratch_load_dword v0, off, off offset:56 ; 4-byte Folded Reload
	s_waitcnt vmcnt(0)
	v_cmp_gt_i32_e32 vcc, s66, v0
	s_and_b64 exec, exec, vcc
	s_cbranch_execz .LBB52_193
; %bb.145:
	v_cndmask_b32_e64 v0, 0, 1, s[6:7]
	v_cmp_ne_u32_e64 s[0:1], 1, v0
	s_andn2_b64 vcc, exec, s[6:7]
	v_mov_b32_e32 v2, 1.0
	s_cbranch_vccnz .LBB52_147
; %bb.146:
	v_div_scale_f32 v0, s[6:7], v23, v23, 1.0
	v_rcp_f32_e32 v1, v0
	v_div_scale_f32 v2, vcc, 1.0, v23, 1.0
	v_fma_f32 v3, -v0, v1, 1.0
	v_fmac_f32_e32 v1, v3, v1
	v_mul_f32_e32 v3, v2, v1
	v_fma_f32 v4, -v0, v3, v2
	v_fmac_f32_e32 v3, v4, v1
	v_fma_f32 v0, -v0, v3, v2
	v_div_fmas_f32 v0, v0, v1, v3
	v_div_fixup_f32 v2, v0, v23, 1.0
.LBB52_147:
	scratch_load_dword v0, off, off offset:76 ; 4-byte Folded Reload
	s_waitcnt vmcnt(0)
	v_add_u32_e32 v0, s8, v0
	v_mul_lo_u32 v0, v0, s67
	v_add_u32_e32 v0, s54, v0
	v_mul_lo_u32 v0, s2, v0
	v_add_u32_e32 v0, s3, v0
	s_and_saveexec_b64 s[6:7], s[48:49]
	s_cbranch_execz .LBB52_149
; %bb.148:
	scratch_load_dwordx2 v[4:5], off, off offset:80 ; 8-byte Folded Reload
	v_cvt_f32_f16_sdwa v7, v179 dst_sel:DWORD dst_unused:UNUSED_PAD src0_sel:WORD_1
	v_cvt_f32_f16_e32 v6, v179
	v_cvt_f32_f16_sdwa v25, v180 dst_sel:DWORD dst_unused:UNUSED_PAD src0_sel:WORD_1
	v_cvt_f32_f16_e32 v24, v180
	s_movk_i32 s9, 0x70
	s_waitcnt vmcnt(0)
	v_mad_u64_u32 v[4:5], s[10:11], v0, s9, v[4:5]
	v_mov_b32_e32 v5, 0
	v_lshl_add_u64 v[26:27], v[4:5], 2, s[60:61]
	v_pk_mul_f32 v[4:5], v[2:3], v[6:7] op_sel_hi:[0,1]
	v_pk_mul_f32 v[6:7], v[2:3], v[24:25] op_sel_hi:[0,1]
	global_store_dwordx4 v[26:27], v[4:7], off
.LBB52_149:
	s_or_b64 exec, exec, s[6:7]
	s_and_saveexec_b64 s[6:7], s[4:5]
	s_cbranch_execz .LBB52_151
; %bb.150:
	v_ashrrev_i32_e32 v1, 31, v0
	v_lshl_add_u64 v[0:1], v[0:1], 3, s[62:63]
	v_mov_b32_e32 v22, v9
	global_store_dwordx2 v[0:1], v[22:23], off
.LBB52_151:
	s_or_b64 exec, exec, s[6:7]
	scratch_load_dword v0, off, off offset:72 ; 4-byte Folded Reload
	s_waitcnt vmcnt(0)
	v_add_u32_e32 v0, s33, v0
	v_cmp_gt_i32_e32 vcc, s66, v0
	s_and_b64 exec, exec, vcc
	s_cbranch_execz .LBB52_193
; %bb.152:
	s_and_b64 vcc, exec, s[0:1]
	v_mov_b32_e32 v2, 1.0
	s_cbranch_vccnz .LBB52_154
; %bb.153:
	v_div_scale_f32 v0, s[6:7], v20, v20, 1.0
	v_rcp_f32_e32 v1, v0
	v_div_scale_f32 v2, vcc, 1.0, v20, 1.0
	v_fma_f32 v3, -v0, v1, 1.0
	v_fmac_f32_e32 v1, v3, v1
	v_mul_f32_e32 v3, v2, v1
	v_fma_f32 v4, -v0, v3, v2
	v_fmac_f32_e32 v3, v4, v1
	v_fma_f32 v0, -v0, v3, v2
	v_div_fmas_f32 v0, v0, v1, v3
	v_div_fixup_f32 v2, v0, v20, 1.0
.LBB52_154:
	scratch_load_dword v0, off, off offset:72 ; 4-byte Folded Reload
	s_waitcnt vmcnt(0)
	v_add_u32_e32 v0, s8, v0
	v_mul_lo_u32 v0, v0, s67
	v_add_u32_e32 v0, s54, v0
	v_mul_lo_u32 v0, s2, v0
	v_add_u32_e32 v0, s3, v0
	s_and_saveexec_b64 s[6:7], s[48:49]
	s_cbranch_execz .LBB52_156
; %bb.155:
	scratch_load_dwordx2 v[4:5], off, off offset:80 ; 8-byte Folded Reload
	v_cvt_f32_f16_sdwa v7, v177 dst_sel:DWORD dst_unused:UNUSED_PAD src0_sel:WORD_1
	v_cvt_f32_f16_e32 v6, v177
	v_cvt_f32_f16_sdwa v9, v178 dst_sel:DWORD dst_unused:UNUSED_PAD src0_sel:WORD_1
	v_cvt_f32_f16_e32 v8, v178
	s_movk_i32 s9, 0x70
	s_waitcnt vmcnt(0)
	v_mad_u64_u32 v[4:5], s[10:11], v0, s9, v[4:5]
	v_mov_b32_e32 v5, 0
	v_lshl_add_u64 v[22:23], v[4:5], 2, s[60:61]
	v_pk_mul_f32 v[4:5], v[2:3], v[6:7] op_sel_hi:[0,1]
	v_pk_mul_f32 v[6:7], v[2:3], v[8:9] op_sel_hi:[0,1]
	global_store_dwordx4 v[22:23], v[4:7], off
.LBB52_156:
	s_or_b64 exec, exec, s[6:7]
	s_and_saveexec_b64 s[6:7], s[4:5]
	s_cbranch_execz .LBB52_158
; %bb.157:
	v_ashrrev_i32_e32 v1, 31, v0
	v_lshl_add_u64 v[0:1], v[0:1], 3, s[62:63]
	v_mov_b32_e32 v2, v10
	v_mov_b32_e32 v3, v20
	global_store_dwordx2 v[0:1], v[2:3], off
.LBB52_158:
	s_or_b64 exec, exec, s[6:7]
	scratch_load_dword v0, off, off offset:88 ; 4-byte Folded Reload
	s_waitcnt vmcnt(0)
	v_add_u32_e32 v0, s33, v0
	v_cmp_gt_i32_e32 vcc, s66, v0
	s_and_b64 exec, exec, vcc
	s_cbranch_execz .LBB52_193
; %bb.159:
	s_and_b64 vcc, exec, s[0:1]
	v_mov_b32_e32 v2, 1.0
	s_cbranch_vccnz .LBB52_161
; %bb.160:
	v_div_scale_f32 v0, s[6:7], v21, v21, 1.0
	v_rcp_f32_e32 v1, v0
	v_div_scale_f32 v2, vcc, 1.0, v21, 1.0
	v_fma_f32 v3, -v0, v1, 1.0
	v_fmac_f32_e32 v1, v3, v1
	v_mul_f32_e32 v3, v2, v1
	v_fma_f32 v4, -v0, v3, v2
	v_fmac_f32_e32 v3, v4, v1
	v_fma_f32 v0, -v0, v3, v2
	v_div_fmas_f32 v0, v0, v1, v3
	v_div_fixup_f32 v2, v0, v21, 1.0
.LBB52_161:
	scratch_load_dword v0, off, off offset:88 ; 4-byte Folded Reload
	s_waitcnt vmcnt(0)
	v_add_u32_e32 v0, s8, v0
	v_mul_lo_u32 v0, v0, s67
	v_add_u32_e32 v0, s54, v0
	v_mul_lo_u32 v0, s2, v0
	v_add_u32_e32 v0, s3, v0
	s_and_saveexec_b64 s[6:7], s[48:49]
	s_cbranch_execz .LBB52_163
; %bb.162:
	scratch_load_dwordx2 v[4:5], off, off offset:80 ; 8-byte Folded Reload
	v_cvt_f32_f16_sdwa v7, v175 dst_sel:DWORD dst_unused:UNUSED_PAD src0_sel:WORD_1
	v_cvt_f32_f16_e32 v6, v175
	v_cvt_f32_f16_sdwa v9, v176 dst_sel:DWORD dst_unused:UNUSED_PAD src0_sel:WORD_1
	v_cvt_f32_f16_e32 v8, v176
	s_movk_i32 s9, 0x70
	s_waitcnt vmcnt(0)
	v_mad_u64_u32 v[4:5], s[10:11], v0, s9, v[4:5]
	v_mov_b32_e32 v5, 0
	v_lshl_add_u64 v[22:23], v[4:5], 2, s[60:61]
	v_pk_mul_f32 v[4:5], v[2:3], v[6:7] op_sel_hi:[0,1]
	v_pk_mul_f32 v[6:7], v[2:3], v[8:9] op_sel_hi:[0,1]
	global_store_dwordx4 v[22:23], v[4:7], off
.LBB52_163:
	s_or_b64 exec, exec, s[6:7]
	s_and_saveexec_b64 s[6:7], s[4:5]
	s_cbranch_execz .LBB52_165
; %bb.164:
	v_ashrrev_i32_e32 v1, 31, v0
	v_lshl_add_u64 v[0:1], v[0:1], 3, s[62:63]
	v_mov_b32_e32 v20, v11
	global_store_dwordx2 v[0:1], v[20:21], off
.LBB52_165:
	s_or_b64 exec, exec, s[6:7]
	scratch_load_dword v0, off, off offset:92 ; 4-byte Folded Reload
	s_waitcnt vmcnt(0)
	v_add_u32_e32 v0, s33, v0
	v_cmp_gt_i32_e32 vcc, s66, v0
	s_and_b64 exec, exec, vcc
	s_cbranch_execz .LBB52_193
; %bb.166:
	s_and_b64 vcc, exec, s[0:1]
	v_mov_b32_e32 v2, 1.0
	s_cbranch_vccnz .LBB52_168
; %bb.167:
	v_div_scale_f32 v0, s[6:7], v18, v18, 1.0
	v_rcp_f32_e32 v1, v0
	v_div_scale_f32 v2, vcc, 1.0, v18, 1.0
	v_fma_f32 v3, -v0, v1, 1.0
	v_fmac_f32_e32 v1, v3, v1
	v_mul_f32_e32 v3, v2, v1
	v_fma_f32 v4, -v0, v3, v2
	v_fmac_f32_e32 v3, v4, v1
	v_fma_f32 v0, -v0, v3, v2
	v_div_fmas_f32 v0, v0, v1, v3
	v_div_fixup_f32 v2, v0, v18, 1.0
.LBB52_168:
	scratch_load_dword v0, off, off offset:92 ; 4-byte Folded Reload
	s_waitcnt vmcnt(0)
	v_add_u32_e32 v0, s8, v0
	v_mul_lo_u32 v0, v0, s67
	v_add_u32_e32 v0, s54, v0
	v_mul_lo_u32 v0, s2, v0
	v_add_u32_e32 v0, s3, v0
	s_and_saveexec_b64 s[6:7], s[48:49]
	s_cbranch_execz .LBB52_170
; %bb.169:
	scratch_load_dwordx2 v[4:5], off, off offset:80 ; 8-byte Folded Reload
	v_cvt_f32_f16_sdwa v7, v173 dst_sel:DWORD dst_unused:UNUSED_PAD src0_sel:WORD_1
	v_cvt_f32_f16_e32 v6, v173
	v_cvt_f32_f16_sdwa v9, v174 dst_sel:DWORD dst_unused:UNUSED_PAD src0_sel:WORD_1
	v_cvt_f32_f16_e32 v8, v174
	s_movk_i32 s9, 0x70
	s_waitcnt vmcnt(0)
	v_mad_u64_u32 v[4:5], s[10:11], v0, s9, v[4:5]
	v_mov_b32_e32 v5, 0
	v_lshl_add_u64 v[10:11], v[4:5], 2, s[60:61]
	v_pk_mul_f32 v[4:5], v[2:3], v[6:7] op_sel_hi:[0,1]
	v_pk_mul_f32 v[6:7], v[2:3], v[8:9] op_sel_hi:[0,1]
	global_store_dwordx4 v[10:11], v[4:7], off
.LBB52_170:
	s_or_b64 exec, exec, s[6:7]
	s_and_saveexec_b64 s[6:7], s[4:5]
	s_cbranch_execz .LBB52_172
; %bb.171:
	v_ashrrev_i32_e32 v1, 31, v0
	v_lshl_add_u64 v[0:1], v[0:1], 3, s[62:63]
	v_mov_b32_e32 v2, v12
	v_mov_b32_e32 v3, v18
	global_store_dwordx2 v[0:1], v[2:3], off
.LBB52_172:
	s_or_b64 exec, exec, s[6:7]
	scratch_load_dword v0, off, off offset:96 ; 4-byte Folded Reload
	s_waitcnt vmcnt(0)
	v_add_u32_e32 v0, s33, v0
	v_cmp_gt_i32_e32 vcc, s66, v0
	s_and_b64 exec, exec, vcc
	s_cbranch_execz .LBB52_193
; %bb.173:
	s_and_b64 vcc, exec, s[0:1]
	v_mov_b32_e32 v2, 1.0
	s_cbranch_vccnz .LBB52_175
; %bb.174:
	v_div_scale_f32 v0, s[6:7], v19, v19, 1.0
	v_rcp_f32_e32 v1, v0
	v_div_scale_f32 v2, vcc, 1.0, v19, 1.0
	v_fma_f32 v3, -v0, v1, 1.0
	v_fmac_f32_e32 v1, v3, v1
	v_mul_f32_e32 v3, v2, v1
	v_fma_f32 v4, -v0, v3, v2
	v_fmac_f32_e32 v3, v4, v1
	v_fma_f32 v0, -v0, v3, v2
	v_div_fmas_f32 v0, v0, v1, v3
	v_div_fixup_f32 v2, v0, v19, 1.0
.LBB52_175:
	scratch_load_dword v0, off, off offset:96 ; 4-byte Folded Reload
	s_waitcnt vmcnt(0)
	v_add_u32_e32 v0, s8, v0
	v_mul_lo_u32 v0, v0, s67
	v_add_u32_e32 v0, s54, v0
	v_mul_lo_u32 v0, s2, v0
	v_add_u32_e32 v0, s3, v0
	s_and_saveexec_b64 s[6:7], s[48:49]
	s_cbranch_execz .LBB52_177
; %bb.176:
	scratch_load_dwordx2 v[4:5], off, off offset:80 ; 8-byte Folded Reload
	v_cvt_f32_f16_sdwa v7, v171 dst_sel:DWORD dst_unused:UNUSED_PAD src0_sel:WORD_1
	v_cvt_f32_f16_e32 v6, v171
	v_cvt_f32_f16_sdwa v9, v172 dst_sel:DWORD dst_unused:UNUSED_PAD src0_sel:WORD_1
	v_cvt_f32_f16_e32 v8, v172
	s_movk_i32 s9, 0x70
	s_waitcnt vmcnt(0)
	v_mad_u64_u32 v[4:5], s[10:11], v0, s9, v[4:5]
	v_mov_b32_e32 v5, 0
	v_lshl_add_u64 v[10:11], v[4:5], 2, s[60:61]
	v_pk_mul_f32 v[4:5], v[2:3], v[6:7] op_sel_hi:[0,1]
	v_pk_mul_f32 v[6:7], v[2:3], v[8:9] op_sel_hi:[0,1]
	global_store_dwordx4 v[10:11], v[4:7], off
.LBB52_177:
	s_or_b64 exec, exec, s[6:7]
	s_and_saveexec_b64 s[6:7], s[4:5]
	s_cbranch_execz .LBB52_179
; %bb.178:
	v_ashrrev_i32_e32 v1, 31, v0
	v_lshl_add_u64 v[0:1], v[0:1], 3, s[62:63]
	v_mov_b32_e32 v18, v13
	global_store_dwordx2 v[0:1], v[18:19], off
.LBB52_179:
	s_or_b64 exec, exec, s[6:7]
	scratch_load_dword v0, off, off offset:100 ; 4-byte Folded Reload
	s_waitcnt vmcnt(0)
	v_add_u32_e32 v0, s33, v0
	v_cmp_gt_i32_e32 vcc, s66, v0
	s_and_b64 exec, exec, vcc
	s_cbranch_execz .LBB52_193
; %bb.180:
	s_and_b64 vcc, exec, s[0:1]
	v_mov_b32_e32 v2, 1.0
	s_cbranch_vccnz .LBB52_182
; %bb.181:
	v_div_scale_f32 v0, s[6:7], v16, v16, 1.0
	v_rcp_f32_e32 v1, v0
	v_div_scale_f32 v2, vcc, 1.0, v16, 1.0
	v_fma_f32 v3, -v0, v1, 1.0
	v_fmac_f32_e32 v1, v3, v1
	v_mul_f32_e32 v3, v2, v1
	v_fma_f32 v4, -v0, v3, v2
	v_fmac_f32_e32 v3, v4, v1
	v_fma_f32 v0, -v0, v3, v2
	v_div_fmas_f32 v0, v0, v1, v3
	v_div_fixup_f32 v2, v0, v16, 1.0
.LBB52_182:
	scratch_load_dword v0, off, off offset:100 ; 4-byte Folded Reload
	s_waitcnt vmcnt(0)
	v_add_u32_e32 v0, s8, v0
	v_mul_lo_u32 v0, v0, s67
	v_add_u32_e32 v0, s54, v0
	v_mul_lo_u32 v0, s2, v0
	v_add_u32_e32 v0, s3, v0
	s_and_saveexec_b64 s[6:7], s[48:49]
	s_cbranch_execz .LBB52_184
; %bb.183:
	scratch_load_dwordx2 v[4:5], off, off offset:80 ; 8-byte Folded Reload
	v_cvt_f32_f16_sdwa v7, v169 dst_sel:DWORD dst_unused:UNUSED_PAD src0_sel:WORD_1
	v_cvt_f32_f16_e32 v6, v169
	v_cvt_f32_f16_sdwa v9, v170 dst_sel:DWORD dst_unused:UNUSED_PAD src0_sel:WORD_1
	v_cvt_f32_f16_e32 v8, v170
	s_movk_i32 s9, 0x70
	s_waitcnt vmcnt(0)
	v_mad_u64_u32 v[4:5], s[10:11], v0, s9, v[4:5]
	v_mov_b32_e32 v5, 0
	v_lshl_add_u64 v[10:11], v[4:5], 2, s[60:61]
	v_pk_mul_f32 v[4:5], v[2:3], v[6:7] op_sel_hi:[0,1]
	v_pk_mul_f32 v[6:7], v[2:3], v[8:9] op_sel_hi:[0,1]
	global_store_dwordx4 v[10:11], v[4:7], off
.LBB52_184:
	s_or_b64 exec, exec, s[6:7]
	s_and_saveexec_b64 s[6:7], s[4:5]
	s_cbranch_execz .LBB52_186
; %bb.185:
	v_ashrrev_i32_e32 v1, 31, v0
	v_lshl_add_u64 v[0:1], v[0:1], 3, s[62:63]
	v_mov_b32_e32 v2, v14
	v_mov_b32_e32 v3, v16
	global_store_dwordx2 v[0:1], v[2:3], off
.LBB52_186:
	s_or_b64 exec, exec, s[6:7]
	scratch_load_dword v0, off, off offset:104 ; 4-byte Folded Reload
	s_waitcnt vmcnt(0)
	v_add_u32_e32 v0, s33, v0
	v_cmp_gt_i32_e32 vcc, s66, v0
	s_and_b64 exec, exec, vcc
	s_cbranch_execz .LBB52_193
; %bb.187:
	s_and_b64 vcc, exec, s[0:1]
	v_mov_b32_e32 v2, 1.0
	s_cbranch_vccnz .LBB52_189
; %bb.188:
	v_div_scale_f32 v0, s[0:1], v17, v17, 1.0
	v_rcp_f32_e32 v1, v0
	v_div_scale_f32 v2, vcc, 1.0, v17, 1.0
	v_fma_f32 v3, -v0, v1, 1.0
	v_fmac_f32_e32 v1, v3, v1
	v_mul_f32_e32 v3, v2, v1
	v_fma_f32 v4, -v0, v3, v2
	v_fmac_f32_e32 v3, v4, v1
	v_fma_f32 v0, -v0, v3, v2
	v_div_fmas_f32 v0, v0, v1, v3
	v_div_fixup_f32 v2, v0, v17, 1.0
.LBB52_189:
	scratch_load_dword v0, off, off offset:104 ; 4-byte Folded Reload
	s_waitcnt vmcnt(0)
	v_add_u32_e32 v0, s8, v0
	v_mul_lo_u32 v0, v0, s67
	v_add_u32_e32 v0, s54, v0
	v_mul_lo_u32 v0, s2, v0
	v_add_u32_e32 v0, s3, v0
	s_and_saveexec_b64 s[0:1], s[48:49]
	s_cbranch_execz .LBB52_191
; %bb.190:
	scratch_load_dwordx2 v[4:5], off, off offset:80 ; 8-byte Folded Reload
	v_cvt_f32_f16_sdwa v7, v167 dst_sel:DWORD dst_unused:UNUSED_PAD src0_sel:WORD_1
	v_cvt_f32_f16_e32 v6, v167
	v_cvt_f32_f16_sdwa v9, v168 dst_sel:DWORD dst_unused:UNUSED_PAD src0_sel:WORD_1
	v_cvt_f32_f16_e32 v8, v168
	s_movk_i32 s2, 0x70
	s_waitcnt vmcnt(0)
	v_mad_u64_u32 v[4:5], s[2:3], v0, s2, v[4:5]
	v_mov_b32_e32 v5, 0
	v_lshl_add_u64 v[10:11], v[4:5], 2, s[60:61]
	v_pk_mul_f32 v[4:5], v[2:3], v[6:7] op_sel_hi:[0,1]
	v_pk_mul_f32 v[6:7], v[2:3], v[8:9] op_sel_hi:[0,1]
	global_store_dwordx4 v[10:11], v[4:7], off
.LBB52_191:
	s_or_b64 exec, exec, s[0:1]
	s_and_b64 exec, exec, s[4:5]
	s_cbranch_execz .LBB52_193
; %bb.192:
	v_ashrrev_i32_e32 v1, 31, v0
	v_lshl_add_u64 v[0:1], v[0:1], 3, s[62:63]
	v_mov_b32_e32 v16, v15
	global_store_dwordx2 v[0:1], v[16:17], off
.LBB52_193:
	s_endpgm
	.section	.rodata,"a",@progbits
	.p2align	6, 0x0
	.amdhsa_kernel _ZL15flash_attn_tileILi112ELi112ELi64ELi1ELb0EEvPKcS1_S1_S1_S1_PKiPfP15HIP_vector_typeIfLj2EEffffjfiS5_IjLj3EEiiiiiiiiiiiliiliiiiil
		.amdhsa_group_segment_fixed_size 22592
		.amdhsa_private_segment_fixed_size 112
		.amdhsa_kernarg_size 464
		.amdhsa_user_sgpr_count 2
		.amdhsa_user_sgpr_dispatch_ptr 0
		.amdhsa_user_sgpr_queue_ptr 0
		.amdhsa_user_sgpr_kernarg_segment_ptr 1
		.amdhsa_user_sgpr_dispatch_id 0
		.amdhsa_user_sgpr_kernarg_preload_length 0
		.amdhsa_user_sgpr_kernarg_preload_offset 0
		.amdhsa_user_sgpr_private_segment_size 0
		.amdhsa_uses_dynamic_stack 0
		.amdhsa_enable_private_segment 1
		.amdhsa_system_sgpr_workgroup_id_x 1
		.amdhsa_system_sgpr_workgroup_id_y 1
		.amdhsa_system_sgpr_workgroup_id_z 1
		.amdhsa_system_sgpr_workgroup_info 0
		.amdhsa_system_vgpr_workitem_id 1
		.amdhsa_next_free_vgpr 256
		.amdhsa_next_free_sgpr 80
		.amdhsa_accum_offset 256
		.amdhsa_reserve_vcc 1
		.amdhsa_float_round_mode_32 0
		.amdhsa_float_round_mode_16_64 0
		.amdhsa_float_denorm_mode_32 3
		.amdhsa_float_denorm_mode_16_64 3
		.amdhsa_dx10_clamp 1
		.amdhsa_ieee_mode 1
		.amdhsa_fp16_overflow 0
		.amdhsa_tg_split 0
		.amdhsa_exception_fp_ieee_invalid_op 0
		.amdhsa_exception_fp_denorm_src 0
		.amdhsa_exception_fp_ieee_div_zero 0
		.amdhsa_exception_fp_ieee_overflow 0
		.amdhsa_exception_fp_ieee_underflow 0
		.amdhsa_exception_fp_ieee_inexact 0
		.amdhsa_exception_int_div_zero 0
	.end_amdhsa_kernel
	.section	.text._ZL15flash_attn_tileILi112ELi112ELi64ELi1ELb0EEvPKcS1_S1_S1_S1_PKiPfP15HIP_vector_typeIfLj2EEffffjfiS5_IjLj3EEiiiiiiiiiiiliiliiiiil,"axG",@progbits,_ZL15flash_attn_tileILi112ELi112ELi64ELi1ELb0EEvPKcS1_S1_S1_S1_PKiPfP15HIP_vector_typeIfLj2EEffffjfiS5_IjLj3EEiiiiiiiiiiiliiliiiiil,comdat
.Lfunc_end52:
	.size	_ZL15flash_attn_tileILi112ELi112ELi64ELi1ELb0EEvPKcS1_S1_S1_S1_PKiPfP15HIP_vector_typeIfLj2EEffffjfiS5_IjLj3EEiiiiiiiiiiiliiliiiiil, .Lfunc_end52-_ZL15flash_attn_tileILi112ELi112ELi64ELi1ELb0EEvPKcS1_S1_S1_S1_PKiPfP15HIP_vector_typeIfLj2EEffffjfiS5_IjLj3EEiiiiiiiiiiiliiliiiiil
                                        ; -- End function
	.set _ZL15flash_attn_tileILi112ELi112ELi64ELi1ELb0EEvPKcS1_S1_S1_S1_PKiPfP15HIP_vector_typeIfLj2EEffffjfiS5_IjLj3EEiiiiiiiiiiiliiliiiiil.num_vgpr, 256
	.set _ZL15flash_attn_tileILi112ELi112ELi64ELi1ELb0EEvPKcS1_S1_S1_S1_PKiPfP15HIP_vector_typeIfLj2EEffffjfiS5_IjLj3EEiiiiiiiiiiiliiliiiiil.num_agpr, 0
	.set _ZL15flash_attn_tileILi112ELi112ELi64ELi1ELb0EEvPKcS1_S1_S1_S1_PKiPfP15HIP_vector_typeIfLj2EEffffjfiS5_IjLj3EEiiiiiiiiiiiliiliiiiil.numbered_sgpr, 80
	.set _ZL15flash_attn_tileILi112ELi112ELi64ELi1ELb0EEvPKcS1_S1_S1_S1_PKiPfP15HIP_vector_typeIfLj2EEffffjfiS5_IjLj3EEiiiiiiiiiiiliiliiiiil.num_named_barrier, 0
	.set _ZL15flash_attn_tileILi112ELi112ELi64ELi1ELb0EEvPKcS1_S1_S1_S1_PKiPfP15HIP_vector_typeIfLj2EEffffjfiS5_IjLj3EEiiiiiiiiiiiliiliiiiil.private_seg_size, 112
	.set _ZL15flash_attn_tileILi112ELi112ELi64ELi1ELb0EEvPKcS1_S1_S1_S1_PKiPfP15HIP_vector_typeIfLj2EEffffjfiS5_IjLj3EEiiiiiiiiiiiliiliiiiil.uses_vcc, 1
	.set _ZL15flash_attn_tileILi112ELi112ELi64ELi1ELb0EEvPKcS1_S1_S1_S1_PKiPfP15HIP_vector_typeIfLj2EEffffjfiS5_IjLj3EEiiiiiiiiiiiliiliiiiil.uses_flat_scratch, 0
	.set _ZL15flash_attn_tileILi112ELi112ELi64ELi1ELb0EEvPKcS1_S1_S1_S1_PKiPfP15HIP_vector_typeIfLj2EEffffjfiS5_IjLj3EEiiiiiiiiiiiliiliiiiil.has_dyn_sized_stack, 0
	.set _ZL15flash_attn_tileILi112ELi112ELi64ELi1ELb0EEvPKcS1_S1_S1_S1_PKiPfP15HIP_vector_typeIfLj2EEffffjfiS5_IjLj3EEiiiiiiiiiiiliiliiiiil.has_recursion, 0
	.set _ZL15flash_attn_tileILi112ELi112ELi64ELi1ELb0EEvPKcS1_S1_S1_S1_PKiPfP15HIP_vector_typeIfLj2EEffffjfiS5_IjLj3EEiiiiiiiiiiiliiliiiiil.has_indirect_call, 0
	.section	.AMDGPU.csdata,"",@progbits
; Kernel info:
; codeLenInByte = 52464
; TotalNumSgprs: 86
; NumVgprs: 256
; NumAgprs: 0
; TotalNumVgprs: 256
; ScratchSize: 112
; MemoryBound: 0
; FloatMode: 240
; IeeeMode: 1
; LDSByteSize: 22592 bytes/workgroup (compile time only)
; SGPRBlocks: 10
; VGPRBlocks: 31
; NumSGPRsForWavesPerEU: 86
; NumVGPRsForWavesPerEU: 256
; AccumOffset: 256
; Occupancy: 2
; WaveLimiterHint : 1
; COMPUTE_PGM_RSRC2:SCRATCH_EN: 1
; COMPUTE_PGM_RSRC2:USER_SGPR: 2
; COMPUTE_PGM_RSRC2:TRAP_HANDLER: 0
; COMPUTE_PGM_RSRC2:TGID_X_EN: 1
; COMPUTE_PGM_RSRC2:TGID_Y_EN: 1
; COMPUTE_PGM_RSRC2:TGID_Z_EN: 1
; COMPUTE_PGM_RSRC2:TIDIG_COMP_CNT: 1
; COMPUTE_PGM_RSRC3_GFX90A:ACCUM_OFFSET: 63
; COMPUTE_PGM_RSRC3_GFX90A:TG_SPLIT: 0
	.section	.text._ZL25flash_attn_mask_to_KV_maxILi64EEvPK7__half2Piiii,"axG",@progbits,_ZL25flash_attn_mask_to_KV_maxILi64EEvPK7__half2Piiii,comdat
	.globl	_ZL25flash_attn_mask_to_KV_maxILi64EEvPK7__half2Piiii ; -- Begin function _ZL25flash_attn_mask_to_KV_maxILi64EEvPK7__half2Piiii
	.p2align	8
	.type	_ZL25flash_attn_mask_to_KV_maxILi64EEvPK7__half2Piiii,@function
_ZL25flash_attn_mask_to_KV_maxILi64EEvPK7__half2Piiii: ; @_ZL25flash_attn_mask_to_KV_maxILi64EEvPK7__half2Piiii
; %bb.0:
	s_load_dwordx4 s[4:7], s[0:1], 0x0
	v_cmp_gt_u32_e32 vcc, 32, v0
	s_and_saveexec_b64 s[8:9], vcc
; %bb.1:
	v_lshlrev_b32_e32 v1, 2, v0
	v_mov_b32_e32 v2, 1
	ds_write_b32 v1, v2
; %bb.2:
	s_or_b64 exec, exec, s[8:9]
	s_load_dwordx4 s[8:11], s[0:1], 0x10
	s_load_dword s33, s[0:1], 0x20
	v_and_b32_e32 v2, 31, v0
	v_lshlrev_b32_e32 v6, 2, v2
	v_lshrrev_b32_e32 v1, 3, v0
	s_waitcnt lgkmcnt(0)
	s_mul_i32 s1, s2, s9
	s_mul_i32 s0, s10, s3
	s_lshl_b32 s1, s1, 6
	s_add_i32 s0, s0, s1
	s_ashr_i32 s1, s0, 31
	s_lshl_b64 s[0:1], s[0:1], 2
	s_add_u32 s10, s4, s0
	s_addc_u32 s11, s5, s1
	v_cmp_eq_u32_e64 s[0:1], 0, v2
	v_mbcnt_lo_u32_b32 v2, -1, 0
	s_lshl_b32 s8, s8, 8
	s_mov_b64 s[12:13], 0
	v_mov_b32_e32 v3, 0
	s_movk_i32 s98, 0x204
	v_mbcnt_hi_u32_b32 v7, -1, v2
	s_barrier
                                        ; implicit-def: $sgpr4_sgpr5
	s_branch .LBB53_5
.LBB53_3:                               ;   in Loop: Header=BB53_5 Depth=1
	s_or_b64 exec, exec, s[14:15]
	s_waitcnt lgkmcnt(0)
	s_barrier
	ds_read_b32 v10, v6
	s_waitcnt lgkmcnt(0)
	s_barrier
	ds_bpermute_b32 v2, v2, v10
	v_cmp_ne_u32_e32 vcc, 0, v10
	s_waitcnt lgkmcnt(0)
	v_cmp_ne_u32_e64 s[4:5], 0, v2
	s_and_b64 s[4:5], vcc, s[4:5]
	s_nop 0
	v_cndmask_b32_e64 v2, 0, 1, s[4:5]
	ds_bpermute_b32 v2, v4, v2
	s_waitcnt lgkmcnt(0)
	v_cmp_ne_u32_e32 vcc, 0, v2
	s_and_b64 s[4:5], vcc, s[4:5]
	v_cndmask_b32_e64 v2, 0, 1, s[4:5]
	ds_bpermute_b32 v2, v5, v2
	s_waitcnt lgkmcnt(0)
	v_cmp_ne_u32_e32 vcc, 0, v2
	s_and_b64 s[4:5], vcc, s[4:5]
	;; [unrolled: 5-line block ×3, first 2 shown]
	v_cndmask_b32_e64 v2, 0, 1, s[4:5]
	ds_bpermute_b32 v2, v9, v2
	s_xor_b64 s[4:5], s[4:5], -1
	s_waitcnt lgkmcnt(0)
	v_cmp_eq_u32_e32 vcc, 0, v2
	s_or_b64 s[4:5], vcc, s[4:5]
.LBB53_4:                               ;   in Loop: Header=BB53_5 Depth=1
	s_and_b64 s[14:15], exec, s[4:5]
	s_or_b64 s[12:13], s[14:15], s[12:13]
	v_mov_b32_e32 v2, s8
	s_mov_b32 s8, s99
	s_andn2_b64 exec, exec, s[12:13]
	s_cbranch_execz .LBB53_260
.LBB53_5:                               ; =>This Inner Loop Header: Depth=1
	s_add_i32 s99, s8, 0xffffff00
	s_or_b64 s[4:5], s[4:5], exec
	s_cmp_lt_i32 s99, 0
	s_cbranch_scc1 .LBB53_4
; %bb.6:                                ;   in Loop: Header=BB53_5 Depth=1
	s_lshr_b32 s4, s99, 1
	v_add_u32_e32 v2, s4, v0
	v_lshl_add_u64 v[4:5], v[2:3], 2, s[10:11]
	global_load_dword v4, v[4:5], off
	v_mov_b32_e32 v5, 0
	s_waitcnt vmcnt(0)
	v_cmp_class_f16_e64 s[4:5], v4, s98
	v_cmp_class_f16_sdwa s[14:15], v4, s98 src0_sel:WORD_1 src1_sel:DWORD
	s_and_b64 s[14:15], s[4:5], s[14:15]
	s_and_saveexec_b64 s[4:5], s[14:15]
	s_cbranch_execz .LBB53_258
; %bb.7:                                ;   in Loop: Header=BB53_5 Depth=1
	v_add_u32_e32 v4, s9, v2
	v_ashrrev_i32_e32 v5, 31, v4
	v_lshl_add_u64 v[8:9], v[4:5], 2, s[10:11]
	global_load_dword v2, v[8:9], off
	v_mov_b32_e32 v5, 0
	s_waitcnt vmcnt(0)
	v_cmp_class_f16_e64 s[16:17], v2, s98
	s_and_saveexec_b64 s[14:15], s[16:17]
	s_cbranch_execz .LBB53_257
; %bb.8:                                ;   in Loop: Header=BB53_5 Depth=1
	v_cmp_class_f16_sdwa s[18:19], v2, s98 src0_sel:WORD_1 src1_sel:DWORD
	v_mov_b32_e32 v5, 0
	s_and_saveexec_b64 s[16:17], s[18:19]
	s_cbranch_execz .LBB53_256
; %bb.9:                                ;   in Loop: Header=BB53_5 Depth=1
	v_add_u32_e32 v4, s9, v4
	v_ashrrev_i32_e32 v5, 31, v4
	v_lshl_add_u64 v[8:9], v[4:5], 2, s[10:11]
	global_load_dword v2, v[8:9], off
	v_mov_b32_e32 v5, 0
	s_waitcnt vmcnt(0)
	v_cmp_class_f16_e64 s[20:21], v2, s98
	s_and_saveexec_b64 s[18:19], s[20:21]
	s_cbranch_execz .LBB53_255
; %bb.10:                               ;   in Loop: Header=BB53_5 Depth=1
	v_cmp_class_f16_sdwa s[22:23], v2, s98 src0_sel:WORD_1 src1_sel:DWORD
	v_mov_b32_e32 v5, 0
	s_and_saveexec_b64 s[20:21], s[22:23]
	s_cbranch_execz .LBB53_254
; %bb.11:                               ;   in Loop: Header=BB53_5 Depth=1
	v_add_u32_e32 v4, s9, v4
	v_ashrrev_i32_e32 v5, 31, v4
	v_lshl_add_u64 v[8:9], v[4:5], 2, s[10:11]
	global_load_dword v2, v[8:9], off
	v_mov_b32_e32 v5, 0
	s_waitcnt vmcnt(0)
	v_cmp_class_f16_e64 s[24:25], v2, s98
	s_and_saveexec_b64 s[22:23], s[24:25]
	s_cbranch_execz .LBB53_253
; %bb.12:                               ;   in Loop: Header=BB53_5 Depth=1
	v_cmp_class_f16_sdwa s[26:27], v2, s98 src0_sel:WORD_1 src1_sel:DWORD
	v_mov_b32_e32 v5, 0
	s_and_saveexec_b64 s[24:25], s[26:27]
	s_cbranch_execz .LBB53_252
; %bb.13:                               ;   in Loop: Header=BB53_5 Depth=1
	;; [unrolled: 15-line block ×19, first 2 shown]
	v_add_u32_e32 v4, s9, v4
	v_ashrrev_i32_e32 v5, 31, v4
	v_lshl_add_u64 v[8:9], v[4:5], 2, s[10:11]
	global_load_dword v2, v[8:9], off
	v_mov_b32_e32 v5, 0
	s_waitcnt vmcnt(0)
	v_cmp_class_f16_e64 vcc, v2, s98
	s_mov_b64 s[96:97], exec
                                        ; implicit-def: $vgpr14 : SGPR spill to VGPR lane
	v_writelane_b32 v14, s96, 0
	s_and_b64 vcc, s[96:97], vcc
	s_nop 0
	v_writelane_b32 v14, s97, 1
	s_mov_b64 exec, vcc
	s_cbranch_execz .LBB53_217
; %bb.48:                               ;   in Loop: Header=BB53_5 Depth=1
	v_mov_b32_e32 v5, 0
	v_cmp_class_f16_sdwa s[96:97], v2, s98 src0_sel:WORD_1 src1_sel:DWORD
	s_mov_b64 vcc, exec
	s_nop 0
	v_writelane_b32 v14, vcc_lo, 2
	s_and_b64 s[96:97], vcc, s[96:97]
	s_nop 0
	v_writelane_b32 v14, vcc_hi, 3
	s_mov_b64 exec, s[96:97]
	s_cbranch_execz .LBB53_216
; %bb.49:                               ;   in Loop: Header=BB53_5 Depth=1
	v_add_u32_e32 v4, s9, v4
	v_ashrrev_i32_e32 v5, 31, v4
	v_lshl_add_u64 v[8:9], v[4:5], 2, s[10:11]
	global_load_dword v2, v[8:9], off
	v_mov_b32_e32 v5, 0
	s_waitcnt vmcnt(0)
	v_cmp_class_f16_e64 s[96:97], v2, s98
	s_mov_b64 vcc, exec
	v_writelane_b32 v14, vcc_lo, 4
	s_and_b64 s[96:97], vcc, s[96:97]
	s_nop 0
	v_writelane_b32 v14, vcc_hi, 5
	s_mov_b64 exec, s[96:97]
	s_cbranch_execz .LBB53_215
; %bb.50:                               ;   in Loop: Header=BB53_5 Depth=1
	v_mov_b32_e32 v5, 0
	v_cmp_class_f16_sdwa s[96:97], v2, s98 src0_sel:WORD_1 src1_sel:DWORD
	s_mov_b64 vcc, exec
	s_nop 0
	v_writelane_b32 v14, vcc_lo, 6
	s_and_b64 s[96:97], vcc, s[96:97]
	s_nop 0
	v_writelane_b32 v14, vcc_hi, 7
	s_mov_b64 exec, s[96:97]
	s_cbranch_execz .LBB53_214
; %bb.51:                               ;   in Loop: Header=BB53_5 Depth=1
	v_add_u32_e32 v4, s9, v4
	v_ashrrev_i32_e32 v5, 31, v4
	v_lshl_add_u64 v[8:9], v[4:5], 2, s[10:11]
	global_load_dword v2, v[8:9], off
	v_mov_b32_e32 v5, 0
	s_waitcnt vmcnt(0)
	v_cmp_class_f16_e64 s[96:97], v2, s98
	s_mov_b64 vcc, exec
	v_writelane_b32 v14, vcc_lo, 8
	s_and_b64 s[96:97], vcc, s[96:97]
	s_nop 0
	v_writelane_b32 v14, vcc_hi, 9
	s_mov_b64 exec, s[96:97]
	;; [unrolled: 26-line block ×15, first 2 shown]
	s_cbranch_execz .LBB53_187
; %bb.78:                               ;   in Loop: Header=BB53_5 Depth=1
	v_mov_b32_e32 v5, 0
	v_cmp_class_f16_sdwa s[96:97], v2, s98 src0_sel:WORD_1 src1_sel:DWORD
	s_mov_b64 vcc, exec
	s_nop 0
	v_writelane_b32 v14, vcc_lo, 62
	s_and_b64 s[96:97], vcc, s[96:97]
	s_nop 0
	v_writelane_b32 v14, vcc_hi, 63
	s_mov_b64 exec, s[96:97]
	s_cbranch_execz .LBB53_186
; %bb.79:                               ;   in Loop: Header=BB53_5 Depth=1
	v_add_u32_e32 v4, s9, v4
	v_ashrrev_i32_e32 v5, 31, v4
	v_lshl_add_u64 v[8:9], v[4:5], 2, s[10:11]
	global_load_dword v2, v[8:9], off
	v_mov_b32_e32 v5, 0
	s_waitcnt vmcnt(0)
	v_cmp_class_f16_e64 s[96:97], v2, s98
	s_mov_b64 vcc, exec
                                        ; implicit-def: $vgpr13 : SGPR spill to VGPR lane
	v_writelane_b32 v13, vcc_lo, 0
	s_and_b64 s[96:97], vcc, s[96:97]
	s_nop 0
	v_writelane_b32 v13, vcc_hi, 1
	s_mov_b64 exec, s[96:97]
	s_cbranch_execz .LBB53_185
; %bb.80:                               ;   in Loop: Header=BB53_5 Depth=1
	v_mov_b32_e32 v5, 0
	v_cmp_class_f16_sdwa s[96:97], v2, s98 src0_sel:WORD_1 src1_sel:DWORD
	s_mov_b64 vcc, exec
	s_nop 0
	v_writelane_b32 v13, vcc_lo, 2
	s_and_b64 s[96:97], vcc, s[96:97]
	s_nop 0
	v_writelane_b32 v13, vcc_hi, 3
	s_mov_b64 exec, s[96:97]
	s_cbranch_execz .LBB53_184
; %bb.81:                               ;   in Loop: Header=BB53_5 Depth=1
	v_add_u32_e32 v4, s9, v4
	v_ashrrev_i32_e32 v5, 31, v4
	v_lshl_add_u64 v[8:9], v[4:5], 2, s[10:11]
	global_load_dword v2, v[8:9], off
	v_mov_b32_e32 v5, 0
	s_waitcnt vmcnt(0)
	v_cmp_class_f16_e64 s[96:97], v2, s98
	s_mov_b64 vcc, exec
	v_writelane_b32 v13, vcc_lo, 4
	s_and_b64 s[96:97], vcc, s[96:97]
	s_nop 0
	v_writelane_b32 v13, vcc_hi, 5
	s_mov_b64 exec, s[96:97]
	s_cbranch_execz .LBB53_183
; %bb.82:                               ;   in Loop: Header=BB53_5 Depth=1
	v_mov_b32_e32 v5, 0
	v_cmp_class_f16_sdwa s[96:97], v2, s98 src0_sel:WORD_1 src1_sel:DWORD
	s_mov_b64 vcc, exec
	s_nop 0
	v_writelane_b32 v13, vcc_lo, 6
	s_and_b64 s[96:97], vcc, s[96:97]
	s_nop 0
	v_writelane_b32 v13, vcc_hi, 7
	s_mov_b64 exec, s[96:97]
	s_cbranch_execz .LBB53_182
; %bb.83:                               ;   in Loop: Header=BB53_5 Depth=1
	v_add_u32_e32 v4, s9, v4
	v_ashrrev_i32_e32 v5, 31, v4
	v_lshl_add_u64 v[8:9], v[4:5], 2, s[10:11]
	global_load_dword v2, v[8:9], off
	v_mov_b32_e32 v5, 0
	s_waitcnt vmcnt(0)
	v_cmp_class_f16_e64 s[96:97], v2, s98
	s_mov_b64 vcc, exec
	;; [unrolled: 26-line block ×10, first 2 shown]
	v_writelane_b32 v13, vcc_lo, 40
	s_and_b64 s[96:97], vcc, s[96:97]
	s_nop 0
	v_writelane_b32 v13, vcc_hi, 41
	s_mov_b64 exec, s[96:97]
	s_cbranch_execz .LBB53_165
; %bb.100:                              ;   in Loop: Header=BB53_5 Depth=1
	v_mov_b32_e32 v5, 0
	v_cmp_class_f16_sdwa s[96:97], v2, s98 src0_sel:WORD_1 src1_sel:DWORD
	s_mov_b64 vcc, exec
	s_nop 0
	v_writelane_b32 v13, vcc_lo, 42
	s_and_b64 s[96:97], vcc, s[96:97]
	s_nop 0
	v_writelane_b32 v13, vcc_hi, 43
	s_mov_b64 exec, s[96:97]
	s_cbranch_execz .LBB53_164
; %bb.101:                              ;   in Loop: Header=BB53_5 Depth=1
	v_add_u32_e32 v4, s9, v4
	v_ashrrev_i32_e32 v5, 31, v4
	v_lshl_add_u64 v[8:9], v[4:5], 2, s[10:11]
	global_load_dword v2, v[8:9], off
	v_mov_b32_e32 v5, 0
	s_waitcnt vmcnt(0)
	v_cmp_class_f16_e64 s[96:97], v2, s98
	s_mov_b64 vcc, exec
	v_writelane_b32 v13, vcc_lo, 44
	s_and_b64 s[96:97], vcc, s[96:97]
	s_nop 0
	v_writelane_b32 v13, vcc_hi, 45
	s_mov_b64 exec, s[96:97]
	s_cbranch_execz .LBB53_163
; %bb.102:                              ;   in Loop: Header=BB53_5 Depth=1
	v_mov_b32_e32 v5, 0
	v_cmp_class_f16_sdwa s[96:97], v2, s98 src0_sel:WORD_1 src1_sel:DWORD
	s_mov_b64 vcc, exec
	s_nop 0
	v_writelane_b32 v13, vcc_lo, 46
	s_and_b64 s[96:97], vcc, s[96:97]
	s_nop 0
	v_writelane_b32 v13, vcc_hi, 47
	s_mov_b64 exec, s[96:97]
	s_cbranch_execz .LBB53_162
; %bb.103:                              ;   in Loop: Header=BB53_5 Depth=1
	v_add_u32_e32 v4, s9, v4
	v_ashrrev_i32_e32 v5, 31, v4
	v_lshl_add_u64 v[8:9], v[4:5], 2, s[10:11]
	global_load_dword v2, v[8:9], off
	v_mov_b32_e32 v5, 0
	s_waitcnt vmcnt(0)
	v_cmp_class_f16_e64 s[96:97], v2, s98
	s_mov_b64 vcc, exec
	;; [unrolled: 26-line block ×6, first 2 shown]
                                        ; implicit-def: $vgpr12 : SGPR spill to VGPR lane
	v_writelane_b32 v12, vcc_lo, 0
	s_and_b64 s[96:97], vcc, s[96:97]
	s_nop 0
	v_writelane_b32 v12, vcc_hi, 1
	s_mov_b64 exec, s[96:97]
	s_cbranch_execz .LBB53_153
; %bb.112:                              ;   in Loop: Header=BB53_5 Depth=1
	v_mov_b32_e32 v5, 0
	v_cmp_class_f16_sdwa s[96:97], v2, s98 src0_sel:WORD_1 src1_sel:DWORD
	s_mov_b64 vcc, exec
	s_nop 0
	v_writelane_b32 v12, vcc_lo, 2
	s_and_b64 s[96:97], vcc, s[96:97]
	s_nop 0
	v_writelane_b32 v12, vcc_hi, 3
	s_mov_b64 exec, s[96:97]
	s_cbranch_execz .LBB53_152
; %bb.113:                              ;   in Loop: Header=BB53_5 Depth=1
	v_add_u32_e32 v4, s9, v4
	v_ashrrev_i32_e32 v5, 31, v4
	v_lshl_add_u64 v[8:9], v[4:5], 2, s[10:11]
	global_load_dword v2, v[8:9], off
	v_mov_b32_e32 v5, 0
	s_waitcnt vmcnt(0)
	v_cmp_class_f16_e64 s[96:97], v2, s98
	s_mov_b64 vcc, exec
	v_writelane_b32 v12, vcc_lo, 4
	s_and_b64 s[96:97], vcc, s[96:97]
	s_nop 0
	v_writelane_b32 v12, vcc_hi, 5
	s_mov_b64 exec, s[96:97]
	s_cbranch_execz .LBB53_151
; %bb.114:                              ;   in Loop: Header=BB53_5 Depth=1
	v_mov_b32_e32 v5, 0
	v_cmp_class_f16_sdwa s[96:97], v2, s98 src0_sel:WORD_1 src1_sel:DWORD
	s_mov_b64 vcc, exec
	s_nop 0
	v_writelane_b32 v12, vcc_lo, 6
	s_and_b64 s[96:97], vcc, s[96:97]
	s_nop 0
	v_writelane_b32 v12, vcc_hi, 7
	s_mov_b64 exec, s[96:97]
	s_cbranch_execz .LBB53_150
; %bb.115:                              ;   in Loop: Header=BB53_5 Depth=1
	v_add_u32_e32 v4, s9, v4
	v_ashrrev_i32_e32 v5, 31, v4
	v_lshl_add_u64 v[8:9], v[4:5], 2, s[10:11]
	global_load_dword v2, v[8:9], off
	v_mov_b32_e32 v5, 0
	s_waitcnt vmcnt(0)
	v_cmp_class_f16_e64 s[96:97], v2, s98
	s_mov_b64 vcc, exec
	;; [unrolled: 26-line block ×10, first 2 shown]
	v_writelane_b32 v12, vcc_lo, 40
	s_and_b64 s[96:97], vcc, s[96:97]
	s_nop 0
	v_writelane_b32 v12, vcc_hi, 41
	s_mov_b64 exec, s[96:97]
; %bb.132:                              ;   in Loop: Header=BB53_5 Depth=1
	v_cmp_class_f16_sdwa s[96:97], v2, s98 src0_sel:WORD_1 src1_sel:DWORD
	s_nop 1
	v_cndmask_b32_e64 v5, 0, 1, s[96:97]
; %bb.133:                              ;   in Loop: Header=BB53_5 Depth=1
	v_readlane_b32 s96, v12, 40
	v_readlane_b32 s97, v12, 41
	s_or_b64 exec, exec, s[96:97]
.LBB53_134:                             ;   in Loop: Header=BB53_5 Depth=1
	v_readlane_b32 s96, v12, 38
	v_readlane_b32 s97, v12, 39
	s_or_b64 exec, exec, s[96:97]
.LBB53_135:                             ;   in Loop: Header=BB53_5 Depth=1
	v_readlane_b32 s96, v12, 36
	v_readlane_b32 s97, v12, 37
	s_or_b64 exec, exec, s[96:97]
.LBB53_136:                             ;   in Loop: Header=BB53_5 Depth=1
	v_readlane_b32 s96, v12, 34
	v_readlane_b32 s97, v12, 35
	s_or_b64 exec, exec, s[96:97]
.LBB53_137:                             ;   in Loop: Header=BB53_5 Depth=1
	v_readlane_b32 s96, v12, 32
	v_readlane_b32 s97, v12, 33
	s_or_b64 exec, exec, s[96:97]
.LBB53_138:                             ;   in Loop: Header=BB53_5 Depth=1
	v_readlane_b32 s96, v12, 30
	v_readlane_b32 s97, v12, 31
	s_or_b64 exec, exec, s[96:97]
.LBB53_139:                             ;   in Loop: Header=BB53_5 Depth=1
	v_readlane_b32 s96, v12, 28
	v_readlane_b32 s97, v12, 29
	s_or_b64 exec, exec, s[96:97]
.LBB53_140:                             ;   in Loop: Header=BB53_5 Depth=1
	v_readlane_b32 s96, v12, 26
	v_readlane_b32 s97, v12, 27
	s_or_b64 exec, exec, s[96:97]
.LBB53_141:                             ;   in Loop: Header=BB53_5 Depth=1
	v_readlane_b32 s96, v12, 24
	v_readlane_b32 s97, v12, 25
	s_or_b64 exec, exec, s[96:97]
.LBB53_142:                             ;   in Loop: Header=BB53_5 Depth=1
	v_readlane_b32 s96, v12, 22
	v_readlane_b32 s97, v12, 23
	s_or_b64 exec, exec, s[96:97]
.LBB53_143:                             ;   in Loop: Header=BB53_5 Depth=1
	v_readlane_b32 s96, v12, 20
	v_readlane_b32 s97, v12, 21
	s_or_b64 exec, exec, s[96:97]
.LBB53_144:                             ;   in Loop: Header=BB53_5 Depth=1
	v_readlane_b32 s96, v12, 18
	v_readlane_b32 s97, v12, 19
	s_or_b64 exec, exec, s[96:97]
.LBB53_145:                             ;   in Loop: Header=BB53_5 Depth=1
	v_readlane_b32 s96, v12, 16
	v_readlane_b32 s97, v12, 17
	s_or_b64 exec, exec, s[96:97]
.LBB53_146:                             ;   in Loop: Header=BB53_5 Depth=1
	v_readlane_b32 s96, v12, 14
	v_readlane_b32 s97, v12, 15
	s_or_b64 exec, exec, s[96:97]
.LBB53_147:                             ;   in Loop: Header=BB53_5 Depth=1
	v_readlane_b32 s96, v12, 12
	v_readlane_b32 s97, v12, 13
	s_or_b64 exec, exec, s[96:97]
.LBB53_148:                             ;   in Loop: Header=BB53_5 Depth=1
	v_readlane_b32 s96, v12, 10
	v_readlane_b32 s97, v12, 11
	s_or_b64 exec, exec, s[96:97]
.LBB53_149:                             ;   in Loop: Header=BB53_5 Depth=1
	v_readlane_b32 s96, v12, 8
	v_readlane_b32 s97, v12, 9
	s_or_b64 exec, exec, s[96:97]
.LBB53_150:                             ;   in Loop: Header=BB53_5 Depth=1
	v_readlane_b32 s96, v12, 6
	v_readlane_b32 s97, v12, 7
	s_or_b64 exec, exec, s[96:97]
.LBB53_151:                             ;   in Loop: Header=BB53_5 Depth=1
	v_readlane_b32 s96, v12, 4
	v_readlane_b32 s97, v12, 5
	s_or_b64 exec, exec, s[96:97]
.LBB53_152:                             ;   in Loop: Header=BB53_5 Depth=1
	v_readlane_b32 s96, v12, 2
	v_readlane_b32 s97, v12, 3
	s_or_b64 exec, exec, s[96:97]
.LBB53_153:                             ;   in Loop: Header=BB53_5 Depth=1
	v_readlane_b32 s96, v12, 0
	v_readlane_b32 s97, v12, 1
	s_or_b64 exec, exec, s[96:97]
.LBB53_154:                             ;   in Loop: Header=BB53_5 Depth=1
	v_readlane_b32 s96, v13, 62
	v_readlane_b32 s97, v13, 63
	s_or_b64 exec, exec, s[96:97]
.LBB53_155:                             ;   in Loop: Header=BB53_5 Depth=1
	v_readlane_b32 s96, v13, 60
	v_readlane_b32 s97, v13, 61
	s_or_b64 exec, exec, s[96:97]
.LBB53_156:                             ;   in Loop: Header=BB53_5 Depth=1
	v_readlane_b32 s96, v13, 58
	v_readlane_b32 s97, v13, 59
	s_or_b64 exec, exec, s[96:97]
.LBB53_157:                             ;   in Loop: Header=BB53_5 Depth=1
	v_readlane_b32 s96, v13, 56
	v_readlane_b32 s97, v13, 57
	s_or_b64 exec, exec, s[96:97]
.LBB53_158:                             ;   in Loop: Header=BB53_5 Depth=1
	v_readlane_b32 s96, v13, 54
	v_readlane_b32 s97, v13, 55
	s_or_b64 exec, exec, s[96:97]
.LBB53_159:                             ;   in Loop: Header=BB53_5 Depth=1
	v_readlane_b32 s96, v13, 52
	v_readlane_b32 s97, v13, 53
	s_or_b64 exec, exec, s[96:97]
.LBB53_160:                             ;   in Loop: Header=BB53_5 Depth=1
	v_readlane_b32 s96, v13, 50
	v_readlane_b32 s97, v13, 51
	s_or_b64 exec, exec, s[96:97]
.LBB53_161:                             ;   in Loop: Header=BB53_5 Depth=1
	v_readlane_b32 s96, v13, 48
	v_readlane_b32 s97, v13, 49
	s_or_b64 exec, exec, s[96:97]
.LBB53_162:                             ;   in Loop: Header=BB53_5 Depth=1
	v_readlane_b32 s96, v13, 46
	v_readlane_b32 s97, v13, 47
	s_or_b64 exec, exec, s[96:97]
.LBB53_163:                             ;   in Loop: Header=BB53_5 Depth=1
	v_readlane_b32 s96, v13, 44
	v_readlane_b32 s97, v13, 45
	s_or_b64 exec, exec, s[96:97]
.LBB53_164:                             ;   in Loop: Header=BB53_5 Depth=1
	v_readlane_b32 s96, v13, 42
	v_readlane_b32 s97, v13, 43
	s_or_b64 exec, exec, s[96:97]
.LBB53_165:                             ;   in Loop: Header=BB53_5 Depth=1
	v_readlane_b32 s96, v13, 40
	v_readlane_b32 s97, v13, 41
	s_or_b64 exec, exec, s[96:97]
.LBB53_166:                             ;   in Loop: Header=BB53_5 Depth=1
	v_readlane_b32 s96, v13, 38
	v_readlane_b32 s97, v13, 39
	s_or_b64 exec, exec, s[96:97]
.LBB53_167:                             ;   in Loop: Header=BB53_5 Depth=1
	v_readlane_b32 s96, v13, 36
	v_readlane_b32 s97, v13, 37
	s_or_b64 exec, exec, s[96:97]
.LBB53_168:                             ;   in Loop: Header=BB53_5 Depth=1
	v_readlane_b32 s96, v13, 34
	v_readlane_b32 s97, v13, 35
	s_or_b64 exec, exec, s[96:97]
.LBB53_169:                             ;   in Loop: Header=BB53_5 Depth=1
	v_readlane_b32 s96, v13, 32
	v_readlane_b32 s97, v13, 33
	s_or_b64 exec, exec, s[96:97]
.LBB53_170:                             ;   in Loop: Header=BB53_5 Depth=1
	v_readlane_b32 s96, v13, 30
	v_readlane_b32 s97, v13, 31
	s_or_b64 exec, exec, s[96:97]
.LBB53_171:                             ;   in Loop: Header=BB53_5 Depth=1
	v_readlane_b32 s96, v13, 28
	v_readlane_b32 s97, v13, 29
	s_or_b64 exec, exec, s[96:97]
.LBB53_172:                             ;   in Loop: Header=BB53_5 Depth=1
	v_readlane_b32 s96, v13, 26
	v_readlane_b32 s97, v13, 27
	s_or_b64 exec, exec, s[96:97]
.LBB53_173:                             ;   in Loop: Header=BB53_5 Depth=1
	v_readlane_b32 s96, v13, 24
	v_readlane_b32 s97, v13, 25
	s_or_b64 exec, exec, s[96:97]
.LBB53_174:                             ;   in Loop: Header=BB53_5 Depth=1
	v_readlane_b32 s96, v13, 22
	v_readlane_b32 s97, v13, 23
	s_or_b64 exec, exec, s[96:97]
.LBB53_175:                             ;   in Loop: Header=BB53_5 Depth=1
	v_readlane_b32 s96, v13, 20
	v_readlane_b32 s97, v13, 21
	s_or_b64 exec, exec, s[96:97]
.LBB53_176:                             ;   in Loop: Header=BB53_5 Depth=1
	v_readlane_b32 s96, v13, 18
	v_readlane_b32 s97, v13, 19
	s_or_b64 exec, exec, s[96:97]
.LBB53_177:                             ;   in Loop: Header=BB53_5 Depth=1
	v_readlane_b32 s96, v13, 16
	v_readlane_b32 s97, v13, 17
	s_or_b64 exec, exec, s[96:97]
.LBB53_178:                             ;   in Loop: Header=BB53_5 Depth=1
	v_readlane_b32 s96, v13, 14
	v_readlane_b32 s97, v13, 15
	s_or_b64 exec, exec, s[96:97]
.LBB53_179:                             ;   in Loop: Header=BB53_5 Depth=1
	v_readlane_b32 s96, v13, 12
	v_readlane_b32 s97, v13, 13
	s_or_b64 exec, exec, s[96:97]
.LBB53_180:                             ;   in Loop: Header=BB53_5 Depth=1
	v_readlane_b32 s96, v13, 10
	v_readlane_b32 s97, v13, 11
	s_or_b64 exec, exec, s[96:97]
.LBB53_181:                             ;   in Loop: Header=BB53_5 Depth=1
	v_readlane_b32 s96, v13, 8
	v_readlane_b32 s97, v13, 9
	s_or_b64 exec, exec, s[96:97]
.LBB53_182:                             ;   in Loop: Header=BB53_5 Depth=1
	v_readlane_b32 s96, v13, 6
	v_readlane_b32 s97, v13, 7
	s_or_b64 exec, exec, s[96:97]
.LBB53_183:                             ;   in Loop: Header=BB53_5 Depth=1
	v_readlane_b32 s96, v13, 4
	v_readlane_b32 s97, v13, 5
	s_or_b64 exec, exec, s[96:97]
.LBB53_184:                             ;   in Loop: Header=BB53_5 Depth=1
	v_readlane_b32 s96, v13, 2
	v_readlane_b32 s97, v13, 3
	s_or_b64 exec, exec, s[96:97]
.LBB53_185:                             ;   in Loop: Header=BB53_5 Depth=1
	v_readlane_b32 s96, v13, 0
	v_readlane_b32 s97, v13, 1
	s_or_b64 exec, exec, s[96:97]
.LBB53_186:                             ;   in Loop: Header=BB53_5 Depth=1
	v_readlane_b32 s96, v14, 62
	v_readlane_b32 s97, v14, 63
	s_or_b64 exec, exec, s[96:97]
.LBB53_187:                             ;   in Loop: Header=BB53_5 Depth=1
	v_readlane_b32 s96, v14, 60
	v_readlane_b32 s97, v14, 61
	s_or_b64 exec, exec, s[96:97]
.LBB53_188:                             ;   in Loop: Header=BB53_5 Depth=1
	v_readlane_b32 s96, v14, 58
	v_readlane_b32 s97, v14, 59
	s_or_b64 exec, exec, s[96:97]
.LBB53_189:                             ;   in Loop: Header=BB53_5 Depth=1
	v_readlane_b32 s96, v14, 56
	v_readlane_b32 s97, v14, 57
	s_or_b64 exec, exec, s[96:97]
.LBB53_190:                             ;   in Loop: Header=BB53_5 Depth=1
	v_readlane_b32 s96, v14, 54
	v_readlane_b32 s97, v14, 55
	s_or_b64 exec, exec, s[96:97]
.LBB53_191:                             ;   in Loop: Header=BB53_5 Depth=1
	v_readlane_b32 s96, v14, 52
	v_readlane_b32 s97, v14, 53
	s_or_b64 exec, exec, s[96:97]
.LBB53_192:                             ;   in Loop: Header=BB53_5 Depth=1
	v_readlane_b32 s96, v14, 50
	v_readlane_b32 s97, v14, 51
	s_or_b64 exec, exec, s[96:97]
.LBB53_193:                             ;   in Loop: Header=BB53_5 Depth=1
	v_readlane_b32 s96, v14, 48
	v_readlane_b32 s97, v14, 49
	s_or_b64 exec, exec, s[96:97]
.LBB53_194:                             ;   in Loop: Header=BB53_5 Depth=1
	v_readlane_b32 s96, v14, 46
	v_readlane_b32 s97, v14, 47
	s_or_b64 exec, exec, s[96:97]
.LBB53_195:                             ;   in Loop: Header=BB53_5 Depth=1
	v_readlane_b32 s96, v14, 44
	v_readlane_b32 s97, v14, 45
	s_or_b64 exec, exec, s[96:97]
.LBB53_196:                             ;   in Loop: Header=BB53_5 Depth=1
	v_readlane_b32 s96, v14, 42
	v_readlane_b32 s97, v14, 43
	s_or_b64 exec, exec, s[96:97]
.LBB53_197:                             ;   in Loop: Header=BB53_5 Depth=1
	v_readlane_b32 s96, v14, 40
	v_readlane_b32 s97, v14, 41
	s_or_b64 exec, exec, s[96:97]
.LBB53_198:                             ;   in Loop: Header=BB53_5 Depth=1
	v_readlane_b32 s96, v14, 38
	v_readlane_b32 s97, v14, 39
	s_or_b64 exec, exec, s[96:97]
.LBB53_199:                             ;   in Loop: Header=BB53_5 Depth=1
	v_readlane_b32 s96, v14, 36
	v_readlane_b32 s97, v14, 37
	s_or_b64 exec, exec, s[96:97]
.LBB53_200:                             ;   in Loop: Header=BB53_5 Depth=1
	v_readlane_b32 s96, v14, 34
	v_readlane_b32 s97, v14, 35
	s_or_b64 exec, exec, s[96:97]
.LBB53_201:                             ;   in Loop: Header=BB53_5 Depth=1
	v_readlane_b32 s96, v14, 32
	v_readlane_b32 s97, v14, 33
	s_or_b64 exec, exec, s[96:97]
.LBB53_202:                             ;   in Loop: Header=BB53_5 Depth=1
	v_readlane_b32 s96, v14, 30
	v_readlane_b32 s97, v14, 31
	s_or_b64 exec, exec, s[96:97]
.LBB53_203:                             ;   in Loop: Header=BB53_5 Depth=1
	v_readlane_b32 s96, v14, 28
	v_readlane_b32 s97, v14, 29
	s_or_b64 exec, exec, s[96:97]
.LBB53_204:                             ;   in Loop: Header=BB53_5 Depth=1
	v_readlane_b32 s96, v14, 26
	v_readlane_b32 s97, v14, 27
	s_or_b64 exec, exec, s[96:97]
.LBB53_205:                             ;   in Loop: Header=BB53_5 Depth=1
	v_readlane_b32 s96, v14, 24
	v_readlane_b32 s97, v14, 25
	s_or_b64 exec, exec, s[96:97]
.LBB53_206:                             ;   in Loop: Header=BB53_5 Depth=1
	v_readlane_b32 s96, v14, 22
	v_readlane_b32 s97, v14, 23
	s_or_b64 exec, exec, s[96:97]
.LBB53_207:                             ;   in Loop: Header=BB53_5 Depth=1
	v_readlane_b32 s96, v14, 20
	v_readlane_b32 s97, v14, 21
	s_or_b64 exec, exec, s[96:97]
.LBB53_208:                             ;   in Loop: Header=BB53_5 Depth=1
	v_readlane_b32 s96, v14, 18
	v_readlane_b32 s97, v14, 19
	s_or_b64 exec, exec, s[96:97]
.LBB53_209:                             ;   in Loop: Header=BB53_5 Depth=1
	v_readlane_b32 s96, v14, 16
	v_readlane_b32 s97, v14, 17
	s_or_b64 exec, exec, s[96:97]
.LBB53_210:                             ;   in Loop: Header=BB53_5 Depth=1
	v_readlane_b32 s96, v14, 14
	v_readlane_b32 s97, v14, 15
	s_or_b64 exec, exec, s[96:97]
.LBB53_211:                             ;   in Loop: Header=BB53_5 Depth=1
	v_readlane_b32 s96, v14, 12
	v_readlane_b32 s97, v14, 13
	s_or_b64 exec, exec, s[96:97]
.LBB53_212:                             ;   in Loop: Header=BB53_5 Depth=1
	v_readlane_b32 s96, v14, 10
	v_readlane_b32 s97, v14, 11
	s_or_b64 exec, exec, s[96:97]
.LBB53_213:                             ;   in Loop: Header=BB53_5 Depth=1
	v_readlane_b32 s96, v14, 8
	v_readlane_b32 s97, v14, 9
	s_or_b64 exec, exec, s[96:97]
.LBB53_214:                             ;   in Loop: Header=BB53_5 Depth=1
	v_readlane_b32 s96, v14, 6
	v_readlane_b32 s97, v14, 7
	s_or_b64 exec, exec, s[96:97]
.LBB53_215:                             ;   in Loop: Header=BB53_5 Depth=1
	v_readlane_b32 s96, v14, 4
	v_readlane_b32 s97, v14, 5
	s_or_b64 exec, exec, s[96:97]
.LBB53_216:                             ;   in Loop: Header=BB53_5 Depth=1
	v_readlane_b32 s96, v14, 2
	v_readlane_b32 s97, v14, 3
	s_or_b64 exec, exec, s[96:97]
.LBB53_217:                             ;   in Loop: Header=BB53_5 Depth=1
	v_readlane_b32 s96, v14, 0
	v_readlane_b32 s97, v14, 1
	s_or_b64 exec, exec, s[96:97]
.LBB53_218:                             ;   in Loop: Header=BB53_5 Depth=1
	s_or_b64 exec, exec, s[94:95]
.LBB53_219:                             ;   in Loop: Header=BB53_5 Depth=1
	s_or_b64 exec, exec, s[92:93]
.LBB53_220:                             ;   in Loop: Header=BB53_5 Depth=1
	s_or_b64 exec, exec, s[90:91]
.LBB53_221:                             ;   in Loop: Header=BB53_5 Depth=1
	s_or_b64 exec, exec, s[88:89]
.LBB53_222:                             ;   in Loop: Header=BB53_5 Depth=1
	s_or_b64 exec, exec, s[86:87]
.LBB53_223:                             ;   in Loop: Header=BB53_5 Depth=1
	s_or_b64 exec, exec, s[84:85]
.LBB53_224:                             ;   in Loop: Header=BB53_5 Depth=1
	s_or_b64 exec, exec, s[82:83]
.LBB53_225:                             ;   in Loop: Header=BB53_5 Depth=1
	s_or_b64 exec, exec, s[80:81]
.LBB53_226:                             ;   in Loop: Header=BB53_5 Depth=1
	s_or_b64 exec, exec, s[78:79]
.LBB53_227:                             ;   in Loop: Header=BB53_5 Depth=1
	s_or_b64 exec, exec, s[76:77]
.LBB53_228:                             ;   in Loop: Header=BB53_5 Depth=1
	s_or_b64 exec, exec, s[74:75]
.LBB53_229:                             ;   in Loop: Header=BB53_5 Depth=1
	s_or_b64 exec, exec, s[72:73]
.LBB53_230:                             ;   in Loop: Header=BB53_5 Depth=1
	s_or_b64 exec, exec, s[70:71]
.LBB53_231:                             ;   in Loop: Header=BB53_5 Depth=1
	s_or_b64 exec, exec, s[68:69]
.LBB53_232:                             ;   in Loop: Header=BB53_5 Depth=1
	s_or_b64 exec, exec, s[66:67]
.LBB53_233:                             ;   in Loop: Header=BB53_5 Depth=1
	s_or_b64 exec, exec, s[64:65]
.LBB53_234:                             ;   in Loop: Header=BB53_5 Depth=1
	s_or_b64 exec, exec, s[62:63]
.LBB53_235:                             ;   in Loop: Header=BB53_5 Depth=1
	s_or_b64 exec, exec, s[60:61]
.LBB53_236:                             ;   in Loop: Header=BB53_5 Depth=1
	s_or_b64 exec, exec, s[58:59]
.LBB53_237:                             ;   in Loop: Header=BB53_5 Depth=1
	s_or_b64 exec, exec, s[56:57]
.LBB53_238:                             ;   in Loop: Header=BB53_5 Depth=1
	s_or_b64 exec, exec, s[54:55]
.LBB53_239:                             ;   in Loop: Header=BB53_5 Depth=1
	s_or_b64 exec, exec, s[52:53]
.LBB53_240:                             ;   in Loop: Header=BB53_5 Depth=1
	s_or_b64 exec, exec, s[50:51]
.LBB53_241:                             ;   in Loop: Header=BB53_5 Depth=1
	s_or_b64 exec, exec, s[48:49]
.LBB53_242:                             ;   in Loop: Header=BB53_5 Depth=1
	s_or_b64 exec, exec, s[46:47]
.LBB53_243:                             ;   in Loop: Header=BB53_5 Depth=1
	s_or_b64 exec, exec, s[44:45]
.LBB53_244:                             ;   in Loop: Header=BB53_5 Depth=1
	s_or_b64 exec, exec, s[42:43]
.LBB53_245:                             ;   in Loop: Header=BB53_5 Depth=1
	s_or_b64 exec, exec, s[40:41]
.LBB53_246:                             ;   in Loop: Header=BB53_5 Depth=1
	s_or_b64 exec, exec, s[38:39]
.LBB53_247:                             ;   in Loop: Header=BB53_5 Depth=1
	s_or_b64 exec, exec, s[36:37]
.LBB53_248:                             ;   in Loop: Header=BB53_5 Depth=1
	s_or_b64 exec, exec, s[34:35]
.LBB53_249:                             ;   in Loop: Header=BB53_5 Depth=1
	s_or_b64 exec, exec, s[30:31]
.LBB53_250:                             ;   in Loop: Header=BB53_5 Depth=1
	s_or_b64 exec, exec, s[28:29]
.LBB53_251:                             ;   in Loop: Header=BB53_5 Depth=1
	s_or_b64 exec, exec, s[26:27]
.LBB53_252:                             ;   in Loop: Header=BB53_5 Depth=1
	s_or_b64 exec, exec, s[24:25]
.LBB53_253:                             ;   in Loop: Header=BB53_5 Depth=1
	s_or_b64 exec, exec, s[22:23]
.LBB53_254:                             ;   in Loop: Header=BB53_5 Depth=1
	s_or_b64 exec, exec, s[20:21]
.LBB53_255:                             ;   in Loop: Header=BB53_5 Depth=1
	s_or_b64 exec, exec, s[18:19]
.LBB53_256:                             ;   in Loop: Header=BB53_5 Depth=1
	s_or_b64 exec, exec, s[16:17]
.LBB53_257:                             ;   in Loop: Header=BB53_5 Depth=1
	s_or_b64 exec, exec, s[14:15]
.LBB53_258:                             ;   in Loop: Header=BB53_5 Depth=1
	s_or_b64 exec, exec, s[4:5]
	v_and_b32_e32 v2, 0x60, v7
	v_add_u32_e32 v9, 32, v2
	v_xor_b32_e32 v2, 16, v7
	v_cmp_lt_i32_e32 vcc, v2, v9
	v_xor_b32_e32 v11, 1, v7
	s_nop 0
	v_cndmask_b32_e32 v2, v7, v2, vcc
	v_lshlrev_b32_e32 v2, 2, v2
	ds_bpermute_b32 v4, v2, v5
	v_cmp_ne_u32_e32 vcc, 0, v5
	s_waitcnt lgkmcnt(0)
	v_cmp_ne_u32_e64 s[4:5], 0, v4
	v_xor_b32_e32 v4, 8, v7
	s_and_b64 s[4:5], vcc, s[4:5]
	v_cmp_lt_i32_e32 vcc, v4, v9
	v_cndmask_b32_e64 v5, 0, 1, s[4:5]
	s_nop 0
	v_cndmask_b32_e32 v4, v7, v4, vcc
	v_lshlrev_b32_e32 v4, 2, v4
	ds_bpermute_b32 v5, v4, v5
	s_waitcnt lgkmcnt(0)
	v_cmp_ne_u32_e32 vcc, 0, v5
	v_xor_b32_e32 v5, 4, v7
	s_and_b64 s[4:5], vcc, s[4:5]
	v_cmp_lt_i32_e32 vcc, v5, v9
	v_cndmask_b32_e64 v8, 0, 1, s[4:5]
	s_nop 0
	v_cndmask_b32_e32 v5, v7, v5, vcc
	v_lshlrev_b32_e32 v5, 2, v5
	ds_bpermute_b32 v8, v5, v8
	s_waitcnt lgkmcnt(0)
	v_cmp_ne_u32_e32 vcc, 0, v8
	;; [unrolled: 10-line block ×3, first 2 shown]
	s_and_b64 s[4:5], vcc, s[4:5]
	v_cmp_lt_i32_e32 vcc, v11, v9
	v_cndmask_b32_e64 v10, 0, 1, s[4:5]
	s_nop 0
	v_cndmask_b32_e32 v9, v7, v11, vcc
	v_lshlrev_b32_e32 v9, 2, v9
	ds_bpermute_b32 v10, v9, v10
	s_and_saveexec_b64 s[14:15], s[0:1]
	s_cbranch_execz .LBB53_3
; %bb.259:                              ;   in Loop: Header=BB53_5 Depth=1
	s_waitcnt lgkmcnt(0)
	v_cmp_ne_u32_e32 vcc, 0, v10
	s_and_b64 s[4:5], vcc, s[4:5]
	v_cndmask_b32_e64 v10, 0, 1, s[4:5]
	ds_write_b32 v1, v10
	s_branch .LBB53_3
.LBB53_260:
	s_or_b64 exec, exec, s[12:13]
	v_cmp_eq_u32_e32 vcc, 0, v0
	s_and_saveexec_b64 s[0:1], vcc
	s_cbranch_execz .LBB53_262
; %bb.261:
	s_mul_i32 s0, s33, s3
	s_add_i32 s0, s0, s2
	s_ashr_i32 s1, s0, 31
	s_lshl_b64 s[0:1], s[0:1], 2
	s_add_u32 s0, s6, s0
	s_addc_u32 s1, s7, s1
	v_mov_b32_e32 v0, 0
	global_store_dword v0, v2, s[0:1]
.LBB53_262:
	s_endpgm
	.section	.rodata,"a",@progbits
	.p2align	6, 0x0
	.amdhsa_kernel _ZL25flash_attn_mask_to_KV_maxILi64EEvPK7__half2Piiii
		.amdhsa_group_segment_fixed_size 128
		.amdhsa_private_segment_fixed_size 0
		.amdhsa_kernarg_size 288
		.amdhsa_user_sgpr_count 2
		.amdhsa_user_sgpr_dispatch_ptr 0
		.amdhsa_user_sgpr_queue_ptr 0
		.amdhsa_user_sgpr_kernarg_segment_ptr 1
		.amdhsa_user_sgpr_dispatch_id 0
		.amdhsa_user_sgpr_kernarg_preload_length 0
		.amdhsa_user_sgpr_kernarg_preload_offset 0
		.amdhsa_user_sgpr_private_segment_size 0
		.amdhsa_uses_dynamic_stack 0
		.amdhsa_enable_private_segment 0
		.amdhsa_system_sgpr_workgroup_id_x 1
		.amdhsa_system_sgpr_workgroup_id_y 1
		.amdhsa_system_sgpr_workgroup_id_z 0
		.amdhsa_system_sgpr_workgroup_info 0
		.amdhsa_system_vgpr_workitem_id 0
		.amdhsa_next_free_vgpr 15
		.amdhsa_next_free_sgpr 100
		.amdhsa_accum_offset 16
		.amdhsa_reserve_vcc 1
		.amdhsa_float_round_mode_32 0
		.amdhsa_float_round_mode_16_64 0
		.amdhsa_float_denorm_mode_32 3
		.amdhsa_float_denorm_mode_16_64 3
		.amdhsa_dx10_clamp 1
		.amdhsa_ieee_mode 1
		.amdhsa_fp16_overflow 0
		.amdhsa_tg_split 0
		.amdhsa_exception_fp_ieee_invalid_op 0
		.amdhsa_exception_fp_denorm_src 0
		.amdhsa_exception_fp_ieee_div_zero 0
		.amdhsa_exception_fp_ieee_overflow 0
		.amdhsa_exception_fp_ieee_underflow 0
		.amdhsa_exception_fp_ieee_inexact 0
		.amdhsa_exception_int_div_zero 0
	.end_amdhsa_kernel
	.section	.text._ZL25flash_attn_mask_to_KV_maxILi64EEvPK7__half2Piiii,"axG",@progbits,_ZL25flash_attn_mask_to_KV_maxILi64EEvPK7__half2Piiii,comdat
.Lfunc_end53:
	.size	_ZL25flash_attn_mask_to_KV_maxILi64EEvPK7__half2Piiii, .Lfunc_end53-_ZL25flash_attn_mask_to_KV_maxILi64EEvPK7__half2Piiii
                                        ; -- End function
	.set _ZL25flash_attn_mask_to_KV_maxILi64EEvPK7__half2Piiii.num_vgpr, 15
	.set _ZL25flash_attn_mask_to_KV_maxILi64EEvPK7__half2Piiii.num_agpr, 0
	.set _ZL25flash_attn_mask_to_KV_maxILi64EEvPK7__half2Piiii.numbered_sgpr, 100
	.set _ZL25flash_attn_mask_to_KV_maxILi64EEvPK7__half2Piiii.num_named_barrier, 0
	.set _ZL25flash_attn_mask_to_KV_maxILi64EEvPK7__half2Piiii.private_seg_size, 0
	.set _ZL25flash_attn_mask_to_KV_maxILi64EEvPK7__half2Piiii.uses_vcc, 1
	.set _ZL25flash_attn_mask_to_KV_maxILi64EEvPK7__half2Piiii.uses_flat_scratch, 0
	.set _ZL25flash_attn_mask_to_KV_maxILi64EEvPK7__half2Piiii.has_dyn_sized_stack, 0
	.set _ZL25flash_attn_mask_to_KV_maxILi64EEvPK7__half2Piiii.has_recursion, 0
	.set _ZL25flash_attn_mask_to_KV_maxILi64EEvPK7__half2Piiii.has_indirect_call, 0
	.section	.AMDGPU.csdata,"",@progbits
; Kernel info:
; codeLenInByte = 9456
; TotalNumSgprs: 106
; NumVgprs: 15
; NumAgprs: 0
; TotalNumVgprs: 15
; ScratchSize: 0
; MemoryBound: 0
; FloatMode: 240
; IeeeMode: 1
; LDSByteSize: 128 bytes/workgroup (compile time only)
; SGPRBlocks: 13
; VGPRBlocks: 1
; NumSGPRsForWavesPerEU: 106
; NumVGPRsForWavesPerEU: 15
; AccumOffset: 16
; Occupancy: 7
; WaveLimiterHint : 0
; COMPUTE_PGM_RSRC2:SCRATCH_EN: 0
; COMPUTE_PGM_RSRC2:USER_SGPR: 2
; COMPUTE_PGM_RSRC2:TRAP_HANDLER: 0
; COMPUTE_PGM_RSRC2:TGID_X_EN: 1
; COMPUTE_PGM_RSRC2:TGID_Y_EN: 1
; COMPUTE_PGM_RSRC2:TGID_Z_EN: 0
; COMPUTE_PGM_RSRC2:TIDIG_COMP_CNT: 0
; COMPUTE_PGM_RSRC3_GFX90A:ACCUM_OFFSET: 3
; COMPUTE_PGM_RSRC3_GFX90A:TG_SPLIT: 0
	.section	.text._ZL33flash_attn_stream_k_fixup_uniformILi112ELi64ELi1EEvPfPK15HIP_vector_typeIfLj2EEiiiiiiS1_IjLj3EES5_S5_,"axG",@progbits,_ZL33flash_attn_stream_k_fixup_uniformILi112ELi64ELi1EEvPfPK15HIP_vector_typeIfLj2EEiiiiiiS1_IjLj3EES5_S5_,comdat
	.globl	_ZL33flash_attn_stream_k_fixup_uniformILi112ELi64ELi1EEvPfPK15HIP_vector_typeIfLj2EEiiiiiiS1_IjLj3EES5_S5_ ; -- Begin function _ZL33flash_attn_stream_k_fixup_uniformILi112ELi64ELi1EEvPfPK15HIP_vector_typeIfLj2EEiiiiiiS1_IjLj3EES5_S5_
	.p2align	8
	.type	_ZL33flash_attn_stream_k_fixup_uniformILi112ELi64ELi1EEvPfPK15HIP_vector_typeIfLj2EEiiiiiiS1_IjLj3EES5_S5_,@function
_ZL33flash_attn_stream_k_fixup_uniformILi112ELi64ELi1EEvPfPK15HIP_vector_typeIfLj2EEiiiiiiS1_IjLj3EES5_S5_: ; @_ZL33flash_attn_stream_k_fixup_uniformILi112ELi64ELi1EEvPfPK15HIP_vector_typeIfLj2EEiiiiiiS1_IjLj3EES5_S5_
; %bb.0:
	s_load_dwordx8 s[8:15], s[0:1], 0x1c
	s_load_dwordx2 s[6:7], s[0:1], 0x10
	s_load_dwordx4 s[16:19], s[0:1], 0x3c
	s_waitcnt lgkmcnt(0)
	s_mul_hi_u32 s5, s11, s2
	s_add_i32 s5, s2, s5
	s_lshr_b32 s5, s5, s12
	s_mul_i32 s11, s5, s13
	s_sub_i32 s12, s2, s11
	s_mul_hi_u32 s11, s12, s14
	s_add_i32 s11, s12, s11
	s_lshr_b32 s11, s11, s15
	s_mul_i32 s13, s11, s16
	s_sub_i32 s12, s12, s13
	;; [unrolled: 5-line block ×3, first 2 shown]
	s_lshl_b32 s12, s17, 6
	s_add_i32 s12, s12, s3
	s_cmp_lt_i32 s12, s6
	s_cselect_b64 s[12:13], -1, 0
	s_add_i32 s16, s16, s4
	s_cmp_lt_i32 s16, s9
	s_cselect_b64 s[14:15], -1, 0
	s_and_b64 s[12:13], s[12:13], s[14:15]
	s_andn2_b64 vcc, exec, s[12:13]
	s_cbranch_vccnz .LBB54_6
; %bb.1:
	s_load_dwordx4 s[12:15], s[0:1], 0x0
	s_mul_i32 s0, s5, s6
	s_mul_i32 s11, s11, s9
	s_add_i32 s0, s0, s3
	s_mul_i32 s1, s7, s17
	s_mul_i32 s0, s0, s7
	s_add_i32 s5, s16, s11
	s_mulk_i32 s1, 0x1c00
	s_add_i32 s0, s5, s0
	s_mulk_i32 s0, 0x70
	v_or_b32_e32 v1, s1, v0
	v_add_u32_e32 v4, s0, v1
	s_waitcnt lgkmcnt(0)
	v_mov_b32_e32 v2, s12
	v_mov_b32_e32 v3, s13
	v_ashrrev_i32_e32 v5, 31, v4
	v_lshl_add_u64 v[2:3], v[4:5], 2, v[2:3]
	global_load_dword v5, v[2:3], off
	s_mul_i32 s6, s10, s2
	s_add_i32 s7, s6, s10
	s_add_i32 s3, s3, s4
	s_lshl_b32 s0, s7, 6
	s_add_i32 s0, s3, s0
	s_sub_i32 s0, s0, 64
	s_ashr_i32 s1, s0, 31
	s_lshl_b64 s[0:1], s[0:1], 3
	s_add_u32 s0, s14, s0
	s_addc_u32 s1, s15, s1
	s_load_dword s9, s[0:1], 0x4
	s_add_i32 s4, s7, -2
	s_cmp_lt_i32 s4, s6
	s_cbranch_scc1 .LBB54_4
; %bb.2:
	s_lshl_b32 s4, s8, 8
	s_ashr_i32 s5, s4, 31
	s_lshl_b64 s[4:5], s[4:5], 2
	s_add_u32 s4, s14, s4
	s_addc_u32 s5, s15, s5
	s_load_dword s0, s[0:1], 0x0
	s_add_i32 s2, s2, 1
	s_mul_i32 s10, s10, s2
	s_mul_i32 s1, s3, 0x70
	s_lshl_b32 s2, s10, 6
	s_mulk_i32 s10, 0x1c00
	s_add_i32 s2, s3, s2
	s_lshl_b32 s3, s8, 6
	s_add_i32 s1, s1, s10
	s_add_i32 s2, s2, s3
	v_add_u32_e32 v0, s1, v0
	s_add_i32 s7, s7, -1
	s_addk_i32 s2, 0xff80
	v_add_u32_e32 v0, 0xffffc800, v0
	s_waitcnt lgkmcnt(0)
	v_mov_b32_e32 v7, s0
	v_mov_b32_e32 v4, s9
	s_mov_b32 s8, 0x3fb8aa3b
	s_mov_b32 s9, 0xc2ce8ed0
	;; [unrolled: 1-line block ×3, first 2 shown]
	v_mov_b32_e32 v6, 0x7f800000
	s_mov_b32 s11, 0xc1a00000
.LBB54_3:                               ; =>This Inner Loop Header: Depth=1
	v_ashrrev_i32_e32 v1, 31, v0
	v_lshl_add_u64 v[8:9], v[0:1], 2, s[4:5]
	global_load_dword v9, v[8:9], off
	s_ashr_i32 s3, s2, 31
	s_lshl_b64 s[0:1], s[2:3], 3
	s_add_u32 s0, s14, s0
	s_addc_u32 s1, s15, s1
	s_load_dwordx2 s[0:1], s[0:1], 0x0
	v_max_f32_e32 v1, v7, v7
	s_add_i32 s7, s7, -1
	s_sub_i32 s2, s2, 64
	v_add_u32_e32 v0, 0xffffe400, v0
	s_waitcnt lgkmcnt(0)
	v_max_f32_e64 v10, s0, s0
	v_max_f32_e32 v1, v1, v10
	v_sub_f32_e32 v11, s0, v1
	v_sub_f32_e32 v10, v7, v1
	v_mul_f32_e32 v12, 0x3fb8aa3b, v11
	v_mov_b32_e32 v7, v1
	v_mul_f32_e32 v1, 0x3fb8aa3b, v10
	v_fma_f32 v15, v11, s8, -v12
	v_rndne_f32_e32 v16, v12
	v_fma_f32 v13, v10, s8, -v1
	v_rndne_f32_e32 v14, v1
	v_fmac_f32_e32 v15, 0x32a5705f, v11
	v_sub_f32_e32 v12, v12, v16
	v_fmac_f32_e32 v13, 0x32a5705f, v10
	v_sub_f32_e32 v1, v1, v14
	v_add_f32_e32 v12, v12, v15
	v_cvt_i32_f32_e32 v16, v16
	v_add_f32_e32 v1, v1, v13
	v_exp_f32_e32 v12, v12
	v_cvt_i32_f32_e32 v14, v14
	v_exp_f32_e32 v1, v1
	v_cmp_ngt_f32_e32 vcc, s9, v11
	v_ldexp_f32 v12, v12, v16
	v_mov_b32_e32 v8, s1
	v_ldexp_f32 v1, v1, v14
	v_cmp_ngt_f32_e64 s[0:1], s9, v10
	v_cndmask_b32_e32 v12, 0, v12, vcc
	v_cmp_nlt_f32_e32 vcc, s10, v11
	v_cndmask_b32_e64 v1, 0, v1, s[0:1]
	v_cmp_nlt_f32_e64 s[0:1], s10, v10
	v_cndmask_b32_e32 v12, v6, v12, vcc
	v_cmp_le_f32_e32 vcc, s11, v11
	v_cndmask_b32_e64 v1, v6, v1, s[0:1]
	v_cmp_le_f32_e64 s[0:1], s11, v10
	v_cndmask_b32_e32 v12, 0, v12, vcc
	s_cmp_le_i32 s7, s6
	v_cndmask_b32_e64 v10, 0, v1, s[0:1]
	s_waitcnt vmcnt(0)
	v_pk_mul_f32 v[8:9], v[8:9], v[12:13] op_sel_hi:[1,0]
	s_nop 0
	v_pk_fma_f32 v[4:5], v[4:5], v[10:11], v[8:9] op_sel_hi:[1,0,1]
	s_cbranch_scc0 .LBB54_3
	s_branch .LBB54_5
.LBB54_4:
	s_waitcnt lgkmcnt(0)
	v_mov_b32_e32 v4, s9
.LBB54_5:
	s_waitcnt vmcnt(0)
	v_div_scale_f32 v0, s[0:1], v4, v4, v5
	v_rcp_f32_e32 v1, v0
	v_div_scale_f32 v6, vcc, v5, v4, v5
	v_fma_f32 v7, -v0, v1, 1.0
	v_fmac_f32_e32 v1, v7, v1
	v_mul_f32_e32 v7, v6, v1
	v_fma_f32 v8, -v0, v7, v6
	v_fmac_f32_e32 v7, v8, v1
	v_fma_f32 v0, -v0, v7, v6
	v_div_fmas_f32 v0, v0, v1, v7
	v_div_fixup_f32 v0, v0, v4, v5
	global_store_dword v[2:3], v0, off
.LBB54_6:
	s_endpgm
	.section	.rodata,"a",@progbits
	.p2align	6, 0x0
	.amdhsa_kernel _ZL33flash_attn_stream_k_fixup_uniformILi112ELi64ELi1EEvPfPK15HIP_vector_typeIfLj2EEiiiiiiS1_IjLj3EES5_S5_
		.amdhsa_group_segment_fixed_size 0
		.amdhsa_private_segment_fixed_size 0
		.amdhsa_kernarg_size 76
		.amdhsa_user_sgpr_count 2
		.amdhsa_user_sgpr_dispatch_ptr 0
		.amdhsa_user_sgpr_queue_ptr 0
		.amdhsa_user_sgpr_kernarg_segment_ptr 1
		.amdhsa_user_sgpr_dispatch_id 0
		.amdhsa_user_sgpr_kernarg_preload_length 0
		.amdhsa_user_sgpr_kernarg_preload_offset 0
		.amdhsa_user_sgpr_private_segment_size 0
		.amdhsa_uses_dynamic_stack 0
		.amdhsa_enable_private_segment 0
		.amdhsa_system_sgpr_workgroup_id_x 1
		.amdhsa_system_sgpr_workgroup_id_y 1
		.amdhsa_system_sgpr_workgroup_id_z 1
		.amdhsa_system_sgpr_workgroup_info 0
		.amdhsa_system_vgpr_workitem_id 0
		.amdhsa_next_free_vgpr 17
		.amdhsa_next_free_sgpr 20
		.amdhsa_accum_offset 20
		.amdhsa_reserve_vcc 1
		.amdhsa_float_round_mode_32 0
		.amdhsa_float_round_mode_16_64 0
		.amdhsa_float_denorm_mode_32 3
		.amdhsa_float_denorm_mode_16_64 3
		.amdhsa_dx10_clamp 1
		.amdhsa_ieee_mode 1
		.amdhsa_fp16_overflow 0
		.amdhsa_tg_split 0
		.amdhsa_exception_fp_ieee_invalid_op 0
		.amdhsa_exception_fp_denorm_src 0
		.amdhsa_exception_fp_ieee_div_zero 0
		.amdhsa_exception_fp_ieee_overflow 0
		.amdhsa_exception_fp_ieee_underflow 0
		.amdhsa_exception_fp_ieee_inexact 0
		.amdhsa_exception_int_div_zero 0
	.end_amdhsa_kernel
	.section	.text._ZL33flash_attn_stream_k_fixup_uniformILi112ELi64ELi1EEvPfPK15HIP_vector_typeIfLj2EEiiiiiiS1_IjLj3EES5_S5_,"axG",@progbits,_ZL33flash_attn_stream_k_fixup_uniformILi112ELi64ELi1EEvPfPK15HIP_vector_typeIfLj2EEiiiiiiS1_IjLj3EES5_S5_,comdat
.Lfunc_end54:
	.size	_ZL33flash_attn_stream_k_fixup_uniformILi112ELi64ELi1EEvPfPK15HIP_vector_typeIfLj2EEiiiiiiS1_IjLj3EES5_S5_, .Lfunc_end54-_ZL33flash_attn_stream_k_fixup_uniformILi112ELi64ELi1EEvPfPK15HIP_vector_typeIfLj2EEiiiiiiS1_IjLj3EES5_S5_
                                        ; -- End function
	.set _ZL33flash_attn_stream_k_fixup_uniformILi112ELi64ELi1EEvPfPK15HIP_vector_typeIfLj2EEiiiiiiS1_IjLj3EES5_S5_.num_vgpr, 17
	.set _ZL33flash_attn_stream_k_fixup_uniformILi112ELi64ELi1EEvPfPK15HIP_vector_typeIfLj2EEiiiiiiS1_IjLj3EES5_S5_.num_agpr, 0
	.set _ZL33flash_attn_stream_k_fixup_uniformILi112ELi64ELi1EEvPfPK15HIP_vector_typeIfLj2EEiiiiiiS1_IjLj3EES5_S5_.numbered_sgpr, 20
	.set _ZL33flash_attn_stream_k_fixup_uniformILi112ELi64ELi1EEvPfPK15HIP_vector_typeIfLj2EEiiiiiiS1_IjLj3EES5_S5_.num_named_barrier, 0
	.set _ZL33flash_attn_stream_k_fixup_uniformILi112ELi64ELi1EEvPfPK15HIP_vector_typeIfLj2EEiiiiiiS1_IjLj3EES5_S5_.private_seg_size, 0
	.set _ZL33flash_attn_stream_k_fixup_uniformILi112ELi64ELi1EEvPfPK15HIP_vector_typeIfLj2EEiiiiiiS1_IjLj3EES5_S5_.uses_vcc, 1
	.set _ZL33flash_attn_stream_k_fixup_uniformILi112ELi64ELi1EEvPfPK15HIP_vector_typeIfLj2EEiiiiiiS1_IjLj3EES5_S5_.uses_flat_scratch, 0
	.set _ZL33flash_attn_stream_k_fixup_uniformILi112ELi64ELi1EEvPfPK15HIP_vector_typeIfLj2EEiiiiiiS1_IjLj3EES5_S5_.has_dyn_sized_stack, 0
	.set _ZL33flash_attn_stream_k_fixup_uniformILi112ELi64ELi1EEvPfPK15HIP_vector_typeIfLj2EEiiiiiiS1_IjLj3EES5_S5_.has_recursion, 0
	.set _ZL33flash_attn_stream_k_fixup_uniformILi112ELi64ELi1EEvPfPK15HIP_vector_typeIfLj2EEiiiiiiS1_IjLj3EES5_S5_.has_indirect_call, 0
	.section	.AMDGPU.csdata,"",@progbits
; Kernel info:
; codeLenInByte = 816
; TotalNumSgprs: 26
; NumVgprs: 17
; NumAgprs: 0
; TotalNumVgprs: 17
; ScratchSize: 0
; MemoryBound: 0
; FloatMode: 240
; IeeeMode: 1
; LDSByteSize: 0 bytes/workgroup (compile time only)
; SGPRBlocks: 3
; VGPRBlocks: 2
; NumSGPRsForWavesPerEU: 26
; NumVGPRsForWavesPerEU: 17
; AccumOffset: 20
; Occupancy: 8
; WaveLimiterHint : 0
; COMPUTE_PGM_RSRC2:SCRATCH_EN: 0
; COMPUTE_PGM_RSRC2:USER_SGPR: 2
; COMPUTE_PGM_RSRC2:TRAP_HANDLER: 0
; COMPUTE_PGM_RSRC2:TGID_X_EN: 1
; COMPUTE_PGM_RSRC2:TGID_Y_EN: 1
; COMPUTE_PGM_RSRC2:TGID_Z_EN: 1
; COMPUTE_PGM_RSRC2:TIDIG_COMP_CNT: 0
; COMPUTE_PGM_RSRC3_GFX90A:ACCUM_OFFSET: 4
; COMPUTE_PGM_RSRC3_GFX90A:TG_SPLIT: 0
	.section	.text._ZL33flash_attn_stream_k_fixup_generalILi112ELi64ELi1EEvPfPK15HIP_vector_typeIfLj2EEiiiiS1_IjLj3EES5_S5_S5_,"axG",@progbits,_ZL33flash_attn_stream_k_fixup_generalILi112ELi64ELi1EEvPfPK15HIP_vector_typeIfLj2EEiiiiS1_IjLj3EES5_S5_S5_,comdat
	.globl	_ZL33flash_attn_stream_k_fixup_generalILi112ELi64ELi1EEvPfPK15HIP_vector_typeIfLj2EEiiiiS1_IjLj3EES5_S5_S5_ ; -- Begin function _ZL33flash_attn_stream_k_fixup_generalILi112ELi64ELi1EEvPfPK15HIP_vector_typeIfLj2EEiiiiS1_IjLj3EES5_S5_S5_
	.p2align	8
	.type	_ZL33flash_attn_stream_k_fixup_generalILi112ELi64ELi1EEvPfPK15HIP_vector_typeIfLj2EEiiiiS1_IjLj3EES5_S5_S5_,@function
_ZL33flash_attn_stream_k_fixup_generalILi112ELi64ELi1EEvPfPK15HIP_vector_typeIfLj2EEiiiiS1_IjLj3EES5_S5_S5_: ; @_ZL33flash_attn_stream_k_fixup_generalILi112ELi64ELi1EEvPfPK15HIP_vector_typeIfLj2EEiiiiS1_IjLj3EES5_S5_S5_
; %bb.0:
	s_load_dwordx4 s[8:11], s[0:1], 0x10
	s_load_dword s22, s[0:1], 0x50
	s_mov_b32 s12, 0
	s_waitcnt lgkmcnt(0)
	s_mul_hi_i32 s13, s11, s2
	s_cmp_lg_u64 s[12:13], 0
	s_mul_i32 s5, s11, s2
	s_cbranch_scc0 .LBB55_20
; %bb.1:
	s_add_u32 s6, s22, 0
	s_addc_u32 s7, 0, 0
	s_xor_b64 s[6:7], s[6:7], 0
	v_cvt_f32_u32_e32 v1, s6
	v_cvt_f32_u32_e32 v2, s7
	s_sub_u32 s12, 0, s6
	s_subb_u32 s18, 0, s7
	v_fmamk_f32 v1, v2, 0x4f800000, v1
	v_rcp_f32_e32 v1, v1
	s_nop 0
	v_mul_f32_e32 v1, 0x5f7ffffc, v1
	v_mul_f32_e32 v2, 0x2f800000, v1
	v_trunc_f32_e32 v2, v2
	v_fmamk_f32 v1, v2, 0xcf800000, v1
	v_cvt_u32_f32_e32 v2, v2
	v_cvt_u32_f32_e32 v1, v1
	v_readfirstlane_b32 s19, v2
	v_readfirstlane_b32 s14, v1
	s_mul_i32 s15, s12, s19
	s_mul_hi_u32 s21, s12, s14
	s_mul_i32 s20, s18, s14
	s_add_i32 s15, s21, s15
	s_add_i32 s15, s15, s20
	s_mul_i32 s23, s12, s14
	s_mul_i32 s21, s14, s15
	s_mul_hi_u32 s24, s14, s23
	s_mul_hi_u32 s20, s14, s15
	s_add_u32 s21, s24, s21
	s_addc_u32 s20, 0, s20
	s_mul_hi_u32 s25, s19, s23
	s_mul_i32 s23, s19, s23
	s_add_u32 s21, s21, s23
	s_mul_hi_u32 s24, s19, s15
	s_addc_u32 s20, s20, s25
	s_addc_u32 s21, s24, 0
	s_mul_i32 s15, s19, s15
	s_add_u32 s15, s20, s15
	s_addc_u32 s20, 0, s21
	s_add_u32 s21, s14, s15
	s_cselect_b64 s[14:15], -1, 0
	s_cmp_lg_u64 s[14:15], 0
	s_addc_u32 s19, s19, s20
	s_mul_i32 s14, s12, s19
	s_mul_hi_u32 s15, s12, s21
	s_add_i32 s14, s15, s14
	s_mul_i32 s18, s18, s21
	s_add_i32 s14, s14, s18
	s_mul_i32 s12, s12, s21
	s_mul_hi_u32 s18, s19, s12
	s_mul_i32 s20, s19, s12
	s_mul_i32 s24, s21, s14
	s_mul_hi_u32 s12, s21, s12
	s_mul_hi_u32 s23, s21, s14
	s_add_u32 s12, s12, s24
	s_addc_u32 s23, 0, s23
	s_add_u32 s12, s12, s20
	s_mul_hi_u32 s15, s19, s14
	s_addc_u32 s12, s23, s18
	s_addc_u32 s15, s15, 0
	s_mul_i32 s14, s19, s14
	s_add_u32 s12, s12, s14
	s_addc_u32 s18, 0, s15
	s_add_u32 s20, s21, s12
	s_cselect_b64 s[14:15], -1, 0
	s_cmp_lg_u64 s[14:15], 0
	s_addc_u32 s18, s19, s18
	s_ashr_i32 s14, s13, 31
	s_add_u32 s12, s5, s14
	s_mov_b32 s15, s14
	s_addc_u32 s13, s13, s14
	s_xor_b64 s[12:13], s[12:13], s[14:15]
	s_mul_i32 s21, s12, s18
	s_mul_hi_u32 s23, s12, s20
	s_mul_hi_u32 s19, s12, s18
	s_add_u32 s21, s23, s21
	s_addc_u32 s19, 0, s19
	s_mul_hi_u32 s24, s13, s20
	s_mul_i32 s20, s13, s20
	s_add_u32 s20, s21, s20
	s_mul_hi_u32 s23, s13, s18
	s_addc_u32 s19, s19, s24
	s_addc_u32 s20, s23, 0
	s_mul_i32 s18, s13, s18
	s_add_u32 s23, s19, s18
	s_addc_u32 s24, 0, s20
	s_mul_i32 s18, s6, s24
	s_mul_hi_u32 s19, s6, s23
	s_add_i32 s18, s19, s18
	s_mul_i32 s19, s7, s23
	s_add_i32 s25, s18, s19
	s_sub_i32 s20, s13, s25
	s_mul_i32 s18, s6, s23
	s_sub_u32 s12, s12, s18
	s_cselect_b64 s[18:19], -1, 0
	s_cmp_lg_u64 s[18:19], 0
	s_subb_u32 s26, s20, s7
	s_sub_u32 s27, s12, s6
	s_cselect_b64 s[20:21], -1, 0
	s_cmp_lg_u64 s[20:21], 0
	s_subb_u32 s20, s26, 0
	s_cmp_ge_u32 s20, s7
	s_cselect_b32 s21, -1, 0
	s_cmp_ge_u32 s27, s6
	s_cselect_b32 s26, -1, 0
	s_cmp_eq_u32 s20, s7
	s_cselect_b32 s20, s26, s21
	s_add_u32 s21, s23, 1
	s_addc_u32 s26, s24, 0
	s_add_u32 s27, s23, 2
	s_addc_u32 s28, s24, 0
	s_cmp_lg_u32 s20, 0
	s_cselect_b32 s20, s27, s21
	s_cselect_b32 s21, s28, s26
	s_cmp_lg_u64 s[18:19], 0
	s_subb_u32 s13, s13, s25
	s_cmp_ge_u32 s13, s7
	s_cselect_b32 s18, -1, 0
	s_cmp_ge_u32 s12, s6
	s_cselect_b32 s6, -1, 0
	s_cmp_eq_u32 s13, s7
	s_cselect_b32 s6, s6, s18
	s_cmp_lg_u32 s6, 0
	s_cselect_b32 s7, s21, s24
	s_cselect_b32 s6, s20, s23
	s_xor_b64 s[12:13], s[14:15], 0
	s_xor_b64 s[6:7], s[6:7], s[12:13]
	s_sub_u32 s6, s6, s12
	s_load_dwordx4 s[12:15], s[0:1], 0x44
	s_cbranch_execnz .LBB55_3
.LBB55_2:
	v_cvt_f32_u32_e32 v1, s22
	s_sub_i32 s6, 0, s22
	v_rcp_iflag_f32_e32 v1, v1
	s_nop 0
	v_mul_f32_e32 v1, 0x4f7ffffe, v1
	v_cvt_u32_f32_e32 v1, v1
	s_nop 0
	v_readfirstlane_b32 s7, v1
	s_mul_i32 s6, s6, s7
	s_mul_hi_u32 s6, s7, s6
	s_add_i32 s7, s7, s6
	s_mul_hi_u32 s6, s5, s7
	s_waitcnt lgkmcnt(0)
	s_mul_i32 s15, s6, s22
	s_sub_i32 s5, s5, s15
	s_add_i32 s7, s6, 1
	s_sub_i32 s15, s5, s22
	s_cmp_ge_u32 s5, s22
	s_cselect_b32 s6, s7, s6
	s_cselect_b32 s5, s15, s5
	s_add_i32 s7, s6, 1
	s_cmp_ge_u32 s5, s22
	s_cselect_b32 s6, s7, s6
.LBB55_3:
	s_add_i32 s5, s2, 1
	s_mul_hi_i32 s21, s11, s5
	s_mov_b32 s20, 0
	s_cmp_lg_u64 s[20:21], 0
	s_mul_i32 s5, s11, s5
	s_cbranch_scc0 .LBB55_21
; %bb.4:
	s_add_u32 s16, s22, 0
	s_addc_u32 s17, 0, 0
	s_xor_b64 s[18:19], s[16:17], 0
	v_cvt_f32_u32_e32 v1, s18
	v_cvt_f32_u32_e32 v2, s19
	s_sub_u32 s7, 0, s18
	s_waitcnt lgkmcnt(0)
	s_subb_u32 s15, 0, s19
	v_fmamk_f32 v1, v2, 0x4f800000, v1
	v_rcp_f32_e32 v1, v1
	s_nop 0
	v_mul_f32_e32 v1, 0x5f7ffffc, v1
	v_mul_f32_e32 v2, 0x2f800000, v1
	v_trunc_f32_e32 v2, v2
	v_fmamk_f32 v1, v2, 0xcf800000, v1
	v_cvt_u32_f32_e32 v2, v2
	v_cvt_u32_f32_e32 v1, v1
	v_readfirstlane_b32 s20, v2
	v_readfirstlane_b32 s23, v1
	s_mul_i32 s24, s7, s20
	s_mul_hi_u32 s26, s7, s23
	s_mul_i32 s25, s15, s23
	s_add_i32 s24, s26, s24
	s_add_i32 s24, s24, s25
	s_mul_i32 s27, s7, s23
	s_mul_i32 s26, s23, s24
	s_mul_hi_u32 s28, s23, s27
	s_mul_hi_u32 s25, s23, s24
	s_add_u32 s26, s28, s26
	s_addc_u32 s25, 0, s25
	s_mul_hi_u32 s29, s20, s27
	s_mul_i32 s27, s20, s27
	s_add_u32 s26, s26, s27
	s_mul_hi_u32 s28, s20, s24
	s_addc_u32 s25, s25, s29
	s_addc_u32 s26, s28, 0
	s_mul_i32 s24, s20, s24
	s_add_u32 s24, s25, s24
	s_addc_u32 s26, 0, s26
	s_add_u32 s23, s23, s24
	s_cselect_b64 s[24:25], -1, 0
	s_cmp_lg_u64 s[24:25], 0
	s_addc_u32 s20, s20, s26
	s_mul_i32 s24, s7, s20
	s_mul_hi_u32 s25, s7, s23
	s_add_i32 s24, s25, s24
	s_mul_i32 s15, s15, s23
	s_add_i32 s24, s24, s15
	s_mul_i32 s7, s7, s23
	s_mul_hi_u32 s25, s20, s7
	s_mul_i32 s26, s20, s7
	s_mul_i32 s28, s23, s24
	s_mul_hi_u32 s7, s23, s7
	s_mul_hi_u32 s27, s23, s24
	s_add_u32 s7, s7, s28
	s_addc_u32 s27, 0, s27
	s_add_u32 s7, s7, s26
	s_mul_hi_u32 s15, s20, s24
	s_addc_u32 s7, s27, s25
	s_addc_u32 s15, s15, 0
	s_mul_i32 s24, s20, s24
	s_add_u32 s7, s7, s24
	s_addc_u32 s15, 0, s15
	s_add_u32 s7, s23, s7
	s_cselect_b64 s[24:25], -1, 0
	s_cmp_lg_u64 s[24:25], 0
	s_addc_u32 s15, s20, s15
	s_ashr_i32 s24, s21, 31
	s_add_u32 s20, s5, s24
	s_mov_b32 s25, s24
	s_addc_u32 s21, s21, s24
	s_xor_b64 s[20:21], s[20:21], s[24:25]
	s_mul_i32 s26, s20, s15
	s_mul_hi_u32 s27, s20, s7
	s_mul_hi_u32 s23, s20, s15
	s_add_u32 s26, s27, s26
	s_addc_u32 s23, 0, s23
	s_mul_hi_u32 s28, s21, s7
	s_mul_i32 s7, s21, s7
	s_add_u32 s7, s26, s7
	s_mul_hi_u32 s27, s21, s15
	s_addc_u32 s7, s23, s28
	s_addc_u32 s23, s27, 0
	s_mul_i32 s15, s21, s15
	s_add_u32 s7, s7, s15
	s_addc_u32 s15, 0, s23
	s_mul_i32 s23, s18, s15
	s_mul_hi_u32 s26, s18, s7
	s_add_i32 s23, s26, s23
	s_mul_i32 s26, s19, s7
	s_add_i32 s23, s23, s26
	s_sub_i32 s28, s21, s23
	s_mul_i32 s26, s18, s7
	s_sub_u32 s20, s20, s26
	s_cselect_b64 s[26:27], -1, 0
	s_cmp_lg_u64 s[26:27], 0
	s_subb_u32 s30, s28, s19
	s_sub_u32 s31, s20, s18
	s_cselect_b64 s[28:29], -1, 0
	s_cmp_lg_u64 s[28:29], 0
	s_subb_u32 s28, s30, 0
	s_cmp_ge_u32 s28, s19
	s_cselect_b32 s29, -1, 0
	s_cmp_ge_u32 s31, s18
	s_cselect_b32 s30, -1, 0
	s_cmp_eq_u32 s28, s19
	s_cselect_b32 s28, s30, s29
	s_add_u32 s29, s7, 1
	s_addc_u32 s30, s15, 0
	s_add_u32 s31, s7, 2
	s_addc_u32 s33, s15, 0
	s_cmp_lg_u32 s28, 0
	s_cselect_b32 s28, s31, s29
	s_cselect_b32 s29, s33, s30
	s_cmp_lg_u64 s[26:27], 0
	s_subb_u32 s21, s21, s23
	s_cmp_ge_u32 s21, s19
	s_cselect_b32 s23, -1, 0
	s_cmp_ge_u32 s20, s18
	s_cselect_b32 s18, -1, 0
	s_cmp_eq_u32 s21, s19
	s_cselect_b32 s18, s18, s23
	s_cmp_lg_u32 s18, 0
	s_cselect_b32 s19, s29, s15
	s_cselect_b32 s18, s28, s7
	s_xor_b64 s[20:21], s[24:25], 0
	s_xor_b64 s[18:19], s[18:19], s[20:21]
	s_sub_u32 s18, s18, s20
	s_cbranch_execnz .LBB55_6
.LBB55_5:
	v_cvt_f32_u32_e32 v1, s22
	s_sub_i32 s7, 0, s22
	v_rcp_iflag_f32_e32 v1, v1
	s_nop 0
	v_mul_f32_e32 v1, 0x4f7ffffe, v1
	v_cvt_u32_f32_e32 v1, v1
	s_waitcnt lgkmcnt(0)
	v_readfirstlane_b32 s15, v1
	s_mul_i32 s7, s7, s15
	s_mul_hi_u32 s7, s15, s7
	s_add_i32 s15, s15, s7
	s_mul_hi_u32 s7, s5, s15
	s_mul_i32 s16, s7, s22
	s_sub_i32 s5, s5, s16
	s_add_i32 s15, s7, 1
	s_sub_i32 s16, s5, s22
	s_cmp_ge_u32 s5, s22
	s_cselect_b32 s7, s15, s7
	s_cselect_b32 s5, s16, s5
	s_add_i32 s15, s7, 1
	s_cmp_ge_u32 s5, s22
	s_cselect_b32 s18, s15, s7
.LBB55_6:
	s_cmp_eq_u32 s6, s18
	s_waitcnt lgkmcnt(0)
	s_mul_hi_u32 s5, s6, s12
	s_cselect_b64 s[16:17], -1, 0
	s_add_i32 s5, s5, s6
	s_lshr_b32 s7, s5, s13
	s_mul_i32 s5, s7, s14
	s_cmp_eq_u32 s5, s6
	s_mul_hi_u32 s5, s18, s12
	s_cselect_b64 s[20:21], -1, 0
	s_add_i32 s5, s5, s18
	s_lshr_b32 s5, s5, s13
	s_cmp_eq_u32 s7, s5
	s_mul_i32 s5, s5, s14
	s_cselect_b64 s[24:25], -1, 0
	s_cmp_lg_u32 s5, s18
	s_cselect_b64 s[18:19], -1, 0
	s_and_b64 s[18:19], s[24:25], s[18:19]
	s_or_b64 s[16:17], s[16:17], s[20:21]
	s_or_b64 s[16:17], s[16:17], s[18:19]
	s_and_b64 vcc, exec, s[16:17]
	s_cbranch_vccnz .LBB55_23
; %bb.7:
	s_load_dwordx8 s[24:31], s[0:1], 0x20
	s_load_dword s5, s[0:1], 0x40
	s_waitcnt lgkmcnt(0)
	s_mul_hi_u32 s15, s6, s24
	s_add_i32 s15, s15, s6
	s_lshr_b32 s20, s15, s25
	s_mul_i32 s15, s20, s26
	s_sub_i32 s15, s6, s15
	s_mul_hi_u32 s16, s15, s27
	s_add_i32 s16, s15, s16
	s_lshr_b32 s21, s16, s28
	s_mul_i32 s16, s21, s29
	s_sub_i32 s15, s15, s16
	;; [unrolled: 5-line block ×3, first 2 shown]
	s_mul_hi_u32 s15, s5, s12
	s_add_i32 s5, s5, s15
	s_lshr_b32 s23, s5, s13
	s_lshl_b32 s5, s23, 6
	s_add_i32 s5, s5, s3
	s_cmp_lt_i32 s5, s8
	s_cselect_b64 s[16:17], -1, 0
	s_add_i32 s24, s24, s4
	s_cmp_lt_i32 s24, s10
	s_cselect_b64 s[18:19], -1, 0
	s_and_b64 s[16:17], s[16:17], s[18:19]
	s_andn2_b64 vcc, exec, s[16:17]
	s_cbranch_vccnz .LBB55_23
; %bb.8:
	s_load_dwordx4 s[16:19], s[0:1], 0x0
	s_mov_b32 s0, 0
	s_add_i32 s15, s3, s4
	s_lshl_b32 s4, s22, 8
	s_mov_b32 s5, s0
	s_lshl_b64 s[4:5], s[4:5], 2
	s_waitcnt lgkmcnt(0)
	s_add_u32 s4, s18, s4
	s_mul_i32 s1, s20, s8
	s_addc_u32 s5, s19, s5
	s_mul_i32 s21, s21, s10
	s_add_i32 s1, s1, s3
	s_mul_i32 s1, s1, s9
	s_add_i32 s3, s24, s21
	;; [unrolled: 2-line block ×3, first 2 shown]
	s_mulk_i32 s8, 0x1c00
	s_mulk_i32 s1, 0x70
	s_add_i32 s8, s8, s1
	v_add_u32_e32 v4, s8, v0
	v_mov_b32_e32 v2, s16
	v_mov_b32_e32 v3, s17
	v_ashrrev_i32_e32 v5, 31, v4
	v_lshl_add_u64 v[2:3], v[4:5], 2, v[2:3]
	global_load_dword v1, v[2:3], off
	v_cvt_f32_u32_e32 v4, s22
	s_lshl_b32 s1, s2, 6
	s_add_i32 s8, s1, s15
	s_ashr_i32 s9, s8, 31
	s_lshl_b64 s[8:9], s[8:9], 3
	v_rcp_iflag_f32_e32 v4, v4
	s_add_u32 s8, s18, s8
	s_addc_u32 s9, s19, s9
	s_load_dwordx2 s[8:9], s[8:9], 0x0
	v_mul_f32_e32 v4, 0x4f7ffffe, v4
	v_cvt_u32_f32_e32 v7, v4
	s_mul_i32 s1, s15, 0x70
	s_add_i32 s21, s2, -1
	v_add_u32_e32 v6, s1, v0
	s_waitcnt lgkmcnt(0)
	v_mov_b32_e32 v0, s9
	v_mov_b32_e32 v9, s8
	s_mov_b32 s10, 0x3fb8aa3b
	s_mov_b32 s20, 0xc2ce8ed0
	;; [unrolled: 1-line block ×4, first 2 shown]
	v_mov_b32_e32 v8, 0x7f800000
	s_mul_hi_i32 s1, s21, s11
	s_cmp_lg_u64 s[0:1], 0
	s_mul_i32 s16, s21, s11
	s_cbranch_scc0 .LBB55_19
.LBB55_9:
	s_add_u32 s2, s22, 0
	s_addc_u32 s3, 0, 0
	s_xor_b64 s[2:3], s[2:3], 0
	v_cvt_f32_u32_e32 v4, s2
	v_cvt_f32_u32_e32 v5, s3
	s_sub_u32 s17, 0, s2
	s_subb_u32 s25, 0, s3
	v_fmac_f32_e32 v4, 0x4f800000, v5
	v_rcp_f32_e32 v4, v4
	s_nop 0
	v_mul_f32_e32 v4, 0x5f7ffffc, v4
	v_mul_f32_e32 v5, 0x2f800000, v4
	v_trunc_f32_e32 v5, v5
	v_fmac_f32_e32 v4, 0xcf800000, v5
	v_cvt_u32_f32_e32 v5, v5
	v_cvt_u32_f32_e32 v4, v4
	v_readfirstlane_b32 s26, v5
	v_readfirstlane_b32 s8, v4
	s_mul_i32 s9, s17, s26
	s_mul_hi_u32 s28, s17, s8
	s_mul_i32 s27, s25, s8
	s_add_i32 s9, s28, s9
	s_mul_i32 s29, s17, s8
	s_add_i32 s9, s9, s27
	s_mul_i32 s28, s8, s9
	s_mul_hi_u32 s30, s8, s29
	s_mul_hi_u32 s27, s8, s9
	s_add_u32 s28, s30, s28
	s_addc_u32 s27, 0, s27
	s_mul_hi_u32 s31, s26, s29
	s_mul_i32 s29, s26, s29
	s_add_u32 s28, s28, s29
	s_mul_hi_u32 s30, s26, s9
	s_addc_u32 s27, s27, s31
	s_addc_u32 s28, s30, 0
	s_mul_i32 s9, s26, s9
	s_add_u32 s9, s27, s9
	s_addc_u32 s27, 0, s28
	s_add_u32 s28, s8, s9
	s_cselect_b64 s[8:9], -1, 0
	s_cmp_lg_u64 s[8:9], 0
	s_addc_u32 s26, s26, s27
	s_mul_i32 s8, s17, s26
	s_mul_hi_u32 s9, s17, s28
	s_add_i32 s8, s9, s8
	s_mul_i32 s25, s25, s28
	s_add_i32 s8, s8, s25
	s_mul_i32 s17, s17, s28
	s_mul_hi_u32 s25, s26, s17
	s_mul_i32 s27, s26, s17
	s_mul_i32 s30, s28, s8
	s_mul_hi_u32 s17, s28, s17
	s_mul_hi_u32 s29, s28, s8
	s_add_u32 s17, s17, s30
	s_addc_u32 s29, 0, s29
	s_add_u32 s17, s17, s27
	s_mul_hi_u32 s9, s26, s8
	s_addc_u32 s17, s29, s25
	s_addc_u32 s9, s9, 0
	s_mul_i32 s8, s26, s8
	s_add_u32 s8, s17, s8
	s_addc_u32 s17, 0, s9
	s_add_u32 s25, s28, s8
	s_cselect_b64 s[8:9], -1, 0
	s_cmp_lg_u64 s[8:9], 0
	s_addc_u32 s17, s26, s17
	s_ashr_i32 s8, s1, 31
	s_add_u32 s26, s16, s8
	s_mov_b32 s9, s8
	s_addc_u32 s27, s1, s8
	s_xor_b64 s[26:27], s[26:27], s[8:9]
	s_mul_i32 s28, s26, s17
	s_mul_hi_u32 s29, s26, s25
	s_mul_hi_u32 s1, s26, s17
	s_add_u32 s28, s29, s28
	s_addc_u32 s1, 0, s1
	s_mul_hi_u32 s30, s27, s25
	s_mul_i32 s25, s27, s25
	s_add_u32 s25, s28, s25
	s_mul_hi_u32 s29, s27, s17
	s_addc_u32 s1, s1, s30
	s_addc_u32 s25, s29, 0
	s_mul_i32 s17, s27, s17
	s_add_u32 s1, s1, s17
	s_addc_u32 s17, 0, s25
	s_mul_i32 s25, s2, s17
	s_mul_hi_u32 s28, s2, s1
	s_add_i32 s25, s28, s25
	s_mul_i32 s28, s3, s1
	s_add_i32 s25, s25, s28
	s_sub_i32 s30, s27, s25
	s_mul_i32 s28, s2, s1
	s_sub_u32 s26, s26, s28
	s_cselect_b64 s[28:29], -1, 0
	s_cmp_lg_u64 s[28:29], 0
	s_subb_u32 s33, s30, s3
	s_sub_u32 s34, s26, s2
	s_cselect_b64 s[30:31], -1, 0
	s_cmp_lg_u64 s[30:31], 0
	s_subb_u32 s30, s33, 0
	s_cmp_ge_u32 s30, s3
	s_cselect_b32 s31, -1, 0
	s_cmp_ge_u32 s34, s2
	s_cselect_b32 s33, -1, 0
	s_cmp_eq_u32 s30, s3
	s_cselect_b32 s30, s33, s31
	s_add_u32 s31, s1, 1
	s_addc_u32 s33, s17, 0
	s_add_u32 s34, s1, 2
	s_addc_u32 s35, s17, 0
	s_cmp_lg_u32 s30, 0
	s_cselect_b32 s30, s34, s31
	s_cselect_b32 s31, s35, s33
	s_cmp_lg_u64 s[28:29], 0
	s_subb_u32 s25, s27, s25
	s_cmp_ge_u32 s25, s3
	s_cselect_b32 s27, -1, 0
	s_cmp_ge_u32 s26, s2
	s_cselect_b32 s2, -1, 0
	s_cmp_eq_u32 s25, s3
	s_cselect_b32 s2, s2, s27
	s_cmp_lg_u32 s2, 0
	s_cselect_b32 s3, s31, s17
	s_cselect_b32 s2, s30, s1
	s_xor_b64 s[8:9], s[8:9], 0
	s_xor_b64 s[2:3], s[2:3], s[8:9]
	s_sub_u32 s8, s2, s8
	s_cbranch_execnz .LBB55_11
.LBB55_10:
	s_sub_i32 s1, 0, s22
	v_readfirstlane_b32 s2, v7
	s_mul_i32 s1, s1, s2
	s_mul_hi_u32 s1, s2, s1
	s_add_i32 s2, s2, s1
	s_mul_hi_u32 s1, s16, s2
	s_mul_i32 s3, s1, s22
	s_sub_i32 s3, s16, s3
	s_add_i32 s2, s1, 1
	s_sub_i32 s8, s3, s22
	s_cmp_ge_u32 s3, s22
	s_cselect_b32 s1, s2, s1
	s_cselect_b32 s3, s8, s3
	s_add_i32 s2, s1, 1
	s_cmp_ge_u32 s3, s22
	s_cselect_b32 s8, s2, s1
.LBB55_11:
	s_cmp_lg_u32 s6, s8
	s_cbranch_scc0 .LBB55_15
; %bb.12:
	s_add_i32 s1, s21, s22
	s_lshl_b32 s1, s1, 6
	s_add_i32 s2, s1, s15
	s_mov_b32 s3, s0
	s_lshl_b64 s[2:3], s[2:3], 3
	s_add_u32 s16, s18, s2
	s_mul_hi_u32 s1, s8, s12
	s_addc_u32 s17, s19, s3
	s_add_i32 s1, s1, s8
	s_lshr_b32 s1, s1, s13
	s_mul_i32 s2, s1, s14
	s_cmp_eq_u32 s2, s8
	s_cselect_b64 s[2:3], -1, 0
	s_cmp_lt_u32 s1, s7
	s_cselect_b64 s[26:27], -1, 0
	s_or_b64 s[26:27], s[26:27], s[2:3]
	s_mov_b64 s[2:3], -1
	s_and_b64 vcc, exec, s[26:27]
	s_mov_b32 s1, s21
	s_mov_b32 s25, s6
	s_cbranch_vccnz .LBB55_14
; %bb.13:
	s_add_i32 s1, s21, -1
	s_mov_b64 s[2:3], 0
	s_mov_b32 s25, s8
.LBB55_14:
	s_mul_i32 s8, s21, 0x1c00
	v_add_u32_e32 v4, s8, v6
	v_ashrrev_i32_e32 v5, 31, v4
	v_lshl_add_u64 v[4:5], v[4:5], 2, s[4:5]
	global_load_dword v5, v[4:5], off
	s_load_dwordx2 s[8:9], s[16:17], 0x0
	v_max_f32_e32 v4, v9, v9
	s_waitcnt lgkmcnt(0)
	v_max_f32_e64 v10, s8, s8
	v_max_f32_e32 v10, v4, v10
	v_sub_f32_e32 v11, v9, v10
	v_sub_f32_e32 v13, s8, v10
	v_mul_f32_e32 v4, 0x3fb8aa3b, v11
	v_mul_f32_e32 v12, 0x3fb8aa3b, v13
	v_fma_f32 v14, v11, s10, -v4
	v_rndne_f32_e32 v15, v4
	v_fma_f32 v16, v13, s10, -v12
	v_rndne_f32_e32 v17, v12
	v_fmac_f32_e32 v14, 0x32a5705f, v11
	v_sub_f32_e32 v4, v4, v15
	v_fmac_f32_e32 v16, 0x32a5705f, v13
	v_sub_f32_e32 v12, v12, v17
	v_add_f32_e32 v4, v4, v14
	v_cvt_i32_f32_e32 v15, v15
	v_add_f32_e32 v12, v12, v16
	v_exp_f32_e32 v14, v4
	v_cvt_i32_f32_e32 v17, v17
	v_exp_f32_e32 v12, v12
	v_cmp_ngt_f32_e32 vcc, s20, v11
	v_ldexp_f32 v14, v14, v15
	v_mov_b32_e32 v4, s9
	v_ldexp_f32 v12, v12, v17
	v_cndmask_b32_e32 v14, 0, v14, vcc
	v_cmp_ngt_f32_e32 vcc, s20, v13
	s_nop 1
	v_cndmask_b32_e32 v12, 0, v12, vcc
	v_cmp_nlt_f32_e32 vcc, s23, v11
	s_nop 1
	v_cndmask_b32_e32 v14, v8, v14, vcc
	v_cmp_nlt_f32_e32 vcc, s23, v13
	s_nop 1
	v_cndmask_b32_e32 v15, v8, v12, vcc
	v_cmp_le_f32_e32 vcc, s24, v11
	s_nop 1
	v_cndmask_b32_e32 v12, 0, v14, vcc
	v_cmp_le_f32_e32 vcc, s24, v13
	s_nop 1
	v_cndmask_b32_e32 v14, 0, v15, vcc
	s_waitcnt vmcnt(0)
	v_pk_mul_f32 v[4:5], v[4:5], v[14:15] op_sel_hi:[1,0]
	s_nop 0
	v_pk_fma_f32 v[4:5], v[0:1], v[12:13], v[4:5] op_sel_hi:[1,0,1]
	s_cbranch_execz .LBB55_16
	s_branch .LBB55_17
.LBB55_15:
                                        ; implicit-def: $vgpr4_vgpr5
                                        ; implicit-def: $sgpr2_sgpr3
                                        ; implicit-def: $vgpr10
                                        ; implicit-def: $sgpr1
                                        ; implicit-def: $sgpr25
.LBB55_16:
	s_add_i32 s1, s21, -1
	s_mov_b64 s[2:3], 0
	s_mov_b32 s25, s6
	v_mov_b32_e32 v10, v9
	s_waitcnt vmcnt(0)
	v_mov_b64_e32 v[4:5], v[0:1]
.LBB55_17:
	s_andn2_b64 vcc, exec, s[2:3]
	s_cbranch_vccz .LBB55_22
; %bb.18:
	s_mov_b32 s6, s25
	s_mov_b32 s21, s1
	v_mov_b32_e32 v9, v10
	s_waitcnt vmcnt(0)
	v_mov_b64_e32 v[0:1], v[4:5]
	s_mul_hi_i32 s1, s21, s11
	s_cmp_lg_u64 s[0:1], 0
	s_mul_i32 s16, s21, s11
	s_cbranch_scc1 .LBB55_9
.LBB55_19:
                                        ; implicit-def: $sgpr8_sgpr9
	s_branch .LBB55_10
.LBB55_20:
                                        ; implicit-def: $sgpr6_sgpr7
	s_load_dwordx4 s[12:15], s[0:1], 0x44
	s_branch .LBB55_2
.LBB55_21:
                                        ; implicit-def: $sgpr18_sgpr19
	s_branch .LBB55_5
.LBB55_22:
	v_div_scale_f32 v0, s[0:1], v4, v4, v5
	s_waitcnt vmcnt(0)
	v_rcp_f32_e32 v1, v0
	v_div_scale_f32 v6, vcc, v5, v4, v5
	v_fma_f32 v7, -v0, v1, 1.0
	v_fmac_f32_e32 v1, v7, v1
	v_mul_f32_e32 v7, v6, v1
	v_fma_f32 v8, -v0, v7, v6
	v_fmac_f32_e32 v7, v8, v1
	v_fma_f32 v0, -v0, v7, v6
	v_div_fmas_f32 v0, v0, v1, v7
	v_div_fixup_f32 v0, v0, v4, v5
	global_store_dword v[2:3], v0, off
.LBB55_23:
	s_endpgm
	.section	.rodata,"a",@progbits
	.p2align	6, 0x0
	.amdhsa_kernel _ZL33flash_attn_stream_k_fixup_generalILi112ELi64ELi1EEvPfPK15HIP_vector_typeIfLj2EEiiiiS1_IjLj3EES5_S5_S5_
		.amdhsa_group_segment_fixed_size 0
		.amdhsa_private_segment_fixed_size 0
		.amdhsa_kernarg_size 336
		.amdhsa_user_sgpr_count 2
		.amdhsa_user_sgpr_dispatch_ptr 0
		.amdhsa_user_sgpr_queue_ptr 0
		.amdhsa_user_sgpr_kernarg_segment_ptr 1
		.amdhsa_user_sgpr_dispatch_id 0
		.amdhsa_user_sgpr_kernarg_preload_length 0
		.amdhsa_user_sgpr_kernarg_preload_offset 0
		.amdhsa_user_sgpr_private_segment_size 0
		.amdhsa_uses_dynamic_stack 0
		.amdhsa_enable_private_segment 0
		.amdhsa_system_sgpr_workgroup_id_x 1
		.amdhsa_system_sgpr_workgroup_id_y 1
		.amdhsa_system_sgpr_workgroup_id_z 1
		.amdhsa_system_sgpr_workgroup_info 0
		.amdhsa_system_vgpr_workitem_id 0
		.amdhsa_next_free_vgpr 18
		.amdhsa_next_free_sgpr 36
		.amdhsa_accum_offset 20
		.amdhsa_reserve_vcc 1
		.amdhsa_float_round_mode_32 0
		.amdhsa_float_round_mode_16_64 0
		.amdhsa_float_denorm_mode_32 3
		.amdhsa_float_denorm_mode_16_64 3
		.amdhsa_dx10_clamp 1
		.amdhsa_ieee_mode 1
		.amdhsa_fp16_overflow 0
		.amdhsa_tg_split 0
		.amdhsa_exception_fp_ieee_invalid_op 0
		.amdhsa_exception_fp_denorm_src 0
		.amdhsa_exception_fp_ieee_div_zero 0
		.amdhsa_exception_fp_ieee_overflow 0
		.amdhsa_exception_fp_ieee_underflow 0
		.amdhsa_exception_fp_ieee_inexact 0
		.amdhsa_exception_int_div_zero 0
	.end_amdhsa_kernel
	.section	.text._ZL33flash_attn_stream_k_fixup_generalILi112ELi64ELi1EEvPfPK15HIP_vector_typeIfLj2EEiiiiS1_IjLj3EES5_S5_S5_,"axG",@progbits,_ZL33flash_attn_stream_k_fixup_generalILi112ELi64ELi1EEvPfPK15HIP_vector_typeIfLj2EEiiiiS1_IjLj3EES5_S5_S5_,comdat
.Lfunc_end55:
	.size	_ZL33flash_attn_stream_k_fixup_generalILi112ELi64ELi1EEvPfPK15HIP_vector_typeIfLj2EEiiiiS1_IjLj3EES5_S5_S5_, .Lfunc_end55-_ZL33flash_attn_stream_k_fixup_generalILi112ELi64ELi1EEvPfPK15HIP_vector_typeIfLj2EEiiiiS1_IjLj3EES5_S5_S5_
                                        ; -- End function
	.set _ZL33flash_attn_stream_k_fixup_generalILi112ELi64ELi1EEvPfPK15HIP_vector_typeIfLj2EEiiiiS1_IjLj3EES5_S5_S5_.num_vgpr, 18
	.set _ZL33flash_attn_stream_k_fixup_generalILi112ELi64ELi1EEvPfPK15HIP_vector_typeIfLj2EEiiiiS1_IjLj3EES5_S5_S5_.num_agpr, 0
	.set _ZL33flash_attn_stream_k_fixup_generalILi112ELi64ELi1EEvPfPK15HIP_vector_typeIfLj2EEiiiiS1_IjLj3EES5_S5_S5_.numbered_sgpr, 36
	.set _ZL33flash_attn_stream_k_fixup_generalILi112ELi64ELi1EEvPfPK15HIP_vector_typeIfLj2EEiiiiS1_IjLj3EES5_S5_S5_.num_named_barrier, 0
	.set _ZL33flash_attn_stream_k_fixup_generalILi112ELi64ELi1EEvPfPK15HIP_vector_typeIfLj2EEiiiiS1_IjLj3EES5_S5_S5_.private_seg_size, 0
	.set _ZL33flash_attn_stream_k_fixup_generalILi112ELi64ELi1EEvPfPK15HIP_vector_typeIfLj2EEiiiiS1_IjLj3EES5_S5_S5_.uses_vcc, 1
	.set _ZL33flash_attn_stream_k_fixup_generalILi112ELi64ELi1EEvPfPK15HIP_vector_typeIfLj2EEiiiiS1_IjLj3EES5_S5_S5_.uses_flat_scratch, 0
	.set _ZL33flash_attn_stream_k_fixup_generalILi112ELi64ELi1EEvPfPK15HIP_vector_typeIfLj2EEiiiiS1_IjLj3EES5_S5_S5_.has_dyn_sized_stack, 0
	.set _ZL33flash_attn_stream_k_fixup_generalILi112ELi64ELi1EEvPfPK15HIP_vector_typeIfLj2EEiiiiS1_IjLj3EES5_S5_S5_.has_recursion, 0
	.set _ZL33flash_attn_stream_k_fixup_generalILi112ELi64ELi1EEvPfPK15HIP_vector_typeIfLj2EEiiiiS1_IjLj3EES5_S5_S5_.has_indirect_call, 0
	.section	.AMDGPU.csdata,"",@progbits
; Kernel info:
; codeLenInByte = 2936
; TotalNumSgprs: 42
; NumVgprs: 18
; NumAgprs: 0
; TotalNumVgprs: 18
; ScratchSize: 0
; MemoryBound: 0
; FloatMode: 240
; IeeeMode: 1
; LDSByteSize: 0 bytes/workgroup (compile time only)
; SGPRBlocks: 5
; VGPRBlocks: 2
; NumSGPRsForWavesPerEU: 42
; NumVGPRsForWavesPerEU: 18
; AccumOffset: 20
; Occupancy: 8
; WaveLimiterHint : 0
; COMPUTE_PGM_RSRC2:SCRATCH_EN: 0
; COMPUTE_PGM_RSRC2:USER_SGPR: 2
; COMPUTE_PGM_RSRC2:TRAP_HANDLER: 0
; COMPUTE_PGM_RSRC2:TGID_X_EN: 1
; COMPUTE_PGM_RSRC2:TGID_Y_EN: 1
; COMPUTE_PGM_RSRC2:TGID_Z_EN: 1
; COMPUTE_PGM_RSRC2:TIDIG_COMP_CNT: 0
; COMPUTE_PGM_RSRC3_GFX90A:ACCUM_OFFSET: 4
; COMPUTE_PGM_RSRC3_GFX90A:TG_SPLIT: 0
	.section	.text._ZL15flash_attn_tileILi112ELi112ELi32ELi1ELb0EEvPKcS1_S1_S1_S1_PKiPfP15HIP_vector_typeIfLj2EEffffjfiS5_IjLj3EEiiiiiiiiiiiliiliiiiil,"axG",@progbits,_ZL15flash_attn_tileILi112ELi112ELi32ELi1ELb0EEvPKcS1_S1_S1_S1_PKiPfP15HIP_vector_typeIfLj2EEffffjfiS5_IjLj3EEiiiiiiiiiiiliiliiiiil,comdat
	.globl	_ZL15flash_attn_tileILi112ELi112ELi32ELi1ELb0EEvPKcS1_S1_S1_S1_PKiPfP15HIP_vector_typeIfLj2EEffffjfiS5_IjLj3EEiiiiiiiiiiiliiliiiiil ; -- Begin function _ZL15flash_attn_tileILi112ELi112ELi32ELi1ELb0EEvPKcS1_S1_S1_S1_PKiPfP15HIP_vector_typeIfLj2EEffffjfiS5_IjLj3EEiiiiiiiiiiiliiliiiiil
	.p2align	8
	.type	_ZL15flash_attn_tileILi112ELi112ELi32ELi1ELb0EEvPKcS1_S1_S1_S1_PKiPfP15HIP_vector_typeIfLj2EEffffjfiS5_IjLj3EEiiiiiiiiiiiliiliiiiil,@function
_ZL15flash_attn_tileILi112ELi112ELi32ELi1ELb0EEvPKcS1_S1_S1_S1_PKiPfP15HIP_vector_typeIfLj2EEffffjfiS5_IjLj3EEiiiiiiiiiiiliiliiiiil: ; @_ZL15flash_attn_tileILi112ELi112ELi32ELi1ELb0EEvPKcS1_S1_S1_S1_PKiPfP15HIP_vector_typeIfLj2EEffffjfiS5_IjLj3EEiiiiiiiiiiiliiliiiiil
; %bb.0:
	s_load_dwordx4 s[52:55], s[0:1], 0x5c
	s_load_dwordx2 s[58:59], s[0:1], 0x80
	s_load_dwordx16 s[36:51], s[0:1], 0x0
	s_load_dwordx2 s[12:13], s[0:1], 0xb8
	s_mov_b64 s[56:57], 0
	s_waitcnt lgkmcnt(0)
	v_cvt_f32_u32_e32 v1, s55
	s_sub_i32 s5, 0, s55
	v_rcp_iflag_f32_e32 v1, v1
	s_nop 0
	v_mul_f32_e32 v1, 0x4f7ffffe, v1
	v_cvt_u32_f32_e32 v1, v1
	s_nop 0
	v_readfirstlane_b32 s6, v1
	s_mul_i32 s5, s5, s6
	s_mul_hi_u32 s5, s6, s5
	s_add_i32 s6, s6, s5
	s_mul_hi_u32 s5, s4, s6
	s_mul_i32 s6, s5, s55
	s_sub_i32 s6, s4, s6
	s_add_i32 s7, s5, 1
	s_sub_i32 s8, s6, s55
	s_cmp_ge_u32 s6, s55
	s_cselect_b32 s5, s7, s5
	s_cselect_b32 s6, s8, s6
	s_add_i32 s7, s5, 1
	s_cmp_ge_u32 s6, s55
	s_cselect_b32 s33, s7, s5
	s_abs_i32 s5, s59
	v_cvt_f32_u32_e32 v1, s5
	s_sub_i32 s8, 0, s5
	s_abs_i32 s7, s55
	s_xor_b32 s6, s55, s59
	v_rcp_iflag_f32_e32 v1, v1
	s_ashr_i32 s6, s6, 31
	s_cmp_eq_u64 s[42:43], 0
	v_mul_f32_e32 v1, 0x4f7ffffe, v1
	v_cvt_u32_f32_e32 v1, v1
	v_mul_lo_u32 v2, s8, v1
	v_mul_hi_u32 v2, v1, v2
	v_add_u32_e32 v1, v1, v2
	v_mul_hi_u32 v1, s7, v1
	v_mul_lo_u32 v2, v1, s5
	v_sub_u32_e32 v2, s7, v2
	v_add_u32_e32 v3, 1, v1
	v_subrev_u32_e32 v4, s5, v2
	v_cmp_le_u32_e32 vcc, s5, v2
	s_nop 1
	v_cndmask_b32_e32 v1, v1, v3, vcc
	v_cndmask_b32_e32 v2, v2, v4, vcc
	v_add_u32_e32 v3, 1, v1
	v_cmp_le_u32_e32 vcc, s5, v2
	s_mul_i32 s5, s33, s55
	s_nop 0
	v_cndmask_b32_e32 v1, v1, v3, vcc
	v_xor_b32_e32 v1, s6, v1
	v_subrev_u32_e32 v3, s6, v1
	v_sub_u32_e32 v1, 0, v3
	v_max_i32_e32 v2, v3, v1
	v_cvt_f32_u32_e32 v1, v2
	v_rcp_iflag_f32_e32 v1, v1
	s_nop 0
	v_mul_f32_e32 v1, 0x4f7ffffe, v1
	s_cbranch_scc1 .LBB56_2
; %bb.1:
	s_abs_i32 s8, s12
	v_cvt_f32_u32_e32 v4, s8
	s_sub_i32 s11, 0, s8
	s_abs_i32 s10, s33
	s_ashr_i32 s9, s33, 31
	v_rcp_iflag_f32_e32 v4, v4
	s_load_dwordx2 s[6:7], s[0:1], 0xc8
	v_mul_f32_e32 v4, 0x4f7ffffe, v4
	v_cvt_u32_f32_e32 v4, v4
	s_nop 0
	v_readfirstlane_b32 s12, v4
	s_mul_i32 s11, s11, s12
	s_mul_hi_u32 s11, s12, s11
	s_add_i32 s12, s12, s11
	s_mul_hi_u32 s11, s10, s12
	s_mul_i32 s11, s11, s8
	s_sub_i32 s10, s10, s11
	s_sub_i32 s11, s10, s8
	s_cmp_ge_u32 s10, s8
	s_cselect_b32 s10, s11, s10
	s_sub_i32 s11, s10, s8
	s_cmp_ge_u32 s10, s8
	s_cselect_b32 s8, s11, s10
	s_xor_b32 s8, s8, s9
	s_sub_i32 s8, s8, s9
	s_ashr_i32 s9, s8, 31
	s_waitcnt lgkmcnt(0)
	s_mul_hi_u32 s10, s6, s8
	s_mul_i32 s9, s6, s9
	s_mul_i32 s7, s7, s8
	s_add_i32 s9, s10, s9
	s_add_i32 s9, s9, s7
	s_mul_i32 s6, s6, s8
	s_add_u32 s56, s42, s6
	s_addc_u32 s57, s43, s9
.LBB56_2:
	s_load_dwordx4 s[8:11], s[0:1], 0x40
	s_sub_i32 s34, s4, s5
	s_load_dword s4, s[0:1], 0x50
	v_cvt_u32_f32_e32 v4, v1
	v_sub_u32_e32 v1, 0, v2
	s_waitcnt lgkmcnt(0)
	v_cmp_le_f32_e64 s[6:7], s9, 0
	s_and_b64 vcc, exec, s[6:7]
	v_mov_b32_e32 v75, 1.0
	s_cbranch_vccnz .LBB56_4
; %bb.3:
	v_mov_b32_e32 v5, s4
	v_sub_co_u32_e32 v5, vcc, s34, v5
	v_mov_b32_e32 v6, s11
	v_mov_b32_e32 v7, s10
	s_add_i32 s4, s34, 1
	v_lshlrev_b32_e32 v5, 1, v5
	v_cndmask_b32_e32 v6, v6, v7, vcc
	v_or_b32_e32 v5, 1, v5
	v_mov_b32_e32 v7, s4
	v_cndmask_b32_e32 v5, v5, v7, vcc
	v_cvt_f32_i32_e32 v5, v5
	v_cmp_neq_f32_e32 vcc, 1.0, v6
	s_mov_b32 s4, 0x3f2aaaab
	s_movk_i32 s6, 0x204
	v_cndmask_b32_e32 v5, 1.0, v5, vcc
	v_cmp_neq_f32_e32 vcc, 0, v5
	s_mov_b32 s5, 0x42b17218
	s_mov_b32 s7, 0x3fb8aa3b
	v_cndmask_b32_e32 v22, 1.0, v6, vcc
	v_frexp_mant_f32_e64 v6, |v22|
	v_cmp_gt_f32_e32 vcc, s4, v6
	s_mov_b32 s4, 0x3f317218
	s_brev_b32 s9, -2
	v_cndmask_b32_e64 v7, 1.0, 2.0, vcc
	v_mul_f32_e32 v6, v6, v7
	v_add_f32_e32 v9, 1.0, v6
	v_rcp_f32_e32 v14, v9
	v_add_f32_e32 v7, -1.0, v9
	v_sub_f32_e32 v11, v6, v7
	v_add_f32_e32 v7, -1.0, v6
	v_mul_f32_e32 v15, v7, v14
	v_mul_f32_e32 v8, v9, v15
	v_fma_f32 v10, v15, v9, -v8
	v_fmac_f32_e32 v10, v15, v11
	v_add_f32_e32 v6, v8, v10
	v_sub_f32_e32 v9, v7, v6
	v_pk_add_f32 v[12:13], v[6:7], v[8:9] neg_lo:[0,1] neg_hi:[0,1]
	v_mov_b32_e32 v11, v6
	v_pk_add_f32 v[6:7], v[12:13], v[10:11] neg_lo:[0,1] neg_hi:[0,1]
	v_mov_b32_e32 v10, 0x3e91f4c4
	v_add_f32_e32 v6, v6, v7
	v_add_f32_e32 v6, v9, v6
	v_mul_f32_e32 v7, v14, v6
	v_add_f32_e32 v6, v15, v7
	v_sub_f32_e32 v8, v6, v15
	v_sub_f32_e32 v16, v7, v8
	v_mul_f32_e32 v7, v6, v6
	v_fma_f32 v9, v6, v6, -v7
	v_add_f32_e32 v8, v16, v16
	v_fmac_f32_e32 v9, v6, v8
	v_add_f32_e32 v8, v7, v9
	v_fmac_f32_e32 v10, 0x3e76c4e1, v8
	v_fmaak_f32 v10, v8, v10, 0x3ecccdef
	v_sub_f32_e32 v7, v8, v7
	v_sub_f32_e32 v17, v9, v7
	v_mul_f32_e32 v7, v8, v10
	v_fma_f32 v9, v8, v10, -v7
	v_fmac_f32_e32 v9, v17, v10
	v_add_f32_e32 v10, v7, v9
	v_add_f32_e32 v11, 0x3f2aaaaa, v10
	v_sub_f32_e32 v7, v10, v7
	v_sub_f32_e32 v7, v9, v7
	v_add_f32_e32 v9, 0xbf2aaaaa, v11
	v_add_f32_e32 v7, 0x31739010, v7
	v_sub_f32_e32 v9, v10, v9
	v_pk_mul_f32 v[12:13], v[6:7], v[8:9]
	v_pk_add_f32 v[14:15], v[6:7], v[8:9]
	v_fma_f32 v10, v8, v6, -v12
	v_fmac_f32_e32 v10, v8, v16
	v_mov_b32_e32 v13, v15
	v_fmac_f32_e32 v10, v17, v6
	v_pk_add_f32 v[8:9], v[12:13], v[10:11]
	v_ldexp_f32 v18, v16, 1
	v_sub_f32_e32 v7, v8, v12
	v_sub_f32_e32 v7, v10, v7
	;; [unrolled: 1-line block ×3, first 2 shown]
	v_add_f32_e32 v13, v15, v10
	v_pk_mul_f32 v[10:11], v[8:9], v[8:9] op_sel:[0,1] op_sel_hi:[1,0]
	v_cvt_f64_f32_e64 v[14:15], |v22|
	v_frexp_exp_i32_f64_e32 v11, v[14:15]
	v_subbrev_co_u32_e32 v11, vcc, 0, v11, vcc
	v_cvt_f32_i32_e32 v11, v11
	v_fma_f32 v12, v8, v9, -v10
	v_fmac_f32_e32 v12, v8, v13
	v_fmac_f32_e32 v12, v7, v9
	v_mul_f32_e32 v8, 0x3f317218, v11
	v_fma_f32 v7, v11, s4, -v8
	v_fmamk_f32 v14, v11, 0xb102e308, v7
	v_ldexp_f32 v15, v6, 1
	v_add_f32_e32 v9, v10, v12
	v_pk_add_f32 v[6:7], v[8:9], v[14:15]
	v_mov_b32_e32 v16, v9
	v_mov_b32_e32 v17, v7
	;; [unrolled: 1-line block ×3, first 2 shown]
	v_pk_add_f32 v[10:11], v[16:17], v[10:11] neg_lo:[0,1] neg_hi:[0,1]
	v_mov_b32_e32 v13, v9
	v_pk_add_f32 v[10:11], v[12:13], v[10:11] neg_lo:[0,1] neg_hi:[0,1]
	v_mov_b32_e32 v15, v6
	v_add_f32_e32 v9, v18, v10
	v_add_f32_e32 v9, v9, v11
	v_pk_add_f32 v[10:11], v[6:7], v[8:9] neg_lo:[0,1] neg_hi:[0,1]
	v_pk_add_f32 v[12:13], v[6:7], v[8:9]
	v_mov_b32_e32 v20, v7
	v_mov_b32_e32 v11, v13
	v_pk_add_f32 v[16:17], v[14:15], v[10:11] neg_lo:[0,1] neg_hi:[0,1]
	v_pk_add_f32 v[10:11], v[14:15], v[10:11]
	v_mov_b32_e32 v8, v9
	v_pk_add_f32 v[14:15], v[10:11], v[6:7] op_sel:[1,0] op_sel_hi:[0,1] neg_lo:[0,1] neg_hi:[0,1]
	v_pk_add_f32 v[18:19], v[12:13], v[14:15] op_sel_hi:[1,0] neg_lo:[0,1] neg_hi:[0,1]
	v_mov_b32_e32 v12, v13
	v_mov_b32_e32 v13, v11
	;; [unrolled: 1-line block ×3, first 2 shown]
	v_pk_add_f32 v[12:13], v[12:13], v[20:21] neg_lo:[0,1] neg_hi:[0,1]
	v_mov_b32_e32 v9, v6
	v_pk_add_f32 v[6:7], v[8:9], v[12:13] neg_lo:[0,1] neg_hi:[0,1]
	v_mov_b32_e32 v18, v16
	v_pk_add_f32 v[8:9], v[18:19], v[6:7]
	v_mov_b32_e32 v17, v11
	v_pk_add_f32 v[12:13], v[8:9], v[8:9] op_sel:[0,1] op_sel_hi:[1,0]
	s_mov_b32 s4, 0x7f800000
	v_pk_add_f32 v[10:11], v[10:11], v[12:13] op_sel:[1,0] op_sel_hi:[0,1]
	v_mov_b32_e32 v9, v10
	v_pk_add_f32 v[14:15], v[8:9], v[16:17] neg_lo:[0,1] neg_hi:[0,1]
	v_mov_b32_e32 v7, v12
	v_sub_f32_e32 v8, v8, v14
	v_pk_add_f32 v[6:7], v[6:7], v[14:15] neg_lo:[0,1] neg_hi:[0,1]
	v_sub_f32_e32 v8, v16, v8
	v_add_f32_e32 v6, v6, v8
	v_add_f32_e32 v6, v6, v7
	;; [unrolled: 1-line block ×3, first 2 shown]
	v_sub_f32_e32 v8, v7, v10
	v_sub_f32_e32 v6, v6, v8
	v_mul_f32_e32 v8, v5, v7
	v_fma_f32 v7, v5, v7, -v8
	v_fmac_f32_e32 v7, v5, v6
	v_add_f32_e32 v6, v8, v7
	v_cmp_class_f32_e64 vcc, v8, s6
	v_sub_f32_e32 v9, v6, v8
	v_sub_f32_e32 v7, v7, v9
	v_cndmask_b32_e32 v6, v6, v8, vcc
	v_mov_b32_e32 v8, 0x37000000
	v_cmp_eq_f32_e32 vcc, s5, v6
	v_cmp_class_f32_e64 s[10:11], v22, s6
	s_nop 0
	v_cndmask_b32_e32 v8, 0, v8, vcc
	v_sub_f32_e32 v9, v6, v8
	v_mul_f32_e32 v10, 0x3fb8aa3b, v9
	v_fma_f32 v11, v9, s7, -v10
	v_rndne_f32_e32 v12, v10
	v_fmamk_f32 v11, v9, 0x32a5705f, v11
	v_sub_f32_e32 v10, v10, v12
	v_add_f32_e32 v10, v10, v11
	v_exp_f32_e32 v10, v10
	v_cvt_i32_f32_e32 v11, v12
	v_cmp_neq_f32_e64 vcc, |v6|, s4
	s_mov_b32 s4, 0xc2ce8ed0
	s_nop 0
	v_cndmask_b32_e32 v6, 0, v7, vcc
	v_ldexp_f32 v7, v10, v11
	v_cmp_ngt_f32_e32 vcc, s4, v9
	v_add_f32_e32 v6, v8, v6
	v_mov_b32_e32 v8, 0x7f800000
	v_cndmask_b32_e32 v7, 0, v7, vcc
	v_cmp_nlt_f32_e32 vcc, s5, v9
	v_mov_b32_e32 v9, 0x7fc00000
	s_nop 0
	v_cndmask_b32_e32 v7, v8, v7, vcc
	v_fma_f32 v6, v7, v6, v7
	v_cmp_class_f32_e64 vcc, v7, s6
	v_cmp_gt_f32_e64 s[6:7], 0, v5
	s_nop 0
	v_cndmask_b32_e32 v6, v6, v7, vcc
	v_trunc_f32_e32 v7, v5
	v_cmp_eq_f32_e32 vcc, v7, v5
	v_mul_f32_e32 v7, 0.5, v5
	v_trunc_f32_e32 v10, v7
	v_cmp_neq_f32_e64 s[4:5], v10, v7
	s_and_b64 s[4:5], vcc, s[4:5]
	s_nop 0
	v_cndmask_b32_e64 v7, 1.0, v22, s[4:5]
	v_bfi_b32 v6, s9, v6, v7
	v_cndmask_b32_e32 v7, v9, v6, vcc
	v_cmp_gt_f32_e32 vcc, 0, v22
	s_nop 1
	v_cndmask_b32_e32 v6, v6, v7, vcc
	v_cmp_eq_f32_e32 vcc, 0, v22
	s_xor_b64 s[6:7], s[6:7], vcc
	v_cndmask_b32_e64 v5, v8, 0, s[6:7]
	v_cndmask_b32_e64 v7, 0, v22, s[4:5]
	v_bfi_b32 v5, s9, v5, v7
	s_or_b64 vcc, vcc, s[10:11]
	v_cndmask_b32_e32 v5, v6, v5, vcc
	v_cmp_o_f32_e32 vcc, v22, v22
	s_nop 1
	v_cndmask_b32_e32 v75, v9, v5, vcc
.LBB56_4:
	s_load_dwordx4 s[4:7], s[0:1], 0x70
	s_lshl_b32 s42, s2, 5
	v_bfe_u32 v73, v0, 10, 10
	v_and_b32_e32 v109, 0x3ff, v0
	v_mul_lo_u32 v5, v1, v4
	s_waitcnt lgkmcnt(0)
	s_mul_i32 s6, s33, s6
	s_ashr_i32 s7, s6, 31
	s_mul_i32 s5, s34, s5
	s_add_u32 s6, s36, s6
	s_addc_u32 s7, s37, s7
	s_ashr_i32 s9, s5, 31
	s_add_u32 s6, s6, s5
	s_addc_u32 s7, s7, s9
	v_lshlrev_b32_e32 v111, 2, v73
	s_ashr_i32 s5, s4, 31
	v_lshlrev_b32_e32 v0, 4, v109
	v_mov_b32_e32 v1, 0
	v_cmp_gt_u32_e64 s[30:31], 28, v109
	s_lshr_b64 s[4:5], s[4:5], 2
	v_lshl_add_u64 v[0:1], s[6:7], 0, v[0:1]
	v_lshlrev_b32_e32 v114, 3, v109
	v_add_u32_e32 v113, s42, v111
	s_and_saveexec_b64 s[6:7], s[30:31]
	s_cbranch_execz .LBB56_6
; %bb.5:
	v_mul_hi_u32 v6, v113, s52
	v_add_u32_e32 v6, v113, v6
	v_lshrrev_b32_e32 v6, s53, v6
	v_mul_lo_u32 v6, v6, s54
	v_sub_u32_e32 v9, v113, v6
	v_mad_u64_u32 v[6:7], s[10:11], s4, v9, 0
	v_mov_b32_e32 v8, v7
	v_mad_u64_u32 v[8:9], s[10:11], s5, v9, v[8:9]
	v_mov_b32_e32 v7, v8
	v_lshl_add_u64 v[6:7], v[6:7], 2, v[0:1]
	global_load_dwordx4 v[6:9], v[6:7], off
	s_movk_i32 s9, 0x380
	v_mad_u32_u24 v10, v73, s9, v114
	s_waitcnt vmcnt(0)
	v_fma_mixlo_f16 v11, s8, v6, 0
	v_mov_b32_e32 v6, v9
	v_pk_mul_f32 v[6:7], s[8:9], v[6:7] op_sel_hi:[0,1]
	v_cvt_pk_f16_f32 v6, v6, v7
	v_fma_mixlo_f16 v8, s8, v8, 0
	v_and_b32_e32 v9, 0xffff, v11
	v_lshlrev_b32_e32 v7, 16, v6
	v_and_b32_e32 v6, 0xffff0000, v6
	v_and_b32_e32 v8, 0xffff, v8
	v_or_b32_e32 v6, v6, v9
	v_or3_b32 v7, v7, v8, 0
	v_or3_b32 v6, 0, 0, v6
	ds_write_b64 v10, v[6:7]
.LBB56_6:
	s_or_b64 exec, exec, s[6:7]
	v_or_b32_e32 v110, 1, v111
	v_mul_hi_u32 v5, v4, v5
	v_add_u32_e32 v112, s42, v110
	s_and_saveexec_b64 s[6:7], s[30:31]
	s_cbranch_execz .LBB56_8
; %bb.7:
	v_mul_hi_u32 v6, v112, s52
	v_add_u32_e32 v6, v112, v6
	v_lshrrev_b32_e32 v6, s53, v6
	v_mul_lo_u32 v6, v6, s54
	v_sub_u32_e32 v9, v112, v6
	v_mad_u64_u32 v[6:7], s[10:11], s4, v9, 0
	v_mov_b32_e32 v8, v7
	v_mad_u64_u32 v[8:9], s[10:11], s5, v9, v[8:9]
	v_mov_b32_e32 v7, v8
	v_lshl_add_u64 v[6:7], v[6:7], 2, v[0:1]
	global_load_dwordx4 v[6:9], v[6:7], off
	s_movk_i32 s9, 0xe0
	v_mad_u32_u24 v10, v110, s9, v114
	s_waitcnt vmcnt(0)
	v_fma_mixlo_f16 v11, s8, v6, 0
	v_mov_b32_e32 v6, v9
	v_pk_mul_f32 v[6:7], s[8:9], v[6:7] op_sel_hi:[0,1]
	v_cvt_pk_f16_f32 v6, v6, v7
	v_fma_mixlo_f16 v8, s8, v8, 0
	v_and_b32_e32 v9, 0xffff, v11
	v_lshlrev_b32_e32 v7, 16, v6
	v_and_b32_e32 v6, 0xffff0000, v6
	v_and_b32_e32 v8, 0xffff, v8
	v_or_b32_e32 v6, v6, v9
	v_or3_b32 v7, v7, v8, 0
	v_or3_b32 v6, 0, 0, v6
	ds_write_b64 v10, v[6:7]
.LBB56_8:
	s_or_b64 exec, exec, s[6:7]
	s_abs_i32 s9, s34
	v_add_u32_e32 v4, v4, v5
	v_or_b32_e32 v108, 2, v111
	s_and_saveexec_b64 s[6:7], s[30:31]
	s_cbranch_execz .LBB56_10
; %bb.9:
	v_add_u32_e32 v5, s42, v108
	v_mul_hi_u32 v6, v5, s52
	v_add_u32_e32 v6, v5, v6
	v_lshrrev_b32_e32 v6, s53, v6
	v_mul_lo_u32 v6, v6, s54
	v_sub_u32_e32 v5, v5, v6
	v_mad_u64_u32 v[6:7], s[10:11], s4, v5, 0
	v_mov_b32_e32 v8, v7
	v_mad_u64_u32 v[8:9], s[10:11], s5, v5, v[8:9]
	v_mov_b32_e32 v7, v8
	v_lshl_add_u64 v[6:7], v[6:7], 2, v[0:1]
	global_load_dwordx4 v[6:9], v[6:7], off
	s_movk_i32 s10, 0xe0
	v_mad_u32_u24 v5, v108, s10, v114
	s_waitcnt vmcnt(0)
	v_fma_mixlo_f16 v10, s8, v6, 0
	v_mov_b32_e32 v6, v9
	v_pk_mul_f32 v[6:7], s[8:9], v[6:7] op_sel_hi:[0,1]
	v_cvt_pk_f16_f32 v6, v6, v7
	v_fma_mixlo_f16 v8, s8, v8, 0
	v_and_b32_e32 v9, 0xffff, v10
	v_lshlrev_b32_e32 v7, 16, v6
	v_and_b32_e32 v6, 0xffff0000, v6
	v_and_b32_e32 v8, 0xffff, v8
	v_or_b32_e32 v6, v6, v9
	v_or3_b32 v7, v7, v8, 0
	v_or3_b32 v6, 0, 0, v6
	ds_write_b64 v5, v[6:7]
.LBB56_10:
	s_or_b64 exec, exec, s[6:7]
	v_mul_hi_u32 v4, s9, v4
	v_or_b32_e32 v77, 3, v111
	s_and_saveexec_b64 s[6:7], s[30:31]
	s_cbranch_execz .LBB56_12
; %bb.11:
	v_add_u32_e32 v5, s42, v77
	v_mul_hi_u32 v6, v5, s52
	v_add_u32_e32 v6, v5, v6
	v_lshrrev_b32_e32 v6, s53, v6
	v_mul_lo_u32 v6, v6, s54
	v_sub_u32_e32 v5, v5, v6
	v_mad_u64_u32 v[6:7], s[10:11], s4, v5, 0
	v_mov_b32_e32 v8, v7
	v_mad_u64_u32 v[8:9], s[4:5], s5, v5, v[8:9]
	v_mov_b32_e32 v7, v8
	v_lshl_add_u64 v[0:1], v[6:7], 2, v[0:1]
	global_load_dwordx4 v[6:9], v[0:1], off
	s_movk_i32 s4, 0xe0
	v_mad_u32_u24 v5, v77, s4, v114
	s_waitcnt vmcnt(0)
	v_fma_mixlo_f16 v0, s8, v6, 0
	v_fma_mixlo_f16 v1, s8, v8, 0
	v_mov_b32_e32 v6, v9
	v_and_b32_e32 v8, 0xffff, v0
	v_and_b32_e32 v9, 0xffff, v1
	v_pk_mul_f32 v[0:1], s[8:9], v[6:7] op_sel_hi:[0,1]
	v_cvt_pk_f16_f32 v0, v0, v1
	v_lshlrev_b32_e32 v1, 16, v0
	v_and_b32_e32 v0, 0xffff0000, v0
	v_or_b32_e32 v0, v0, v8
	v_or3_b32 v1, v1, v9, 0
	v_or3_b32 v0, 0, 0, v0
	ds_write_b64 v5, v[0:1]
.LBB56_12:
	s_or_b64 exec, exec, s[6:7]
	s_ashr_i32 s35, s34, 31
	v_ashrrev_i32_e32 v0, 31, v3
	s_cmp_eq_u64 s[46:47], 0
	s_waitcnt lgkmcnt(0)
	s_barrier
	s_cbranch_scc1 .LBB56_14
; %bb.13:
	s_load_dword s4, s[0:1], 0xd0
	s_mov_b32 s5, 0
	s_waitcnt lgkmcnt(0)
	s_mul_i32 s4, s4, s33
	s_add_i32 s4, s4, s2
	s_lshl_b64 s[4:5], s[4:5], 2
	s_add_u32 s4, s46, s4
	s_addc_u32 s5, s47, s5
	s_load_dword s58, s[4:5], 0x0
.LBB56_14:
	s_load_dwordx2 s[10:11], s[0:1], 0x8c
	s_nop 0
	s_load_dwordx4 s[4:7], s[0:1], 0x98
	v_mul_lo_u32 v1, v4, v2
	v_sub_u32_e32 v1, s9, v1
	v_add_u32_e32 v3, 1, v4
	v_sub_u32_e32 v5, v1, v2
	v_cmp_ge_u32_e32 vcc, v1, v2
	s_waitcnt lgkmcnt(0)
	s_ashr_i32 s2, s6, 2
	s_ashr_i32 s6, s33, 31
	v_cndmask_b32_e32 v3, v4, v3, vcc
	v_cndmask_b32_e32 v1, v1, v5, vcc
	v_add_u32_e32 v4, 1, v3
	v_cmp_ge_u32_e32 vcc, v1, v2
	s_load_dwordx2 s[14:15], s[0:1], 0xa8
	s_ashr_i32 s47, s10, 2
	s_mul_hi_u32 s8, s4, s33
	s_mul_i32 s10, s4, s6
	v_xor_b32_e32 v0, s35, v0
	v_cndmask_b32_e32 v1, v3, v4, vcc
	s_add_i32 s8, s8, s10
	s_mul_i32 s5, s5, s33
	v_xor_b32_e32 v1, v1, v0
	s_ashr_i32 s46, s13, 1
	s_add_i32 s8, s8, s5
	s_mul_i32 s4, s4, s33
	v_sub_u32_e32 v2, v1, v0
	s_add_u32 s4, s38, s4
	v_mul_lo_u32 v0, v2, s11
	s_addc_u32 s5, s39, s8
	v_ashrrev_i32_e32 v1, 31, v0
	v_lshl_add_u64 v[82:83], s[4:5], 0, v[0:1]
	s_waitcnt lgkmcnt(0)
	s_mul_hi_u32 s4, s14, s33
	s_mul_i32 s5, s14, s6
	s_add_i32 s4, s4, s5
	s_mul_i32 s5, s15, s33
	s_add_i32 s5, s4, s5
	s_mul_i32 s4, s14, s33
	s_add_u32 s4, s40, s4
	v_mul_lo_u32 v0, v2, s7
	v_lshlrev_b32_e32 v76, 2, v109
	s_addc_u32 s5, s41, s5
	v_ashrrev_i32_e32 v1, 31, v0
	s_lshl_b32 s43, s3, 5
	s_sub_i32 s59, s58, 32
	v_lshl_add_u64 v[78:79], s[4:5], 0, v[0:1]
	s_cmp_ge_i32 s43, s59
	v_lshl_add_u32 v127, v73, 5, v109
	v_lshrrev_b32_e32 v126, 1, v109
	v_lshrrev_b32_e32 v81, 2, v109
	v_lshlrev_b32_e32 v125, 7, v109
	v_and_b32_e32 v74, 4, v76
	v_and_b32_e32 v80, 12, v76
	v_lshrrev_b32_e32 v123, 3, v109
	v_and_b32_e32 v72, 28, v76
	v_mbcnt_lo_u32_b32 v124, -1, 0
	s_cbranch_scc1 .LBB56_50
; %bb.15:
	v_lshl_add_u32 v0, v73, 4, v126
	v_lshlrev_b32_e32 v2, 2, v74
	v_lshl_or_b32 v3, v0, 7, v2
	v_lshl_add_u32 v1, v73, 3, v81
	v_add_u32_e32 v131, 0x1c40, v3
	v_lshlrev_b32_e32 v3, 2, v80
	v_lshl_or_b32 v4, v1, 7, v3
	v_add_u32_e32 v132, 0x1c00, v4
	v_mul_hi_u32 v4, s52, v113
	v_add_u32_e32 v4, v113, v4
	v_lshrrev_b32_e32 v4, s53, v4
	v_mul_lo_u32 v4, v4, s54
	v_sub_u32_e32 v4, v113, v4
	v_mul_lo_u32 v133, v4, s46
	v_or_b32_e32 v4, 1, v113
	v_mul_hi_u32 v5, s52, v4
	v_add_u32_e32 v5, v4, v5
	v_lshrrev_b32_e32 v5, s53, v5
	v_mul_lo_u32 v5, v5, s54
	v_sub_u32_e32 v4, v4, v5
	v_mul_lo_u32 v134, v4, s46
	v_or_b32_e32 v4, 2, v113
	;; [unrolled: 7-line block ×3, first 2 shown]
	v_mul_hi_u32 v5, s52, v4
	v_add_u32_e32 v5, v4, v5
	v_lshrrev_b32_e32 v5, s53, v5
	v_mul_lo_u32 v5, v5, s54
	v_sub_u32_e32 v4, v4, v5
	v_mul_lo_u32 v136, v4, s46
	v_mov_b32_e32 v4, 0x2c40
	v_cmp_gt_u32_e64 s[6:7], 32, v0
	v_mul_lo_u32 v86, s47, v0
	s_cmp_lg_u64 s[56:57], 0
	v_lshl_add_u32 v137, v73, 8, v4
	v_cmp_gt_u32_e64 s[10:11], 16, v0
	v_add_u32_e32 v4, v123, v111
	v_mul_u32_u24_e32 v5, 0xe0, v0
	v_mul_lo_u32 v92, s2, v0
	v_mul_u32_u24_e32 v0, 0xe0, v1
	s_movk_i32 s17, 0x1c80
	v_cmp_gt_u32_e64 s[8:9], 32, v1
	s_movk_i32 s16, 0x1c00
	v_mul_lo_u32 v84, s47, v127
	v_mov_b32_e32 v89, 0
	v_mul_lo_u32 v90, s47, v1
	s_cselect_b64 s[36:37], -1, 0
	v_cmp_gt_u32_e64 s[12:13], 16, v1
	v_or_b32_e32 v2, v5, v2
	v_add3_u32 v139, v0, v3, s17
	v_mul_lo_u32 v94, s2, v1
	v_mul_u32_u24_e32 v0, 0xe0, v4
	v_lshlrev_b32_e32 v1, 2, v72
	v_mul_lo_u32 v96, s2, v4
	s_add_u32 s38, s0, 0xd0
	v_cmp_gt_u32_e64 s[4:5], 32, v127
	v_add_u32_e32 v128, 0x1c00, v125
	v_mul_u32_u24_e32 v129, 0x380, v73
	v_add_u32_e32 v130, 0x1c60, v125
	v_ashrrev_i32_e32 v85, 31, v84
	v_ashrrev_i32_e32 v87, 31, v86
	;; [unrolled: 1-line block ×3, first 2 shown]
	v_cmp_gt_u32_e64 s[14:15], 16, v4
	v_add_u32_e32 v138, 0x1cc0, v2
	v_ashrrev_i32_e32 v93, 31, v92
	v_ashrrev_i32_e32 v95, 31, v94
	v_add3_u32 v140, v0, v1, s16
	v_ashrrev_i32_e32 v97, 31, v96
	s_addc_u32 s39, s1, 0
	v_mov_b32_e32 v10, 0xfeffffff
	s_mov_b32 s60, 0x3fb8aa3b
	s_mov_b32 s61, 0xc2ce8ed0
	;; [unrolled: 1-line block ×4, first 2 shown]
	v_lshlrev_b32_e32 v88, 2, v74
	v_mbcnt_hi_u32_b32 v141, -1, v124
	v_mov_b32_e32 v142, 0x7f800000
	v_mov_b32_e32 v116, v89
	;; [unrolled: 1-line block ×16, first 2 shown]
	v_lshlrev_b32_e32 v98, 2, v80
.LBB56_16:                              ; =>This Inner Loop Header: Depth=1
	s_mul_hi_i32 s17, s43, s47
	s_mul_i32 s16, s43, s47
	s_lshl_b64 s[16:17], s[16:17], 2
	v_lshl_add_u64 v[6:7], v[82:83], 0, s[16:17]
	v_lshl_add_u64 v[8:9], v[84:85], 2, v[6:7]
	s_and_saveexec_b64 s[16:17], s[4:5]
	s_cbranch_execnz .LBB56_42
; %bb.17:                               ;   in Loop: Header=BB56_16 Depth=1
	s_or_b64 exec, exec, s[16:17]
	v_lshl_add_u64 v[4:5], v[86:87], 2, v[6:7]
	s_and_saveexec_b64 s[16:17], s[6:7]
	s_cbranch_execnz .LBB56_43
.LBB56_18:                              ;   in Loop: Header=BB56_16 Depth=1
	s_or_b64 exec, exec, s[16:17]
	v_lshl_add_u64 v[6:7], v[90:91], 2, v[6:7]
	s_and_saveexec_b64 s[16:17], s[8:9]
	s_cbranch_execz .LBB56_20
.LBB56_19:                              ;   in Loop: Header=BB56_16 Depth=1
	v_mov_b32_e32 v99, v89
	v_lshl_add_u64 v[14:15], v[6:7], 0, v[98:99]
	global_load_dwordx4 v[14:17], v[14:15], off
	s_waitcnt vmcnt(0)
	ds_write_b128 v132, v[14:17]
.LBB56_20:                              ;   in Loop: Header=BB56_16 Depth=1
	s_or_b64 exec, exec, s[16:17]
	s_waitcnt lgkmcnt(0)
	s_barrier
	ds_read_b128 v[18:21], v128
	ds_read_b128 v[22:25], v129
	ds_read_b128 v[26:29], v129 offset:224
	ds_read_b128 v[30:33], v129 offset:448
	;; [unrolled: 1-line block ×3, first 2 shown]
	v_mov_b32_e32 v17, 0
	s_waitcnt lgkmcnt(3)
	;;#ASMSTART
	v_dot2_f32_f16 v17, v18, v22, v17
	;;#ASMEND
	v_mov_b32_e32 v16, 0
	;;#ASMSTART
	v_dot2_f32_f16 v17, v19, v23, v17
	;;#ASMEND
	v_mov_b32_e32 v15, 0
	;;#ASMSTART
	v_dot2_f32_f16 v17, v20, v24, v17
	;;#ASMEND
	v_mov_b32_e32 v14, 0
	;;#ASMSTART
	v_dot2_f32_f16 v17, v21, v25, v17
	;;#ASMEND
	s_waitcnt lgkmcnt(2)
	;;#ASMSTART
	v_dot2_f32_f16 v16, v18, v26, v16
	;;#ASMEND
	s_nop 0
	;;#ASMSTART
	v_dot2_f32_f16 v16, v19, v27, v16
	;;#ASMEND
	s_nop 0
	;;#ASMSTART
	v_dot2_f32_f16 v16, v20, v28, v16
	;;#ASMEND
	s_nop 0
	;;#ASMSTART
	v_dot2_f32_f16 v16, v21, v29, v16
	;;#ASMEND
	s_waitcnt lgkmcnt(1)
	;;#ASMSTART
	v_dot2_f32_f16 v15, v18, v30, v15
	;;#ASMEND
	s_nop 0
	;;#ASMSTART
	v_dot2_f32_f16 v15, v19, v31, v15
	;;#ASMEND
	s_nop 0
	;;#ASMSTART
	v_dot2_f32_f16 v15, v20, v32, v15
	;;#ASMEND
	s_nop 0
	;; [unrolled: 16-line block ×3, first 2 shown]
	;;#ASMSTART
	v_dot2_f32_f16 v14, v21, v37, v14
	;;#ASMEND
	ds_read_b128 v[18:21], v128 offset:16
	ds_read_b128 v[22:25], v129 offset:16
	;; [unrolled: 1-line block ×5, first 2 shown]
	s_waitcnt lgkmcnt(3)
	;;#ASMSTART
	v_dot2_f32_f16 v17, v18, v22, v17
	;;#ASMEND
	s_nop 0
	;;#ASMSTART
	v_dot2_f32_f16 v17, v19, v23, v17
	;;#ASMEND
	s_nop 0
	;;#ASMSTART
	v_dot2_f32_f16 v17, v20, v24, v17
	;;#ASMEND
	s_nop 0
	;;#ASMSTART
	v_dot2_f32_f16 v17, v21, v25, v17
	;;#ASMEND
	s_waitcnt lgkmcnt(2)
	;;#ASMSTART
	v_dot2_f32_f16 v16, v18, v26, v16
	;;#ASMEND
	s_nop 0
	;;#ASMSTART
	v_dot2_f32_f16 v16, v19, v27, v16
	;;#ASMEND
	s_nop 0
	;;#ASMSTART
	v_dot2_f32_f16 v16, v20, v28, v16
	;;#ASMEND
	s_nop 0
	;;#ASMSTART
	v_dot2_f32_f16 v16, v21, v29, v16
	;;#ASMEND
	;; [unrolled: 16-line block ×4, first 2 shown]
	ds_read_b128 v[18:21], v128 offset:32
	ds_read_b128 v[22:25], v129 offset:32
	;; [unrolled: 1-line block ×5, first 2 shown]
	s_waitcnt lgkmcnt(3)
	;;#ASMSTART
	v_dot2_f32_f16 v17, v18, v22, v17
	;;#ASMEND
	s_nop 0
	;;#ASMSTART
	v_dot2_f32_f16 v17, v19, v23, v17
	;;#ASMEND
	s_nop 0
	;;#ASMSTART
	v_dot2_f32_f16 v17, v20, v24, v17
	;;#ASMEND
	s_nop 0
	;;#ASMSTART
	v_dot2_f32_f16 v17, v21, v25, v17
	;;#ASMEND
	s_waitcnt lgkmcnt(2)
	;;#ASMSTART
	v_dot2_f32_f16 v16, v18, v26, v16
	;;#ASMEND
	s_nop 0
	;;#ASMSTART
	v_dot2_f32_f16 v16, v19, v27, v16
	;;#ASMEND
	s_nop 0
	;;#ASMSTART
	v_dot2_f32_f16 v16, v20, v28, v16
	;;#ASMEND
	s_nop 0
	;;#ASMSTART
	v_dot2_f32_f16 v16, v21, v29, v16
	;;#ASMEND
	;; [unrolled: 16-line block ×4, first 2 shown]
	ds_read_b128 v[18:21], v128 offset:48
	ds_read_b128 v[22:25], v129 offset:48
	;; [unrolled: 1-line block ×5, first 2 shown]
	s_waitcnt lgkmcnt(3)
	;;#ASMSTART
	v_dot2_f32_f16 v17, v18, v22, v17
	;;#ASMEND
	s_nop 0
	;;#ASMSTART
	v_dot2_f32_f16 v17, v19, v23, v17
	;;#ASMEND
	s_nop 0
	;;#ASMSTART
	v_dot2_f32_f16 v17, v20, v24, v17
	;;#ASMEND
	s_nop 0
	;;#ASMSTART
	v_dot2_f32_f16 v17, v21, v25, v17
	;;#ASMEND
	s_waitcnt lgkmcnt(2)
	;;#ASMSTART
	v_dot2_f32_f16 v16, v18, v26, v16
	;;#ASMEND
	s_nop 0
	;;#ASMSTART
	v_dot2_f32_f16 v16, v19, v27, v16
	;;#ASMEND
	s_nop 0
	;;#ASMSTART
	v_dot2_f32_f16 v16, v20, v28, v16
	;;#ASMEND
	s_nop 0
	;;#ASMSTART
	v_dot2_f32_f16 v16, v21, v29, v16
	;;#ASMEND
	;; [unrolled: 16-line block ×4, first 2 shown]
	ds_read_b128 v[18:21], v128 offset:64
	ds_read_b128 v[22:25], v129 offset:64
	;; [unrolled: 1-line block ×5, first 2 shown]
	s_waitcnt lgkmcnt(3)
	;;#ASMSTART
	v_dot2_f32_f16 v17, v18, v22, v17
	;;#ASMEND
	s_nop 0
	;;#ASMSTART
	v_dot2_f32_f16 v17, v19, v23, v17
	;;#ASMEND
	s_nop 0
	;;#ASMSTART
	v_dot2_f32_f16 v17, v20, v24, v17
	;;#ASMEND
	s_nop 0
	;;#ASMSTART
	v_dot2_f32_f16 v17, v21, v25, v17
	;;#ASMEND
	s_waitcnt lgkmcnt(2)
	;;#ASMSTART
	v_dot2_f32_f16 v16, v18, v26, v16
	;;#ASMEND
	s_nop 0
	;;#ASMSTART
	v_dot2_f32_f16 v16, v19, v27, v16
	;;#ASMEND
	s_nop 0
	;;#ASMSTART
	v_dot2_f32_f16 v16, v20, v28, v16
	;;#ASMEND
	s_nop 0
	;;#ASMSTART
	v_dot2_f32_f16 v16, v21, v29, v16
	;;#ASMEND
	;; [unrolled: 16-line block ×4, first 2 shown]
	ds_read_b128 v[18:21], v128 offset:80
	ds_read_b128 v[22:25], v129 offset:80
	ds_read_b128 v[26:29], v129 offset:304
	ds_read_b128 v[30:33], v129 offset:528
	ds_read_b128 v[34:37], v129 offset:752
	s_waitcnt lgkmcnt(3)
	;;#ASMSTART
	v_dot2_f32_f16 v17, v18, v22, v17
	;;#ASMEND
	s_nop 0
	;;#ASMSTART
	v_dot2_f32_f16 v17, v19, v23, v17
	;;#ASMEND
	s_nop 0
	;;#ASMSTART
	v_dot2_f32_f16 v17, v20, v24, v17
	;;#ASMEND
	s_nop 0
	;;#ASMSTART
	v_dot2_f32_f16 v17, v21, v25, v17
	;;#ASMEND
	s_waitcnt lgkmcnt(2)
	;;#ASMSTART
	v_dot2_f32_f16 v16, v18, v26, v16
	;;#ASMEND
	s_nop 0
	;;#ASMSTART
	v_dot2_f32_f16 v16, v19, v27, v16
	;;#ASMEND
	s_nop 0
	;;#ASMSTART
	v_dot2_f32_f16 v16, v20, v28, v16
	;;#ASMEND
	s_nop 0
	;;#ASMSTART
	v_dot2_f32_f16 v16, v21, v29, v16
	;;#ASMEND
	;; [unrolled: 16-line block ×4, first 2 shown]
	ds_read_b128 v[18:21], v128 offset:96
	ds_read_b128 v[22:25], v129 offset:96
	;; [unrolled: 1-line block ×5, first 2 shown]
	s_waitcnt lgkmcnt(3)
	;;#ASMSTART
	v_dot2_f32_f16 v17, v18, v22, v17
	;;#ASMEND
	s_nop 0
	;;#ASMSTART
	v_dot2_f32_f16 v17, v19, v23, v17
	;;#ASMEND
	s_nop 0
	;;#ASMSTART
	v_dot2_f32_f16 v17, v20, v24, v17
	;;#ASMEND
	s_nop 0
	;;#ASMSTART
	v_dot2_f32_f16 v17, v21, v25, v17
	;;#ASMEND
	s_waitcnt lgkmcnt(2)
	;;#ASMSTART
	v_dot2_f32_f16 v16, v18, v26, v16
	;;#ASMEND
	s_nop 0
	;;#ASMSTART
	v_dot2_f32_f16 v16, v19, v27, v16
	;;#ASMEND
	s_nop 0
	;;#ASMSTART
	v_dot2_f32_f16 v16, v20, v28, v16
	;;#ASMEND
	s_nop 0
	;;#ASMSTART
	v_dot2_f32_f16 v16, v21, v29, v16
	;;#ASMEND
	;; [unrolled: 16-line block ×4, first 2 shown]
	s_barrier
	s_and_saveexec_b64 s[16:17], s[4:5]
	s_cbranch_execnz .LBB56_44
; %bb.21:                               ;   in Loop: Header=BB56_16 Depth=1
	s_or_b64 exec, exec, s[16:17]
	s_and_saveexec_b64 s[16:17], s[6:7]
	s_cbranch_execnz .LBB56_45
.LBB56_22:                              ;   in Loop: Header=BB56_16 Depth=1
	s_or_b64 exec, exec, s[16:17]
	s_and_saveexec_b64 s[16:17], s[8:9]
	s_cbranch_execz .LBB56_24
.LBB56_23:                              ;   in Loop: Header=BB56_16 Depth=1
	v_mov_b32_e32 v99, v89
	v_lshl_add_u64 v[4:5], v[6:7], 0, v[98:99]
	global_load_dwordx4 v[4:7], v[4:5], off offset:112
	s_waitcnt vmcnt(0)
	ds_write_b128 v132, v[4:7]
.LBB56_24:                              ;   in Loop: Header=BB56_16 Depth=1
	s_or_b64 exec, exec, s[16:17]
	s_waitcnt lgkmcnt(0)
	s_barrier
	ds_read_b128 v[4:7], v128
	ds_read_b128 v[18:21], v129 offset:112
	ds_read_b128 v[22:25], v129 offset:336
	;; [unrolled: 1-line block ×4, first 2 shown]
	s_waitcnt lgkmcnt(3)
	;;#ASMSTART
	v_dot2_f32_f16 v17, v4, v18, v17
	;;#ASMEND
	s_nop 0
	;;#ASMSTART
	v_dot2_f32_f16 v17, v5, v19, v17
	;;#ASMEND
	s_andn2_b64 vcc, exec, s[36:37]
	;;#ASMSTART
	v_dot2_f32_f16 v17, v6, v20, v17
	;;#ASMEND
	s_nop 0
	;;#ASMSTART
	v_dot2_f32_f16 v17, v7, v21, v17
	;;#ASMEND
	s_waitcnt lgkmcnt(2)
	;;#ASMSTART
	v_dot2_f32_f16 v16, v4, v22, v16
	;;#ASMEND
	s_nop 0
	;;#ASMSTART
	v_dot2_f32_f16 v16, v5, v23, v16
	;;#ASMEND
	s_nop 0
	;;#ASMSTART
	v_dot2_f32_f16 v16, v6, v24, v16
	;;#ASMEND
	s_nop 0
	;;#ASMSTART
	v_dot2_f32_f16 v16, v7, v25, v16
	;;#ASMEND
	s_waitcnt lgkmcnt(1)
	;;#ASMSTART
	v_dot2_f32_f16 v15, v4, v26, v15
	;;#ASMEND
	s_nop 0
	;;#ASMSTART
	v_dot2_f32_f16 v15, v5, v27, v15
	;;#ASMEND
	s_nop 0
	;; [unrolled: 16-line block ×3, first 2 shown]
	;;#ASMSTART
	v_dot2_f32_f16 v14, v6, v32, v14
	;;#ASMEND
	s_nop 0
	;;#ASMSTART
	v_dot2_f32_f16 v14, v7, v33, v14
	;;#ASMEND
	ds_read_b128 v[4:7], v128 offset:16
	ds_read_b128 v[18:21], v129 offset:128
	ds_read_b128 v[22:25], v129 offset:352
	ds_read_b128 v[26:29], v129 offset:576
	ds_read_b128 v[30:33], v129 offset:800
	s_waitcnt lgkmcnt(3)
	;;#ASMSTART
	v_dot2_f32_f16 v17, v4, v18, v17
	;;#ASMEND
	s_nop 0
	;;#ASMSTART
	v_dot2_f32_f16 v17, v5, v19, v17
	;;#ASMEND
	s_nop 0
	;;#ASMSTART
	v_dot2_f32_f16 v17, v6, v20, v17
	;;#ASMEND
	s_nop 0
	;;#ASMSTART
	v_dot2_f32_f16 v17, v7, v21, v17
	;;#ASMEND
	s_waitcnt lgkmcnt(2)
	;;#ASMSTART
	v_dot2_f32_f16 v16, v4, v22, v16
	;;#ASMEND
	s_nop 0
	;;#ASMSTART
	v_dot2_f32_f16 v16, v5, v23, v16
	;;#ASMEND
	s_nop 0
	;;#ASMSTART
	v_dot2_f32_f16 v16, v6, v24, v16
	;;#ASMEND
	s_nop 0
	;;#ASMSTART
	v_dot2_f32_f16 v16, v7, v25, v16
	;;#ASMEND
	;; [unrolled: 16-line block ×4, first 2 shown]
	ds_read_b128 v[4:7], v128 offset:32
	ds_read_b128 v[18:21], v129 offset:144
	;; [unrolled: 1-line block ×5, first 2 shown]
	s_waitcnt lgkmcnt(3)
	;;#ASMSTART
	v_dot2_f32_f16 v17, v4, v18, v17
	;;#ASMEND
	s_nop 0
	;;#ASMSTART
	v_dot2_f32_f16 v17, v5, v19, v17
	;;#ASMEND
	s_nop 0
	;;#ASMSTART
	v_dot2_f32_f16 v17, v6, v20, v17
	;;#ASMEND
	s_nop 0
	;;#ASMSTART
	v_dot2_f32_f16 v17, v7, v21, v17
	;;#ASMEND
	s_waitcnt lgkmcnt(2)
	;;#ASMSTART
	v_dot2_f32_f16 v16, v4, v22, v16
	;;#ASMEND
	s_nop 0
	;;#ASMSTART
	v_dot2_f32_f16 v16, v5, v23, v16
	;;#ASMEND
	s_nop 0
	;;#ASMSTART
	v_dot2_f32_f16 v16, v6, v24, v16
	;;#ASMEND
	s_nop 0
	;;#ASMSTART
	v_dot2_f32_f16 v16, v7, v25, v16
	;;#ASMEND
	;; [unrolled: 16-line block ×4, first 2 shown]
	ds_read_b128 v[4:7], v128 offset:48
	ds_read_b128 v[18:21], v129 offset:160
	ds_read_b128 v[22:25], v129 offset:384
	ds_read_b128 v[26:29], v129 offset:608
	ds_read_b128 v[30:33], v129 offset:832
	s_waitcnt lgkmcnt(3)
	;;#ASMSTART
	v_dot2_f32_f16 v17, v4, v18, v17
	;;#ASMEND
	s_nop 0
	;;#ASMSTART
	v_dot2_f32_f16 v17, v5, v19, v17
	;;#ASMEND
	s_nop 0
	;;#ASMSTART
	v_dot2_f32_f16 v17, v6, v20, v17
	;;#ASMEND
	s_nop 0
	;;#ASMSTART
	v_dot2_f32_f16 v17, v7, v21, v17
	;;#ASMEND
	s_waitcnt lgkmcnt(2)
	;;#ASMSTART
	v_dot2_f32_f16 v16, v4, v22, v16
	;;#ASMEND
	s_nop 0
	;;#ASMSTART
	v_dot2_f32_f16 v16, v5, v23, v16
	;;#ASMEND
	s_nop 0
	;;#ASMSTART
	v_dot2_f32_f16 v16, v6, v24, v16
	;;#ASMEND
	s_nop 0
	;;#ASMSTART
	v_dot2_f32_f16 v16, v7, v25, v16
	;;#ASMEND
	;; [unrolled: 16-line block ×4, first 2 shown]
	ds_read_b128 v[4:7], v128 offset:64
	ds_read_b128 v[18:21], v129 offset:176
	;; [unrolled: 1-line block ×5, first 2 shown]
	s_waitcnt lgkmcnt(3)
	;;#ASMSTART
	v_dot2_f32_f16 v17, v4, v18, v17
	;;#ASMEND
	s_nop 0
	;;#ASMSTART
	v_dot2_f32_f16 v17, v5, v19, v17
	;;#ASMEND
	s_nop 0
	;;#ASMSTART
	v_dot2_f32_f16 v17, v6, v20, v17
	;;#ASMEND
	s_nop 0
	;;#ASMSTART
	v_dot2_f32_f16 v17, v7, v21, v17
	;;#ASMEND
	s_waitcnt lgkmcnt(2)
	;;#ASMSTART
	v_dot2_f32_f16 v16, v4, v22, v16
	;;#ASMEND
	s_nop 0
	;;#ASMSTART
	v_dot2_f32_f16 v16, v5, v23, v16
	;;#ASMEND
	s_nop 0
	;;#ASMSTART
	v_dot2_f32_f16 v16, v6, v24, v16
	;;#ASMEND
	s_nop 0
	;;#ASMSTART
	v_dot2_f32_f16 v16, v7, v25, v16
	;;#ASMEND
	;; [unrolled: 16-line block ×4, first 2 shown]
	ds_read_b128 v[4:7], v128 offset:80
	ds_read_b128 v[18:21], v129 offset:192
	;; [unrolled: 1-line block ×5, first 2 shown]
	s_waitcnt lgkmcnt(3)
	;;#ASMSTART
	v_dot2_f32_f16 v17, v4, v18, v17
	;;#ASMEND
	s_nop 0
	;;#ASMSTART
	v_dot2_f32_f16 v17, v5, v19, v17
	;;#ASMEND
	s_nop 0
	;;#ASMSTART
	v_dot2_f32_f16 v17, v6, v20, v17
	;;#ASMEND
	s_nop 0
	;;#ASMSTART
	v_dot2_f32_f16 v17, v7, v21, v17
	;;#ASMEND
	s_waitcnt lgkmcnt(2)
	;;#ASMSTART
	v_dot2_f32_f16 v16, v4, v22, v16
	;;#ASMEND
	s_nop 0
	;;#ASMSTART
	v_dot2_f32_f16 v16, v5, v23, v16
	;;#ASMEND
	s_nop 0
	;;#ASMSTART
	v_dot2_f32_f16 v16, v6, v24, v16
	;;#ASMEND
	s_nop 0
	;;#ASMSTART
	v_dot2_f32_f16 v16, v7, v25, v16
	;;#ASMEND
	;; [unrolled: 16-line block ×4, first 2 shown]
	ds_read_b128 v[4:7], v128 offset:96
	ds_read_b128 v[18:21], v129 offset:208
	;; [unrolled: 1-line block ×5, first 2 shown]
	s_waitcnt lgkmcnt(3)
	;;#ASMSTART
	v_dot2_f32_f16 v17, v4, v18, v17
	;;#ASMEND
	s_nop 0
	;;#ASMSTART
	v_dot2_f32_f16 v17, v5, v19, v17
	;;#ASMEND
	s_nop 0
	;;#ASMSTART
	v_dot2_f32_f16 v17, v6, v20, v17
	;;#ASMEND
	v_mov_b32_e32 v20, 0
	;;#ASMSTART
	v_dot2_f32_f16 v17, v7, v21, v17
	;;#ASMEND
	s_waitcnt lgkmcnt(2)
	;;#ASMSTART
	v_dot2_f32_f16 v16, v4, v22, v16
	;;#ASMEND
	s_nop 0
	;;#ASMSTART
	v_dot2_f32_f16 v16, v5, v23, v16
	;;#ASMEND
	s_nop 0
	;; [unrolled: 4-line block ×3, first 2 shown]
	;;#ASMSTART
	v_dot2_f32_f16 v16, v7, v25, v16
	;;#ASMEND
	s_waitcnt lgkmcnt(1)
	;;#ASMSTART
	v_dot2_f32_f16 v15, v4, v26, v15
	;;#ASMEND
	s_nop 0
	;;#ASMSTART
	v_dot2_f32_f16 v15, v5, v27, v15
	;;#ASMEND
	s_nop 0
	;; [unrolled: 4-line block ×3, first 2 shown]
	;;#ASMSTART
	v_dot2_f32_f16 v15, v7, v29, v15
	;;#ASMEND
	s_waitcnt lgkmcnt(0)
	;;#ASMSTART
	v_dot2_f32_f16 v14, v4, v30, v14
	;;#ASMEND
	v_add_u32_e32 v4, s43, v109
	;;#ASMSTART
	v_dot2_f32_f16 v14, v5, v31, v14
	;;#ASMEND
	v_cndmask_b32_e64 v5, 0, 1, s[36:37]
	;;#ASMSTART
	v_dot2_f32_f16 v14, v6, v32, v14
	;;#ASMEND
	v_cmp_ne_u32_e64 s[16:17], 1, v5
	v_mov_b32_e32 v6, 0
	;;#ASMSTART
	v_dot2_f32_f16 v14, v7, v33, v14
	;;#ASMEND
	s_cbranch_vccnz .LBB56_26
; %bb.25:                               ;   in Loop: Header=BB56_16 Depth=1
	v_add_u32_e32 v6, v4, v133
	v_ashrrev_i32_e32 v7, 31, v6
	v_lshl_add_u64 v[6:7], v[6:7], 1, s[56:57]
	global_load_ushort v5, v[6:7], off
	s_waitcnt vmcnt(0)
	v_cvt_f32_f16_e32 v5, v5
	v_mul_f32_e32 v6, v75, v5
.LBB56_26:                              ;   in Loop: Header=BB56_16 Depth=1
	v_and_b32_e32 v5, 0x60, v141
	v_add_u32_e32 v8, 32, v5
	v_xor_b32_e32 v5, 16, v141
	v_cmp_lt_i32_e32 vcc, v5, v8
	v_add_f32_e32 v7, v17, v6
	v_add_f32_e32 v6, 0x40051340, v7
	v_cndmask_b32_e32 v5, v141, v5, vcc
	v_max_f32_e32 v9, v10, v10
	v_lshlrev_b32_e32 v5, 2, v5
	v_max_f32_e32 v6, v9, v6
	ds_bpermute_b32 v9, v5, v6
	v_xor_b32_e32 v17, 8, v141
	v_cmp_lt_i32_e32 vcc, v17, v8
	v_xor_b32_e32 v21, 1, v141
	s_waitcnt lgkmcnt(0)
	v_max_f32_e32 v9, v9, v9
	v_cndmask_b32_e32 v17, v141, v17, vcc
	v_lshlrev_b32_e32 v17, 2, v17
	v_max_f32_e32 v9, v6, v9
	ds_bpermute_b32 v18, v17, v9
	v_xor_b32_e32 v6, 4, v141
	v_cmp_lt_i32_e32 vcc, v6, v8
	s_waitcnt lgkmcnt(0)
	v_max_f32_e32 v18, v18, v18
	v_cndmask_b32_e32 v6, v141, v6, vcc
	v_lshlrev_b32_e32 v6, 2, v6
	v_max_f32_e32 v18, v9, v18
	ds_bpermute_b32 v19, v6, v18
	v_xor_b32_e32 v9, 2, v141
	v_cmp_lt_i32_e32 vcc, v9, v8
	s_waitcnt lgkmcnt(0)
	v_max_f32_e32 v19, v19, v19
	v_cndmask_b32_e32 v9, v141, v9, vcc
	v_lshlrev_b32_e32 v9, 2, v9
	v_max_f32_e32 v18, v18, v19
	ds_bpermute_b32 v19, v9, v18
	v_cmp_lt_i32_e32 vcc, v21, v8
	s_waitcnt lgkmcnt(0)
	v_max_f32_e32 v19, v19, v19
	v_cndmask_b32_e32 v8, v141, v21, vcc
	v_lshlrev_b32_e32 v8, 2, v8
	v_max_f32_e32 v18, v18, v19
	ds_bpermute_b32 v19, v8, v18
	s_and_b64 vcc, exec, s[16:17]
	s_cbranch_vccnz .LBB56_28
; %bb.27:                               ;   in Loop: Header=BB56_16 Depth=1
	v_add_u32_e32 v20, v4, v134
	v_ashrrev_i32_e32 v21, 31, v20
	v_lshl_add_u64 v[20:21], v[20:21], 1, s[56:57]
	global_load_ushort v20, v[20:21], off
	s_waitcnt vmcnt(0)
	v_cvt_f32_f16_e32 v20, v20
	v_mul_f32_e32 v20, v75, v20
.LBB56_28:                              ;   in Loop: Header=BB56_16 Depth=1
	v_add_f32_e32 v16, v16, v20
	v_add_f32_e32 v20, 0x40051340, v16
	v_max_f32_e32 v21, v13, v13
	v_max_f32_e32 v20, v21, v20
	ds_bpermute_b32 v21, v5, v20
	v_mov_b32_e32 v22, 0
	s_and_b64 vcc, exec, s[16:17]
	v_mov_b32_e32 v23, 0
	s_waitcnt lgkmcnt(0)
	v_max_f32_e32 v21, v21, v21
	v_max_f32_e32 v20, v20, v21
	ds_bpermute_b32 v21, v17, v20
	s_waitcnt lgkmcnt(0)
	v_max_f32_e32 v21, v21, v21
	v_max_f32_e32 v20, v20, v21
	ds_bpermute_b32 v21, v6, v20
	;; [unrolled: 4-line block ×4, first 2 shown]
	s_cbranch_vccnz .LBB56_30
; %bb.29:                               ;   in Loop: Header=BB56_16 Depth=1
	v_add_u32_e32 v24, v4, v135
	v_ashrrev_i32_e32 v25, 31, v24
	v_lshl_add_u64 v[24:25], v[24:25], 1, s[56:57]
	global_load_ushort v23, v[24:25], off
	s_waitcnt vmcnt(0)
	v_cvt_f32_f16_e32 v23, v23
	v_mul_f32_e32 v23, v75, v23
.LBB56_30:                              ;   in Loop: Header=BB56_16 Depth=1
	v_add_f32_e32 v15, v15, v23
	v_add_f32_e32 v23, 0x40051340, v15
	v_max_f32_e32 v24, v12, v12
	v_max_f32_e32 v23, v24, v23
	ds_bpermute_b32 v24, v5, v23
	s_and_b64 vcc, exec, s[16:17]
	s_waitcnt lgkmcnt(0)
	v_max_f32_e32 v24, v24, v24
	v_max_f32_e32 v23, v23, v24
	ds_bpermute_b32 v24, v17, v23
	s_waitcnt lgkmcnt(0)
	v_max_f32_e32 v24, v24, v24
	v_max_f32_e32 v23, v23, v24
	ds_bpermute_b32 v24, v6, v23
	s_waitcnt lgkmcnt(0)
	v_max_f32_e32 v24, v24, v24
	v_max_f32_e32 v23, v23, v24
	ds_bpermute_b32 v24, v9, v23
	s_waitcnt lgkmcnt(0)
	v_max_f32_e32 v24, v24, v24
	v_max_f32_e32 v23, v23, v24
	ds_bpermute_b32 v24, v8, v23
	s_cbranch_vccnz .LBB56_32
; %bb.31:                               ;   in Loop: Header=BB56_16 Depth=1
	v_add_u32_e32 v26, v4, v136
	v_ashrrev_i32_e32 v27, 31, v26
	v_lshl_add_u64 v[26:27], v[26:27], 1, s[56:57]
	global_load_ushort v4, v[26:27], off
	s_waitcnt vmcnt(0)
	v_cvt_f32_f16_e32 v4, v4
	v_mul_f32_e32 v22, v75, v4
.LBB56_32:                              ;   in Loop: Header=BB56_16 Depth=1
	v_add_f32_e32 v14, v14, v22
	v_add_f32_e32 v4, 0x40051340, v14
	v_max_f32_e32 v22, v11, v11
	v_max_f32_e32 v4, v22, v4
	ds_bpermute_b32 v5, v5, v4
	s_waitcnt lgkmcnt(1)
	v_max_f32_e32 v22, v24, v24
	v_max_f32_e32 v19, v19, v19
	v_max_f32_e32 v18, v18, v18
	v_max_f32_e32 v21, v21, v21
	s_waitcnt lgkmcnt(0)
	v_max_f32_e32 v5, v5, v5
	v_max_f32_e32 v4, v4, v5
	ds_bpermute_b32 v5, v17, v4
	v_max_f32_e32 v17, v20, v20
	v_max_f32_e32 v23, v23, v23
	s_mul_hi_i32 s17, s43, s2
	s_mul_i32 s16, s43, s2
	s_waitcnt lgkmcnt(0)
	v_max_f32_e32 v5, v5, v5
	v_max_f32_e32 v20, v4, v5
	ds_bpermute_b32 v24, v6, v20
	v_max_f32_e32 v4, v18, v19
	v_max_f32_e32 v5, v17, v21
	v_sub_f32_e32 v17, v7, v4
	v_mul_f32_e32 v18, 0x3fb8aa3b, v17
	s_waitcnt lgkmcnt(0)
	v_max_f32_e32 v7, v24, v24
	v_max_f32_e32 v7, v20, v7
	ds_bpermute_b32 v9, v9, v7
	v_fma_f32 v19, v17, s60, -v18
	v_rndne_f32_e32 v20, v18
	v_fmac_f32_e32 v19, 0x32a5705f, v17
	v_max_f32_e32 v6, v23, v22
	s_waitcnt lgkmcnt(0)
	v_max_f32_e32 v9, v9, v9
	v_max_f32_e32 v7, v7, v9
	ds_bpermute_b32 v8, v8, v7
	v_sub_f32_e32 v9, v18, v20
	v_add_f32_e32 v9, v9, v19
	v_cvt_i32_f32_e32 v18, v20
	v_exp_f32_e32 v9, v9
	s_waitcnt lgkmcnt(0)
	v_max_f32_e32 v8, v8, v8
	v_max_f32_e32 v7, v7, v8
	v_cmp_ngt_f32_e32 vcc, s61, v17
	v_ldexp_f32 v8, v9, v18
	v_sub_f32_e32 v9, v16, v5
	v_mul_f32_e32 v16, 0x3fb8aa3b, v9
	v_fma_f32 v18, v9, s60, -v16
	v_rndne_f32_e32 v19, v16
	v_fmac_f32_e32 v18, 0x32a5705f, v9
	v_sub_f32_e32 v16, v16, v19
	v_add_f32_e32 v16, v16, v18
	v_exp_f32_e32 v16, v16
	v_cvt_i32_f32_e32 v18, v19
	v_cndmask_b32_e32 v8, 0, v8, vcc
	v_cmp_nlt_f32_e32 vcc, s62, v17
	v_sub_f32_e32 v15, v15, v6
	s_lshl_b64 s[16:17], s[16:17], 2
	v_cndmask_b32_e32 v100, v142, v8, vcc
	v_ldexp_f32 v8, v16, v18
	v_mul_f32_e32 v16, 0x3fb8aa3b, v15
	v_fma_f32 v17, v15, s60, -v16
	v_rndne_f32_e32 v18, v16
	v_fmac_f32_e32 v17, 0x32a5705f, v15
	v_sub_f32_e32 v16, v16, v18
	v_add_f32_e32 v16, v16, v17
	v_exp_f32_e32 v16, v16
	v_cvt_i32_f32_e32 v17, v18
	v_cmp_ngt_f32_e32 vcc, s61, v9
	s_barrier
	s_nop 0
	v_cndmask_b32_e32 v8, 0, v8, vcc
	v_cmp_nlt_f32_e32 vcc, s62, v9
	v_sub_f32_e32 v9, v14, v7
	v_mul_f32_e32 v14, 0x3fb8aa3b, v9
	v_cndmask_b32_e32 v101, v142, v8, vcc
	v_ldexp_f32 v8, v16, v17
	v_fma_f32 v16, v9, s60, -v14
	v_rndne_f32_e32 v17, v14
	v_fmac_f32_e32 v16, 0x32a5705f, v9
	v_sub_f32_e32 v14, v14, v17
	v_add_f32_e32 v14, v14, v16
	v_exp_f32_e32 v14, v14
	v_cvt_i32_f32_e32 v16, v17
	v_cmp_ngt_f32_e32 vcc, s61, v15
	s_nop 1
	v_cndmask_b32_e32 v8, 0, v8, vcc
	v_cmp_nlt_f32_e32 vcc, s62, v15
	s_nop 1
	v_cndmask_b32_e32 v102, v142, v8, vcc
	v_ldexp_f32 v8, v14, v16
	v_cmp_ngt_f32_e32 vcc, s61, v9
	v_add_u32_e32 v14, v137, v114
	s_nop 0
	v_cndmask_b32_e32 v8, 0, v8, vcc
	v_cmp_nlt_f32_e32 vcc, s62, v9
	s_nop 1
	v_cndmask_b32_e32 v103, v142, v8, vcc
	v_cvt_pk_f16_f32 v9, v102, v103
	v_cvt_pk_f16_f32 v8, v100, v101
	ds_write_b64 v14, v[8:9]
	v_lshl_add_u64 v[8:9], v[78:79], 0, s[16:17]
	s_and_saveexec_b64 s[16:17], s[10:11]
	s_cbranch_execnz .LBB56_46
; %bb.33:                               ;   in Loop: Header=BB56_16 Depth=1
	s_or_b64 exec, exec, s[16:17]
	s_and_saveexec_b64 s[16:17], s[12:13]
	s_cbranch_execnz .LBB56_47
.LBB56_34:                              ;   in Loop: Header=BB56_16 Depth=1
	s_or_b64 exec, exec, s[16:17]
	v_lshlrev_b32_e32 v104, 2, v72
	s_and_saveexec_b64 s[16:17], s[14:15]
	s_cbranch_execz .LBB56_36
.LBB56_35:                              ;   in Loop: Header=BB56_16 Depth=1
	v_lshl_add_u64 v[8:9], v[96:97], 2, v[8:9]
	v_mov_b32_e32 v105, v89
	v_lshl_add_u64 v[8:9], v[8:9], 0, v[104:105]
	global_load_dwordx4 v[14:17], v[8:9], off
	s_waitcnt vmcnt(0)
	ds_write_b128 v140, v[14:17]
.LBB56_36:                              ;   in Loop: Header=BB56_16 Depth=1
	s_or_b64 exec, exec, s[16:17]
	v_add_u32_e32 v146, 0x1800, v114
	v_add_u32_e32 v145, 0x1c00, v114
	;; [unrolled: 1-line block ×3, first 2 shown]
	v_sub_f32_e32 v149, v13, v5
	v_sub_f32_e32 v148, v12, v6
	s_waitcnt lgkmcnt(0)
	s_barrier
	ds_read2_b64 v[36:39], v146 offset0:128 offset1:156
	ds_read_b128 v[68:71], v137
	ds_read_b128 v[64:67], v137 offset:16
	ds_read_b128 v[56:59], v137 offset:32
	;; [unrolled: 1-line block ×3, first 2 shown]
	ds_read2_b64 v[32:35], v146 offset0:184 offset1:212
	ds_read2_b64 v[28:31], v145 offset0:112 offset1:140
	;; [unrolled: 1-line block ×5, first 2 shown]
	ds_read_b128 v[60:63], v137 offset:64
	ds_read_b128 v[52:55], v137 offset:80
	ds_read2_b64 v[12:15], v144 offset0:208 offset1:236
	v_add_u32_e32 v143, 0x2800, v114
	v_sub_f32_e32 v150, v10, v4
	v_sub_f32_e32 v147, v11, v7
	ds_read2_b64 v[8:11], v143 offset0:8 offset1:36
	ds_read_b128 v[48:51], v137 offset:96
	ds_read_b128 v[40:43], v137 offset:112
	s_or_b32 s40, s43, 16
	s_mul_hi_i32 s41, s40, s2
	s_mul_i32 s40, s40, s2
	s_lshl_b64 s[40:41], s[40:41], 2
	v_cmp_ngt_f32_e64 s[26:27], s61, v150
	v_cmp_nlt_f32_e64 s[28:29], s62, v150
	v_cmp_ngt_f32_e64 s[22:23], s61, v149
	v_cmp_nlt_f32_e64 s[24:25], s62, v149
	;; [unrolled: 2-line block ×3, first 2 shown]
	v_cmp_ngt_f32_e32 vcc, s61, v147
	v_cmp_nlt_f32_e64 s[16:17], s62, v147
	v_lshl_add_u64 v[106:107], v[78:79], 0, s[40:41]
	s_waitcnt lgkmcnt(0)
	s_barrier
	s_and_saveexec_b64 s[40:41], s[10:11]
	s_cbranch_execnz .LBB56_48
; %bb.37:                               ;   in Loop: Header=BB56_16 Depth=1
	s_or_b64 exec, exec, s[40:41]
	s_and_saveexec_b64 s[40:41], s[12:13]
	s_cbranch_execnz .LBB56_49
.LBB56_38:                              ;   in Loop: Header=BB56_16 Depth=1
	s_or_b64 exec, exec, s[40:41]
	s_and_saveexec_b64 s[40:41], s[14:15]
	s_cbranch_execz .LBB56_40
.LBB56_39:                              ;   in Loop: Header=BB56_16 Depth=1
	v_lshl_add_u64 v[106:107], v[96:97], 2, v[106:107]
	v_mov_b32_e32 v105, v89
	v_lshl_add_u64 v[104:105], v[106:107], 0, v[104:105]
	global_load_dwordx4 v[104:107], v[104:105], off
	s_waitcnt vmcnt(0)
	ds_write_b128 v140, v[104:107]
.LBB56_40:                              ;   in Loop: Header=BB56_16 Depth=1
	s_or_b64 exec, exec, s[40:41]
	v_mul_f32_e32 v99, 0x3fb8aa3b, v150
	v_fma_f32 v104, v150, s60, -v99
	v_rndne_f32_e32 v105, v99
	v_fmac_f32_e32 v104, 0x32a5705f, v150
	v_sub_f32_e32 v99, v99, v105
	v_add_f32_e32 v99, v99, v104
	v_cvt_i32_f32_e32 v104, v105
	v_exp_f32_e32 v99, v99
	v_mul_u32_u24_sdwa v150, v68, s63 dst_sel:DWORD dst_unused:UNUSED_PAD src0_sel:WORD_0 src1_sel:DWORD
	v_mul_u32_u24_sdwa v68, v68, s63 dst_sel:DWORD dst_unused:UNUSED_PAD src0_sel:WORD_1 src1_sel:DWORD
	v_mul_u32_u24_sdwa v151, v69, s63 dst_sel:DWORD dst_unused:UNUSED_PAD src0_sel:WORD_0 src1_sel:DWORD
	v_ldexp_f32 v99, v99, v104
	v_mul_f32_e32 v104, 0x3fb8aa3b, v149
	v_fma_f32 v105, v149, s60, -v104
	v_rndne_f32_e32 v106, v104
	v_fmac_f32_e32 v105, 0x32a5705f, v149
	v_sub_f32_e32 v104, v104, v106
	v_add_f32_e32 v104, v104, v105
	v_exp_f32_e32 v105, v104
	v_cvt_i32_f32_e32 v106, v106
	v_cndmask_b32_e64 v99, 0, v99, s[26:27]
	v_cndmask_b32_e64 v104, v142, v99, s[28:29]
	v_cvt_f16_f32_e32 v99, v104
	v_ldexp_f32 v105, v105, v106
	v_mul_f32_e32 v106, 0x3fb8aa3b, v148
	v_fma_f32 v107, v148, s60, -v106
	v_fmac_f32_e32 v107, 0x32a5705f, v148
	v_rndne_f32_e32 v148, v106
	v_sub_f32_e32 v106, v106, v148
	v_add_f32_e32 v106, v106, v107
	v_exp_f32_e32 v106, v106
	v_cvt_i32_f32_e32 v107, v148
	v_cndmask_b32_e64 v105, 0, v105, s[22:23]
	v_cndmask_b32_e64 v105, v142, v105, s[24:25]
	v_cvt_f16_f32_e32 v148, v105
	v_ldexp_f32 v106, v106, v107
	v_mul_f32_e32 v107, 0x3fb8aa3b, v147
	v_fma_f32 v149, v147, s60, -v107
	v_fmac_f32_e32 v149, 0x32a5705f, v147
	v_rndne_f32_e32 v147, v107
	v_sub_f32_e32 v107, v107, v147
	v_add_f32_e32 v107, v107, v149
	v_exp_f32_e32 v107, v107
	v_cvt_i32_f32_e32 v147, v147
	v_cndmask_b32_e64 v106, 0, v106, s[18:19]
	v_cndmask_b32_e64 v106, v142, v106, s[20:21]
	v_cvt_f16_f32_e32 v149, v106
	v_ldexp_f32 v107, v107, v147
	v_cndmask_b32_e32 v107, 0, v107, vcc
	v_cndmask_b32_e64 v107, v142, v107, s[16:17]
	v_cvt_f16_f32_e32 v147, v107
	v_mul_u32_u24_e32 v99, 0x10001, v99
	v_mul_u32_u24_e32 v148, 0x10001, v148
	;; [unrolled: 1-line block ×4, first 2 shown]
	v_pk_mul_f16 v115, v115, v147
	v_pk_mul_f16 v116, v116, v147
	;; [unrolled: 1-line block ×4, first 2 shown]
	v_pk_fma_f16 v99, v121, v99, v147
	v_pk_mul_f16 v121, v36, v68
	v_mul_u32_u24_sdwa v69, v69, s63 dst_sel:DWORD dst_unused:UNUSED_PAD src0_sel:WORD_1 src1_sel:DWORD
	v_pk_mul_f16 v120, v120, v148
	v_pk_mul_f16 v118, v118, v149
	v_pk_fma_f16 v119, v119, v148, v121
	v_pk_mul_f16 v121, v36, v151
	v_mul_u32_u24_sdwa v152, v70, s63 dst_sel:DWORD dst_unused:UNUSED_PAD src0_sel:WORD_0 src1_sel:DWORD
	v_mul_u32_u24_sdwa v70, v70, s63 dst_sel:DWORD dst_unused:UNUSED_PAD src0_sel:WORD_1 src1_sel:DWORD
	v_mul_u32_u24_sdwa v153, v71, s63 dst_sel:DWORD dst_unused:UNUSED_PAD src0_sel:WORD_0 src1_sel:DWORD
	v_mul_u32_u24_sdwa v71, v71, s63 dst_sel:DWORD dst_unused:UNUSED_PAD src0_sel:WORD_1 src1_sel:DWORD
	v_pk_fma_f16 v117, v117, v149, v121
	v_pk_fma_f16 v36, v36, v69, v115
	v_pk_fma_f16 v115, v37, v150, v122
	v_pk_fma_f16 v68, v37, v68, v120
	v_pk_fma_f16 v118, v37, v151, v118
	v_pk_fma_f16 v37, v37, v69, v116
	v_mul_u32_u24_sdwa v154, v64, s63 dst_sel:DWORD dst_unused:UNUSED_PAD src0_sel:WORD_0 src1_sel:DWORD
	v_mul_u32_u24_sdwa v64, v64, s63 dst_sel:DWORD dst_unused:UNUSED_PAD src0_sel:WORD_1 src1_sel:DWORD
	v_mul_u32_u24_sdwa v155, v65, s63 dst_sel:DWORD dst_unused:UNUSED_PAD src0_sel:WORD_0 src1_sel:DWORD
	v_mul_u32_u24_sdwa v65, v65, s63 dst_sel:DWORD dst_unused:UNUSED_PAD src0_sel:WORD_1 src1_sel:DWORD
	v_pk_fma_f16 v69, v38, v152, v99
	v_pk_fma_f16 v99, v38, v70, v119
	v_pk_fma_f16 v116, v38, v153, v117
	v_pk_fma_f16 v36, v38, v71, v36
	v_pk_fma_f16 v38, v39, v152, v115
	v_pk_fma_f16 v68, v39, v70, v68
	v_pk_fma_f16 v70, v39, v153, v118
	v_pk_fma_f16 v37, v39, v71, v37
	v_mul_u32_u24_sdwa v156, v66, s63 dst_sel:DWORD dst_unused:UNUSED_PAD src0_sel:WORD_0 src1_sel:DWORD
	v_mul_u32_u24_sdwa v66, v66, s63 dst_sel:DWORD dst_unused:UNUSED_PAD src0_sel:WORD_1 src1_sel:DWORD
	v_mul_u32_u24_sdwa v157, v67, s63 dst_sel:DWORD dst_unused:UNUSED_PAD src0_sel:WORD_0 src1_sel:DWORD
	v_mul_u32_u24_sdwa v67, v67, s63 dst_sel:DWORD dst_unused:UNUSED_PAD src0_sel:WORD_1 src1_sel:DWORD
	v_pk_fma_f16 v39, v32, v154, v69
	v_pk_fma_f16 v69, v32, v64, v99
	v_pk_fma_f16 v71, v32, v155, v116
	v_pk_fma_f16 v32, v32, v65, v36
	v_pk_fma_f16 v36, v33, v154, v38
	v_pk_fma_f16 v38, v33, v64, v68
	v_pk_fma_f16 v64, v33, v155, v70
	v_pk_fma_f16 v33, v33, v65, v37
	v_mul_u32_u24_sdwa v158, v56, s63 dst_sel:DWORD dst_unused:UNUSED_PAD src0_sel:WORD_0 src1_sel:DWORD
	v_mul_u32_u24_sdwa v56, v56, s63 dst_sel:DWORD dst_unused:UNUSED_PAD src0_sel:WORD_1 src1_sel:DWORD
	v_mul_u32_u24_sdwa v159, v57, s63 dst_sel:DWORD dst_unused:UNUSED_PAD src0_sel:WORD_0 src1_sel:DWORD
	v_mul_u32_u24_sdwa v57, v57, s63 dst_sel:DWORD dst_unused:UNUSED_PAD src0_sel:WORD_1 src1_sel:DWORD
	v_pk_fma_f16 v37, v34, v156, v39
	v_pk_fma_f16 v39, v34, v66, v69
	v_pk_fma_f16 v65, v34, v157, v71
	v_pk_fma_f16 v32, v34, v67, v32
	v_pk_fma_f16 v34, v35, v156, v36
	v_pk_fma_f16 v36, v35, v66, v38
	v_pk_fma_f16 v38, v35, v157, v64
	v_pk_fma_f16 v33, v35, v67, v33
	v_mul_u32_u24_sdwa v160, v58, s63 dst_sel:DWORD dst_unused:UNUSED_PAD src0_sel:WORD_0 src1_sel:DWORD
	v_mul_u32_u24_sdwa v58, v58, s63 dst_sel:DWORD dst_unused:UNUSED_PAD src0_sel:WORD_1 src1_sel:DWORD
	v_mul_u32_u24_sdwa v161, v59, s63 dst_sel:DWORD dst_unused:UNUSED_PAD src0_sel:WORD_0 src1_sel:DWORD
	v_mul_u32_u24_sdwa v59, v59, s63 dst_sel:DWORD dst_unused:UNUSED_PAD src0_sel:WORD_1 src1_sel:DWORD
	v_pk_fma_f16 v35, v28, v158, v37
	v_pk_fma_f16 v37, v28, v56, v39
	v_pk_fma_f16 v39, v28, v159, v65
	v_pk_fma_f16 v28, v28, v57, v32
	v_pk_fma_f16 v32, v29, v158, v34
	v_pk_fma_f16 v34, v29, v56, v36
	v_pk_fma_f16 v36, v29, v159, v38
	v_pk_fma_f16 v29, v29, v57, v33
	v_mul_u32_u24_sdwa v162, v44, s63 dst_sel:DWORD dst_unused:UNUSED_PAD src0_sel:WORD_0 src1_sel:DWORD
	v_mul_u32_u24_sdwa v44, v44, s63 dst_sel:DWORD dst_unused:UNUSED_PAD src0_sel:WORD_1 src1_sel:DWORD
	v_mul_u32_u24_sdwa v163, v45, s63 dst_sel:DWORD dst_unused:UNUSED_PAD src0_sel:WORD_0 src1_sel:DWORD
	v_mul_u32_u24_sdwa v45, v45, s63 dst_sel:DWORD dst_unused:UNUSED_PAD src0_sel:WORD_1 src1_sel:DWORD
	v_pk_fma_f16 v33, v30, v160, v35
	v_pk_fma_f16 v35, v30, v58, v37
	v_pk_fma_f16 v37, v30, v161, v39
	v_pk_fma_f16 v28, v30, v59, v28
	v_pk_fma_f16 v30, v31, v160, v32
	v_pk_fma_f16 v32, v31, v58, v34
	v_pk_fma_f16 v34, v31, v161, v36
	v_pk_fma_f16 v29, v31, v59, v29
	v_mul_u32_u24_sdwa v164, v46, s63 dst_sel:DWORD dst_unused:UNUSED_PAD src0_sel:WORD_0 src1_sel:DWORD
	v_mul_u32_u24_sdwa v46, v46, s63 dst_sel:DWORD dst_unused:UNUSED_PAD src0_sel:WORD_1 src1_sel:DWORD
	v_mul_u32_u24_sdwa v165, v47, s63 dst_sel:DWORD dst_unused:UNUSED_PAD src0_sel:WORD_0 src1_sel:DWORD
	v_mul_u32_u24_sdwa v47, v47, s63 dst_sel:DWORD dst_unused:UNUSED_PAD src0_sel:WORD_1 src1_sel:DWORD
	v_pk_fma_f16 v31, v24, v162, v33
	v_pk_fma_f16 v33, v24, v44, v35
	v_pk_fma_f16 v35, v24, v163, v37
	v_pk_fma_f16 v24, v24, v45, v28
	v_pk_fma_f16 v28, v25, v162, v30
	v_pk_fma_f16 v30, v25, v44, v32
	v_pk_fma_f16 v32, v25, v163, v34
	v_pk_fma_f16 v25, v25, v45, v29
	v_mul_u32_u24_sdwa v166, v60, s63 dst_sel:DWORD dst_unused:UNUSED_PAD src0_sel:WORD_0 src1_sel:DWORD
	v_mul_u32_u24_sdwa v60, v60, s63 dst_sel:DWORD dst_unused:UNUSED_PAD src0_sel:WORD_1 src1_sel:DWORD
	v_mul_u32_u24_sdwa v167, v61, s63 dst_sel:DWORD dst_unused:UNUSED_PAD src0_sel:WORD_0 src1_sel:DWORD
	v_mul_u32_u24_sdwa v61, v61, s63 dst_sel:DWORD dst_unused:UNUSED_PAD src0_sel:WORD_1 src1_sel:DWORD
	v_pk_fma_f16 v29, v26, v164, v31
	v_pk_fma_f16 v31, v26, v46, v33
	v_pk_fma_f16 v33, v26, v165, v35
	v_pk_fma_f16 v24, v26, v47, v24
	v_pk_fma_f16 v26, v27, v164, v28
	v_pk_fma_f16 v28, v27, v46, v30
	v_pk_fma_f16 v30, v27, v165, v32
	v_pk_fma_f16 v25, v27, v47, v25
	v_mul_u32_u24_sdwa v168, v62, s63 dst_sel:DWORD dst_unused:UNUSED_PAD src0_sel:WORD_0 src1_sel:DWORD
	v_mul_u32_u24_sdwa v62, v62, s63 dst_sel:DWORD dst_unused:UNUSED_PAD src0_sel:WORD_1 src1_sel:DWORD
	v_mul_u32_u24_sdwa v169, v63, s63 dst_sel:DWORD dst_unused:UNUSED_PAD src0_sel:WORD_0 src1_sel:DWORD
	v_mul_u32_u24_sdwa v63, v63, s63 dst_sel:DWORD dst_unused:UNUSED_PAD src0_sel:WORD_1 src1_sel:DWORD
	v_pk_fma_f16 v27, v20, v166, v29
	v_pk_fma_f16 v29, v20, v60, v31
	v_pk_fma_f16 v31, v20, v167, v33
	v_pk_fma_f16 v20, v20, v61, v24
	v_pk_fma_f16 v24, v21, v166, v26
	v_pk_fma_f16 v26, v21, v60, v28
	v_pk_fma_f16 v28, v21, v167, v30
	v_pk_fma_f16 v21, v21, v61, v25
	v_mul_u32_u24_sdwa v170, v52, s63 dst_sel:DWORD dst_unused:UNUSED_PAD src0_sel:WORD_0 src1_sel:DWORD
	v_mul_u32_u24_sdwa v52, v52, s63 dst_sel:DWORD dst_unused:UNUSED_PAD src0_sel:WORD_1 src1_sel:DWORD
	v_mul_u32_u24_sdwa v171, v53, s63 dst_sel:DWORD dst_unused:UNUSED_PAD src0_sel:WORD_0 src1_sel:DWORD
	v_mul_u32_u24_sdwa v53, v53, s63 dst_sel:DWORD dst_unused:UNUSED_PAD src0_sel:WORD_1 src1_sel:DWORD
	v_pk_fma_f16 v25, v22, v168, v27
	v_pk_fma_f16 v27, v22, v62, v29
	v_pk_fma_f16 v29, v22, v169, v31
	v_pk_fma_f16 v20, v22, v63, v20
	v_pk_fma_f16 v22, v23, v168, v24
	v_pk_fma_f16 v24, v23, v62, v26
	v_pk_fma_f16 v26, v23, v169, v28
	v_pk_fma_f16 v21, v23, v63, v21
	v_mul_u32_u24_sdwa v172, v54, s63 dst_sel:DWORD dst_unused:UNUSED_PAD src0_sel:WORD_0 src1_sel:DWORD
	v_mul_u32_u24_sdwa v54, v54, s63 dst_sel:DWORD dst_unused:UNUSED_PAD src0_sel:WORD_1 src1_sel:DWORD
	v_mul_u32_u24_sdwa v173, v55, s63 dst_sel:DWORD dst_unused:UNUSED_PAD src0_sel:WORD_0 src1_sel:DWORD
	v_mul_u32_u24_sdwa v55, v55, s63 dst_sel:DWORD dst_unused:UNUSED_PAD src0_sel:WORD_1 src1_sel:DWORD
	v_pk_fma_f16 v23, v16, v170, v25
	v_pk_fma_f16 v25, v16, v52, v27
	v_pk_fma_f16 v27, v16, v171, v29
	v_pk_fma_f16 v16, v16, v53, v20
	v_pk_fma_f16 v20, v17, v170, v22
	v_pk_fma_f16 v22, v17, v52, v24
	v_pk_fma_f16 v24, v17, v171, v26
	v_pk_fma_f16 v17, v17, v53, v21
	v_mul_u32_u24_sdwa v174, v48, s63 dst_sel:DWORD dst_unused:UNUSED_PAD src0_sel:WORD_0 src1_sel:DWORD
	v_mul_u32_u24_sdwa v48, v48, s63 dst_sel:DWORD dst_unused:UNUSED_PAD src0_sel:WORD_1 src1_sel:DWORD
	v_mul_u32_u24_sdwa v175, v49, s63 dst_sel:DWORD dst_unused:UNUSED_PAD src0_sel:WORD_0 src1_sel:DWORD
	v_mul_u32_u24_sdwa v49, v49, s63 dst_sel:DWORD dst_unused:UNUSED_PAD src0_sel:WORD_1 src1_sel:DWORD
	v_pk_fma_f16 v21, v18, v172, v23
	v_pk_fma_f16 v23, v18, v54, v25
	v_pk_fma_f16 v25, v18, v173, v27
	v_pk_fma_f16 v16, v18, v55, v16
	v_pk_fma_f16 v18, v19, v172, v20
	v_pk_fma_f16 v20, v19, v54, v22
	v_pk_fma_f16 v22, v19, v173, v24
	v_pk_fma_f16 v17, v19, v55, v17
	v_mul_u32_u24_sdwa v176, v50, s63 dst_sel:DWORD dst_unused:UNUSED_PAD src0_sel:WORD_0 src1_sel:DWORD
	v_mul_u32_u24_sdwa v50, v50, s63 dst_sel:DWORD dst_unused:UNUSED_PAD src0_sel:WORD_1 src1_sel:DWORD
	v_mul_u32_u24_sdwa v177, v51, s63 dst_sel:DWORD dst_unused:UNUSED_PAD src0_sel:WORD_0 src1_sel:DWORD
	v_mul_u32_u24_sdwa v51, v51, s63 dst_sel:DWORD dst_unused:UNUSED_PAD src0_sel:WORD_1 src1_sel:DWORD
	v_pk_fma_f16 v19, v12, v174, v21
	v_pk_fma_f16 v21, v12, v48, v23
	v_pk_fma_f16 v23, v12, v175, v25
	v_pk_fma_f16 v12, v12, v49, v16
	v_pk_fma_f16 v16, v13, v174, v18
	v_pk_fma_f16 v18, v13, v48, v20
	v_pk_fma_f16 v20, v13, v175, v22
	v_pk_fma_f16 v13, v13, v49, v17
	v_mul_u32_u24_sdwa v178, v40, s63 dst_sel:DWORD dst_unused:UNUSED_PAD src0_sel:WORD_0 src1_sel:DWORD
	v_mul_u32_u24_sdwa v40, v40, s63 dst_sel:DWORD dst_unused:UNUSED_PAD src0_sel:WORD_1 src1_sel:DWORD
	v_mul_u32_u24_sdwa v179, v41, s63 dst_sel:DWORD dst_unused:UNUSED_PAD src0_sel:WORD_0 src1_sel:DWORD
	v_mul_u32_u24_sdwa v41, v41, s63 dst_sel:DWORD dst_unused:UNUSED_PAD src0_sel:WORD_1 src1_sel:DWORD
	v_pk_fma_f16 v17, v14, v176, v19
	v_pk_fma_f16 v19, v14, v50, v21
	v_pk_fma_f16 v21, v14, v177, v23
	v_pk_fma_f16 v12, v14, v51, v12
	v_pk_fma_f16 v14, v15, v176, v16
	v_pk_fma_f16 v16, v15, v50, v18
	v_pk_fma_f16 v18, v15, v177, v20
	v_pk_fma_f16 v13, v15, v51, v13
	v_mul_u32_u24_sdwa v180, v42, s63 dst_sel:DWORD dst_unused:UNUSED_PAD src0_sel:WORD_0 src1_sel:DWORD
	v_mul_u32_u24_sdwa v42, v42, s63 dst_sel:DWORD dst_unused:UNUSED_PAD src0_sel:WORD_1 src1_sel:DWORD
	v_mul_u32_u24_sdwa v181, v43, s63 dst_sel:DWORD dst_unused:UNUSED_PAD src0_sel:WORD_0 src1_sel:DWORD
	v_mul_u32_u24_sdwa v43, v43, s63 dst_sel:DWORD dst_unused:UNUSED_PAD src0_sel:WORD_1 src1_sel:DWORD
	v_pk_fma_f16 v15, v8, v178, v17
	v_pk_fma_f16 v17, v8, v40, v19
	v_pk_fma_f16 v19, v8, v179, v21
	v_pk_fma_f16 v8, v8, v41, v12
	;; [unrolled: 1-line block ×14, first 2 shown]
	s_waitcnt lgkmcnt(0)
	s_barrier
	ds_read_b128 v[8:11], v137 offset:128
	ds_read2_b64 v[12:15], v146 offset0:128 offset1:156
	ds_read_b128 v[16:19], v137 offset:144
	ds_read_b128 v[20:23], v137 offset:160
	;; [unrolled: 1-line block ×3, first 2 shown]
	s_waitcnt lgkmcnt(4)
	v_mul_u32_u24_sdwa v36, v8, s63 dst_sel:DWORD dst_unused:UNUSED_PAD src0_sel:WORD_0 src1_sel:DWORD
	v_mul_u32_u24_sdwa v8, v8, s63 dst_sel:DWORD dst_unused:UNUSED_PAD src0_sel:WORD_1 src1_sel:DWORD
	v_mul_u32_u24_sdwa v37, v9, s63 dst_sel:DWORD dst_unused:UNUSED_PAD src0_sel:WORD_0 src1_sel:DWORD
	v_mul_u32_u24_sdwa v9, v9, s63 dst_sel:DWORD dst_unused:UNUSED_PAD src0_sel:WORD_1 src1_sel:DWORD
	s_waitcnt lgkmcnt(3)
	v_pk_fma_f16 v28, v12, v36, v28
	v_pk_fma_f16 v29, v12, v8, v29
	;; [unrolled: 1-line block ×8, first 2 shown]
	v_mul_u32_u24_sdwa v13, v10, s63 dst_sel:DWORD dst_unused:UNUSED_PAD src0_sel:WORD_0 src1_sel:DWORD
	v_mul_u32_u24_sdwa v10, v10, s63 dst_sel:DWORD dst_unused:UNUSED_PAD src0_sel:WORD_1 src1_sel:DWORD
	v_mul_u32_u24_sdwa v33, v11, s63 dst_sel:DWORD dst_unused:UNUSED_PAD src0_sel:WORD_0 src1_sel:DWORD
	v_mul_u32_u24_sdwa v11, v11, s63 dst_sel:DWORD dst_unused:UNUSED_PAD src0_sel:WORD_1 src1_sel:DWORD
	v_pk_fma_f16 v28, v14, v13, v28
	v_pk_fma_f16 v29, v14, v10, v29
	;; [unrolled: 1-line block ×8, first 2 shown]
	ds_read2_b64 v[8:11], v146 offset0:184 offset1:212
	s_waitcnt lgkmcnt(3)
	v_mul_u32_u24_sdwa v32, v16, s63 dst_sel:DWORD dst_unused:UNUSED_PAD src0_sel:WORD_0 src1_sel:DWORD
	v_mul_u32_u24_sdwa v16, v16, s63 dst_sel:DWORD dst_unused:UNUSED_PAD src0_sel:WORD_1 src1_sel:DWORD
	v_mul_u32_u24_sdwa v33, v17, s63 dst_sel:DWORD dst_unused:UNUSED_PAD src0_sel:WORD_0 src1_sel:DWORD
	v_mul_u32_u24_sdwa v17, v17, s63 dst_sel:DWORD dst_unused:UNUSED_PAD src0_sel:WORD_1 src1_sel:DWORD
	s_waitcnt lgkmcnt(0)
	v_pk_fma_f16 v28, v8, v32, v28
	v_pk_fma_f16 v29, v8, v16, v29
	;; [unrolled: 1-line block ×8, first 2 shown]
	v_mul_u32_u24_sdwa v15, v18, s63 dst_sel:DWORD dst_unused:UNUSED_PAD src0_sel:WORD_0 src1_sel:DWORD
	v_mul_u32_u24_sdwa v16, v18, s63 dst_sel:DWORD dst_unused:UNUSED_PAD src0_sel:WORD_1 src1_sel:DWORD
	v_mul_u32_u24_sdwa v17, v19, s63 dst_sel:DWORD dst_unused:UNUSED_PAD src0_sel:WORD_0 src1_sel:DWORD
	v_mul_u32_u24_sdwa v18, v19, s63 dst_sel:DWORD dst_unused:UNUSED_PAD src0_sel:WORD_1 src1_sel:DWORD
	v_pk_fma_f16 v19, v10, v15, v28
	v_pk_fma_f16 v28, v10, v16, v29
	;; [unrolled: 1-line block ×8, first 2 shown]
	ds_read2_b64 v[8:11], v145 offset0:112 offset1:140
	v_mul_u32_u24_sdwa v16, v20, s63 dst_sel:DWORD dst_unused:UNUSED_PAD src0_sel:WORD_0 src1_sel:DWORD
	v_mul_u32_u24_sdwa v17, v20, s63 dst_sel:DWORD dst_unused:UNUSED_PAD src0_sel:WORD_1 src1_sel:DWORD
	v_mul_u32_u24_sdwa v18, v21, s63 dst_sel:DWORD dst_unused:UNUSED_PAD src0_sel:WORD_0 src1_sel:DWORD
	v_mul_u32_u24_sdwa v20, v21, s63 dst_sel:DWORD dst_unused:UNUSED_PAD src0_sel:WORD_1 src1_sel:DWORD
	s_waitcnt lgkmcnt(0)
	v_pk_fma_f16 v19, v8, v16, v19
	v_pk_fma_f16 v21, v8, v17, v28
	;; [unrolled: 1-line block ×8, first 2 shown]
	v_mul_u32_u24_sdwa v15, v22, s63 dst_sel:DWORD dst_unused:UNUSED_PAD src0_sel:WORD_0 src1_sel:DWORD
	v_mul_u32_u24_sdwa v16, v22, s63 dst_sel:DWORD dst_unused:UNUSED_PAD src0_sel:WORD_1 src1_sel:DWORD
	v_mul_u32_u24_sdwa v17, v23, s63 dst_sel:DWORD dst_unused:UNUSED_PAD src0_sel:WORD_0 src1_sel:DWORD
	v_mul_u32_u24_sdwa v18, v23, s63 dst_sel:DWORD dst_unused:UNUSED_PAD src0_sel:WORD_1 src1_sel:DWORD
	v_pk_fma_f16 v19, v10, v15, v19
	v_pk_fma_f16 v20, v10, v16, v21
	;; [unrolled: 1-line block ×8, first 2 shown]
	ds_read2_b64 v[8:11], v144 offset0:40 offset1:68
	v_mul_u32_u24_sdwa v16, v24, s63 dst_sel:DWORD dst_unused:UNUSED_PAD src0_sel:WORD_0 src1_sel:DWORD
	v_mul_u32_u24_sdwa v17, v24, s63 dst_sel:DWORD dst_unused:UNUSED_PAD src0_sel:WORD_1 src1_sel:DWORD
	v_mul_u32_u24_sdwa v18, v25, s63 dst_sel:DWORD dst_unused:UNUSED_PAD src0_sel:WORD_0 src1_sel:DWORD
	v_mul_u32_u24_sdwa v23, v25, s63 dst_sel:DWORD dst_unused:UNUSED_PAD src0_sel:WORD_1 src1_sel:DWORD
	s_waitcnt lgkmcnt(0)
	v_pk_fma_f16 v19, v8, v16, v19
	v_pk_fma_f16 v20, v8, v17, v20
	;; [unrolled: 1-line block ×6, first 2 shown]
	v_mul_u32_u24_sdwa v14, v26, s63 dst_sel:DWORD dst_unused:UNUSED_PAD src0_sel:WORD_0 src1_sel:DWORD
	v_mul_u32_u24_sdwa v15, v26, s63 dst_sel:DWORD dst_unused:UNUSED_PAD src0_sel:WORD_1 src1_sel:DWORD
	v_pk_fma_f16 v21, v8, v18, v21
	v_pk_fma_f16 v8, v8, v23, v22
	;; [unrolled: 1-line block ×6, first 2 shown]
	ds_read_b128 v[12:15], v137 offset:192
	v_mul_u32_u24_sdwa v17, v27, s63 dst_sel:DWORD dst_unused:UNUSED_PAD src0_sel:WORD_0 src1_sel:DWORD
	v_mul_u32_u24_sdwa v18, v27, s63 dst_sel:DWORD dst_unused:UNUSED_PAD src0_sel:WORD_1 src1_sel:DWORD
	v_pk_fma_f16 v21, v10, v17, v21
	v_pk_fma_f16 v23, v10, v18, v8
	;; [unrolled: 1-line block ×4, first 2 shown]
	ds_read2_b64 v[8:11], v144 offset0:96 offset1:124
	ds_read_b128 v[16:19], v137 offset:208
	s_waitcnt lgkmcnt(2)
	v_mul_u32_u24_sdwa v28, v12, s63 dst_sel:DWORD dst_unused:UNUSED_PAD src0_sel:WORD_0 src1_sel:DWORD
	v_mul_u32_u24_sdwa v12, v12, s63 dst_sel:DWORD dst_unused:UNUSED_PAD src0_sel:WORD_1 src1_sel:DWORD
	v_mul_u32_u24_sdwa v29, v13, s63 dst_sel:DWORD dst_unused:UNUSED_PAD src0_sel:WORD_0 src1_sel:DWORD
	v_mul_u32_u24_sdwa v13, v13, s63 dst_sel:DWORD dst_unused:UNUSED_PAD src0_sel:WORD_1 src1_sel:DWORD
	s_waitcnt lgkmcnt(1)
	v_pk_fma_f16 v22, v8, v28, v22
	v_pk_fma_f16 v20, v8, v12, v20
	;; [unrolled: 1-line block ×8, first 2 shown]
	v_mul_u32_u24_sdwa v13, v14, s63 dst_sel:DWORD dst_unused:UNUSED_PAD src0_sel:WORD_0 src1_sel:DWORD
	v_mul_u32_u24_sdwa v14, v14, s63 dst_sel:DWORD dst_unused:UNUSED_PAD src0_sel:WORD_1 src1_sel:DWORD
	v_mul_u32_u24_sdwa v25, v15, s63 dst_sel:DWORD dst_unused:UNUSED_PAD src0_sel:WORD_0 src1_sel:DWORD
	v_mul_u32_u24_sdwa v15, v15, s63 dst_sel:DWORD dst_unused:UNUSED_PAD src0_sel:WORD_1 src1_sel:DWORD
	v_pk_fma_f16 v22, v10, v13, v22
	v_pk_fma_f16 v20, v10, v14, v20
	;; [unrolled: 1-line block ×8, first 2 shown]
	ds_read2_b64 v[8:11], v144 offset0:152 offset1:180
	s_waitcnt lgkmcnt(1)
	v_mul_u32_u24_sdwa v23, v16, s63 dst_sel:DWORD dst_unused:UNUSED_PAD src0_sel:WORD_0 src1_sel:DWORD
	v_mul_u32_u24_sdwa v16, v16, s63 dst_sel:DWORD dst_unused:UNUSED_PAD src0_sel:WORD_1 src1_sel:DWORD
	v_mul_u32_u24_sdwa v24, v17, s63 dst_sel:DWORD dst_unused:UNUSED_PAD src0_sel:WORD_0 src1_sel:DWORD
	v_mul_u32_u24_sdwa v17, v17, s63 dst_sel:DWORD dst_unused:UNUSED_PAD src0_sel:WORD_1 src1_sel:DWORD
	s_waitcnt lgkmcnt(0)
	v_pk_fma_f16 v22, v8, v23, v22
	v_pk_fma_f16 v20, v8, v16, v20
	;; [unrolled: 1-line block ×6, first 2 shown]
	v_mul_u32_u24_sdwa v14, v18, s63 dst_sel:DWORD dst_unused:UNUSED_PAD src0_sel:WORD_0 src1_sel:DWORD
	v_mul_u32_u24_sdwa v15, v18, s63 dst_sel:DWORD dst_unused:UNUSED_PAD src0_sel:WORD_1 src1_sel:DWORD
	v_pk_fma_f16 v21, v8, v24, v21
	v_pk_fma_f16 v22, v10, v14, v22
	v_pk_fma_f16 v20, v10, v15, v20
	v_pk_fma_f16 v24, v11, v14, v13
	v_pk_fma_f16 v25, v11, v15, v12
	ds_read_b128 v[12:15], v137 offset:224
	v_pk_fma_f16 v8, v8, v17, v26
	v_mul_u32_u24_sdwa v17, v19, s63 dst_sel:DWORD dst_unused:UNUSED_PAD src0_sel:WORD_0 src1_sel:DWORD
	v_mul_u32_u24_sdwa v18, v19, s63 dst_sel:DWORD dst_unused:UNUSED_PAD src0_sel:WORD_1 src1_sel:DWORD
	v_pk_fma_f16 v21, v10, v17, v21
	v_pk_fma_f16 v23, v10, v18, v8
	;; [unrolled: 1-line block ×4, first 2 shown]
	ds_read2_b64 v[8:11], v144 offset0:208 offset1:236
	ds_read_b128 v[16:19], v137 offset:240
	s_waitcnt lgkmcnt(2)
	v_mul_u32_u24_sdwa v28, v12, s63 dst_sel:DWORD dst_unused:UNUSED_PAD src0_sel:WORD_0 src1_sel:DWORD
	v_mul_u32_u24_sdwa v12, v12, s63 dst_sel:DWORD dst_unused:UNUSED_PAD src0_sel:WORD_1 src1_sel:DWORD
	v_mul_u32_u24_sdwa v29, v13, s63 dst_sel:DWORD dst_unused:UNUSED_PAD src0_sel:WORD_0 src1_sel:DWORD
	v_mul_u32_u24_sdwa v13, v13, s63 dst_sel:DWORD dst_unused:UNUSED_PAD src0_sel:WORD_1 src1_sel:DWORD
	s_waitcnt lgkmcnt(1)
	v_pk_fma_f16 v22, v8, v28, v22
	v_pk_fma_f16 v20, v8, v12, v20
	;; [unrolled: 1-line block ×8, first 2 shown]
	v_mul_u32_u24_sdwa v13, v14, s63 dst_sel:DWORD dst_unused:UNUSED_PAD src0_sel:WORD_0 src1_sel:DWORD
	v_mul_u32_u24_sdwa v14, v14, s63 dst_sel:DWORD dst_unused:UNUSED_PAD src0_sel:WORD_1 src1_sel:DWORD
	v_mul_u32_u24_sdwa v25, v15, s63 dst_sel:DWORD dst_unused:UNUSED_PAD src0_sel:WORD_0 src1_sel:DWORD
	v_mul_u32_u24_sdwa v15, v15, s63 dst_sel:DWORD dst_unused:UNUSED_PAD src0_sel:WORD_1 src1_sel:DWORD
	v_pk_fma_f16 v22, v10, v13, v22
	v_pk_fma_f16 v20, v10, v14, v20
	;; [unrolled: 1-line block ×8, first 2 shown]
	ds_read2_b64 v[8:11], v143 offset0:8 offset1:36
	s_waitcnt lgkmcnt(0)
	s_barrier
	s_load_dword s16, s[38:39], 0x4
	v_mul_u32_u24_sdwa v23, v16, s63 dst_sel:DWORD dst_unused:UNUSED_PAD src0_sel:WORD_0 src1_sel:DWORD
	v_mul_u32_u24_sdwa v16, v16, s63 dst_sel:DWORD dst_unused:UNUSED_PAD src0_sel:WORD_1 src1_sel:DWORD
	v_mul_u32_u24_sdwa v24, v17, s63 dst_sel:DWORD dst_unused:UNUSED_PAD src0_sel:WORD_0 src1_sel:DWORD
	v_mul_u32_u24_sdwa v17, v17, s63 dst_sel:DWORD dst_unused:UNUSED_PAD src0_sel:WORD_1 src1_sel:DWORD
	s_waitcnt lgkmcnt(0)
	s_lshl_b32 s16, s16, 5
	v_pk_fma_f16 v22, v8, v23, v22
	v_pk_fma_f16 v20, v8, v16, v20
	;; [unrolled: 1-line block ×8, first 2 shown]
	v_mul_u32_u24_sdwa v15, v18, s63 dst_sel:DWORD dst_unused:UNUSED_PAD src0_sel:WORD_0 src1_sel:DWORD
	v_mul_u32_u24_sdwa v16, v18, s63 dst_sel:DWORD dst_unused:UNUSED_PAD src0_sel:WORD_1 src1_sel:DWORD
	v_mul_u32_u24_sdwa v17, v19, s63 dst_sel:DWORD dst_unused:UNUSED_PAD src0_sel:WORD_0 src1_sel:DWORD
	v_mul_u32_u24_sdwa v18, v19, s63 dst_sel:DWORD dst_unused:UNUSED_PAD src0_sel:WORD_1 src1_sel:DWORD
	s_add_i32 s43, s16, s43
	v_pk_fma_f32 v[2:3], v[2:3], v[106:107], v[102:103]
	v_pk_fma_f32 v[0:1], v[0:1], v[104:105], v[100:101]
	v_pk_fma_f16 v121, v10, v15, v22
	v_pk_fma_f16 v119, v10, v16, v20
	;; [unrolled: 1-line block ×7, first 2 shown]
	s_cmp_lt_i32 s43, s59
	v_pk_fma_f16 v116, v11, v18, v9
	s_cbranch_scc0 .LBB56_51
; %bb.41:                               ;   in Loop: Header=BB56_16 Depth=1
	v_mov_b32_e32 v10, v4
	v_mov_b32_e32 v13, v5
	;; [unrolled: 1-line block ×4, first 2 shown]
	s_branch .LBB56_16
.LBB56_42:                              ;   in Loop: Header=BB56_16 Depth=1
	global_load_dwordx4 v[14:17], v[8:9], off offset:96
	s_waitcnt vmcnt(0)
	ds_write_b128 v130, v[14:17]
	s_or_b64 exec, exec, s[16:17]
	v_lshl_add_u64 v[4:5], v[86:87], 2, v[6:7]
	s_and_saveexec_b64 s[16:17], s[6:7]
	s_cbranch_execz .LBB56_18
.LBB56_43:                              ;   in Loop: Header=BB56_16 Depth=1
	v_lshl_add_u64 v[14:15], v[4:5], 0, v[88:89]
	global_load_dwordx4 v[14:17], v[14:15], off offset:64
	s_waitcnt vmcnt(0)
	ds_write_b128 v131, v[14:17]
	s_or_b64 exec, exec, s[16:17]
	v_lshl_add_u64 v[6:7], v[90:91], 2, v[6:7]
	s_and_saveexec_b64 s[16:17], s[8:9]
	s_cbranch_execnz .LBB56_19
	s_branch .LBB56_20
.LBB56_44:                              ;   in Loop: Header=BB56_16 Depth=1
	global_load_dwordx4 v[18:21], v[8:9], off offset:208
	s_waitcnt vmcnt(0)
	ds_write_b128 v130, v[18:21]
	s_or_b64 exec, exec, s[16:17]
	s_and_saveexec_b64 s[16:17], s[6:7]
	s_cbranch_execz .LBB56_22
.LBB56_45:                              ;   in Loop: Header=BB56_16 Depth=1
	v_lshl_add_u64 v[4:5], v[4:5], 0, v[88:89]
	global_load_dwordx4 v[18:21], v[4:5], off offset:176
	s_waitcnt vmcnt(0)
	ds_write_b128 v131, v[18:21]
	s_or_b64 exec, exec, s[16:17]
	s_and_saveexec_b64 s[16:17], s[8:9]
	s_cbranch_execnz .LBB56_23
	s_branch .LBB56_24
.LBB56_46:                              ;   in Loop: Header=BB56_16 Depth=1
	v_lshl_add_u64 v[14:15], v[92:93], 2, v[8:9]
	v_lshl_add_u64 v[14:15], v[14:15], 0, v[88:89]
	global_load_dwordx4 v[14:17], v[14:15], off offset:192
	s_waitcnt vmcnt(0)
	ds_write_b128 v138, v[14:17]
	s_or_b64 exec, exec, s[16:17]
	s_and_saveexec_b64 s[16:17], s[12:13]
	s_cbranch_execz .LBB56_34
.LBB56_47:                              ;   in Loop: Header=BB56_16 Depth=1
	v_lshl_add_u64 v[14:15], v[94:95], 2, v[8:9]
	v_mov_b32_e32 v99, v89
	v_lshl_add_u64 v[14:15], v[14:15], 0, v[98:99]
	global_load_dwordx4 v[14:17], v[14:15], off offset:128
	s_waitcnt vmcnt(0)
	ds_write_b128 v139, v[14:17]
	s_or_b64 exec, exec, s[16:17]
	v_lshlrev_b32_e32 v104, 2, v72
	s_and_saveexec_b64 s[16:17], s[14:15]
	s_cbranch_execnz .LBB56_35
	s_branch .LBB56_36
.LBB56_48:                              ;   in Loop: Header=BB56_16 Depth=1
	v_lshl_add_u64 v[152:153], v[92:93], 2, v[106:107]
	v_lshl_add_u64 v[152:153], v[152:153], 0, v[88:89]
	global_load_dwordx4 v[152:155], v[152:153], off offset:192
	s_waitcnt vmcnt(0)
	ds_write_b128 v138, v[152:155]
	s_or_b64 exec, exec, s[40:41]
	s_and_saveexec_b64 s[40:41], s[12:13]
	s_cbranch_execz .LBB56_38
.LBB56_49:                              ;   in Loop: Header=BB56_16 Depth=1
	v_lshl_add_u64 v[152:153], v[94:95], 2, v[106:107]
	v_mov_b32_e32 v99, v89
	v_lshl_add_u64 v[152:153], v[152:153], 0, v[98:99]
	global_load_dwordx4 v[152:155], v[152:153], off offset:128
	s_waitcnt vmcnt(0)
	ds_write_b128 v139, v[152:155]
	s_or_b64 exec, exec, s[40:41]
	s_and_saveexec_b64 s[40:41], s[14:15]
	s_cbranch_execnz .LBB56_39
	s_branch .LBB56_40
.LBB56_50:
	v_mov_b32_e32 v4, 0xfeffffff
	v_mov_b32_e32 v3, 0
	v_mov_b32_e32 v5, v4
	v_mov_b32_e32 v6, v4
	v_mov_b32_e32 v7, v4
	v_mov_b32_e32 v121, 0
	v_mov_b32_e32 v2, v3
	v_mov_b32_e32 v1, v3
	v_mov_b32_e32 v0, v3
	v_mov_b32_e32 v122, 0
	v_mov_b32_e32 v119, 0
	v_mov_b32_e32 v120, 0
	v_mov_b32_e32 v117, 0
	v_mov_b32_e32 v118, 0
	v_mov_b32_e32 v115, 0
	v_mov_b32_e32 v116, 0
.LBB56_51:
	s_cmp_gt_i32 s58, s43
	s_cbranch_scc1 .LBB56_53
; %bb.52:
	v_mbcnt_hi_u32_b32 v94, -1, v124
	v_and_b32_e32 v8, 0x60, v94
	v_mov_b64_e32 v[18:19], v[2:3]
	v_add_u32_e32 v95, 32, v8
	v_xor_b32_e32 v97, 16, v94
	v_xor_b32_e32 v99, 8, v94
	;; [unrolled: 1-line block ×5, first 2 shown]
	v_mov_b64_e32 v[16:17], v[0:1]
	s_cbranch_execz .LBB56_54
	s_branch .LBB56_99
.LBB56_53:
                                        ; implicit-def: $vgpr94
                                        ; implicit-def: $vgpr95
                                        ; implicit-def: $vgpr97
                                        ; implicit-def: $vgpr99
                                        ; implicit-def: $vgpr100
                                        ; implicit-def: $vgpr98
                                        ; implicit-def: $vgpr96
                                        ; implicit-def: $vgpr16_vgpr17_vgpr18_vgpr19
.LBB56_54:
	s_mul_hi_i32 s5, s43, s47
	s_mul_i32 s4, s43, s47
	s_lshl_b64 s[4:5], s[4:5], 2
	v_mul_lo_u32 v8, s47, v127
	s_sub_i32 s22, s58, s43
	v_lshl_add_u64 v[10:11], v[82:83], 0, s[4:5]
	v_ashrrev_i32_e32 v9, 31, v8
	s_mov_b64 s[14:15], src_private_base
	v_cmp_gt_u32_e64 s[8:9], 32, v127
	v_add_u32_e32 v20, 0x1c60, v125
	v_cmp_gt_i32_e32 vcc, s22, v127
	v_lshl_add_u64 v[12:13], v[8:9], 2, v[10:11]
	s_and_saveexec_b64 s[4:5], s[8:9]
	s_cbranch_execz .LBB56_56
; %bb.55:
	v_mov_b32_e32 v14, 0
	v_mov_b32_e32 v15, v14
	;; [unrolled: 1-line block ×3, first 2 shown]
	s_mov_b64 s[6:7], 0x60
	scratch_store_dword off, v14, off
	scratch_store_dwordx3 off, v[14:16], off offset:4
	v_lshl_add_u64 v[8:9], v[12:13], 0, s[6:7]
	s_nop 0
	v_mov_b32_e32 v14, s15
	v_cndmask_b32_e32 v9, v14, v9, vcc
	v_mov_b32_e32 v14, 0
	v_cndmask_b32_e32 v8, v14, v8, vcc
	flat_load_dwordx4 v[14:17], v[8:9]
	s_waitcnt vmcnt(0) lgkmcnt(0)
	ds_write_b128 v20, v[14:17]
.LBB56_56:
	s_or_b64 exec, exec, s[4:5]
	v_lshl_add_u32 v92, v73, 4, v126
	v_lshlrev_b32_e32 v82, 2, v74
	v_lshl_or_b32 v8, v92, 7, v82
	v_add_u32_e32 v21, 0x1c40, v8
	v_mul_lo_u32 v8, s47, v92
	v_ashrrev_i32_e32 v9, 31, v8
	s_mov_b64 s[16:17], src_private_base
	v_cmp_gt_u32_e64 s[10:11], 32, v92
	v_cmp_gt_i32_e64 s[4:5], s22, v92
	v_lshl_add_u64 v[14:15], v[8:9], 2, v[10:11]
	s_and_saveexec_b64 s[6:7], s[10:11]
	s_cbranch_execz .LBB56_58
; %bb.57:
	v_mov_b32_e32 v16, 0
	v_mov_b32_e32 v83, v16
	;; [unrolled: 1-line block ×4, first 2 shown]
	v_lshl_add_u64 v[8:9], v[14:15], 0, v[82:83]
	scratch_store_dword off, v16, off
	scratch_store_dwordx3 off, v[16:18], off offset:4
	v_lshl_add_u64 v[8:9], v[8:9], 0, 64
	s_nop 0
	v_mov_b32_e32 v16, s17
	v_cndmask_b32_e64 v9, v16, v9, s[4:5]
	v_mov_b32_e32 v16, 0
	v_cndmask_b32_e64 v8, v16, v8, s[4:5]
	flat_load_dwordx4 v[16:19], v[8:9]
	s_waitcnt vmcnt(0) lgkmcnt(0)
	ds_write_b128 v21, v[16:19]
.LBB56_58:
	s_or_b64 exec, exec, s[6:7]
	v_lshl_add_u32 v93, v73, 3, v81
	v_lshlrev_b32_e32 v80, 2, v80
	v_mul_lo_u32 v16, s47, v93
	v_lshl_or_b32 v8, v93, 7, v80
	v_ashrrev_i32_e32 v17, 31, v16
	s_mov_b64 s[18:19], src_private_base
	v_add_u32_e32 v18, 0x1c00, v125
	v_cmp_gt_u32_e64 s[12:13], 32, v93
	v_mov_b32_e32 v9, 0
	v_add_u32_e32 v22, 0x1c00, v8
	v_cmp_gt_i32_e64 s[6:7], s22, v93
	v_lshl_add_u64 v[16:17], v[16:17], 2, v[10:11]
	s_and_saveexec_b64 s[20:21], s[12:13]
	s_cbranch_execz .LBB56_60
; %bb.59:
	v_mov_b32_e32 v81, v9
	v_lshl_add_u64 v[10:11], v[16:17], 0, v[80:81]
	v_mov_b32_e32 v8, s19
	v_mov_b32_e32 v24, v9
	;; [unrolled: 1-line block ×4, first 2 shown]
	v_cndmask_b32_e64 v11, v8, v11, s[6:7]
	v_mov_b32_e32 v8, 0
	scratch_store_dword off, v9, off
	scratch_store_dwordx3 off, v[24:26], off offset:4
	v_cndmask_b32_e64 v10, v8, v10, s[6:7]
	flat_load_dwordx4 v[24:27], v[10:11]
	s_waitcnt vmcnt(0) lgkmcnt(0)
	ds_write_b128 v22, v[24:27]
.LBB56_60:
	s_or_b64 exec, exec, s[20:21]
	v_mul_u32_u24_e32 v19, 0x380, v73
	s_waitcnt lgkmcnt(0)
	s_barrier
	ds_read_b128 v[24:27], v18
	ds_read_b128 v[28:31], v19
	ds_read_b128 v[32:35], v19 offset:224
	ds_read_b128 v[36:39], v19 offset:448
	;; [unrolled: 1-line block ×3, first 2 shown]
	v_mov_b32_e32 v10, 0
	s_waitcnt lgkmcnt(3)
	;;#ASMSTART
	v_dot2_f32_f16 v10, v24, v28, v10
	;;#ASMEND
	v_mov_b32_e32 v11, 0
	;;#ASMSTART
	v_dot2_f32_f16 v10, v25, v29, v10
	;;#ASMEND
	v_mov_b32_e32 v8, 0
	;;#ASMSTART
	v_dot2_f32_f16 v10, v26, v30, v10
	;;#ASMEND
	s_nop 0
	;;#ASMSTART
	v_dot2_f32_f16 v10, v27, v31, v10
	;;#ASMEND
	s_waitcnt lgkmcnt(2)
	;;#ASMSTART
	v_dot2_f32_f16 v11, v24, v32, v11
	;;#ASMEND
	s_nop 0
	;;#ASMSTART
	v_dot2_f32_f16 v11, v25, v33, v11
	;;#ASMEND
	s_nop 0
	;;#ASMSTART
	v_dot2_f32_f16 v11, v26, v34, v11
	;;#ASMEND
	s_nop 0
	;;#ASMSTART
	v_dot2_f32_f16 v11, v27, v35, v11
	;;#ASMEND
	s_waitcnt lgkmcnt(1)
	;;#ASMSTART
	v_dot2_f32_f16 v8, v24, v36, v8
	;;#ASMEND
	s_nop 0
	;;#ASMSTART
	v_dot2_f32_f16 v8, v25, v37, v8
	;;#ASMEND
	s_nop 0
	;; [unrolled: 16-line block ×3, first 2 shown]
	;;#ASMSTART
	v_dot2_f32_f16 v9, v26, v42, v9
	;;#ASMEND
	s_nop 0
	;;#ASMSTART
	v_dot2_f32_f16 v9, v27, v43, v9
	;;#ASMEND
	ds_read_b128 v[24:27], v18 offset:16
	ds_read_b128 v[28:31], v19 offset:16
	;; [unrolled: 1-line block ×5, first 2 shown]
	s_waitcnt lgkmcnt(3)
	;;#ASMSTART
	v_dot2_f32_f16 v10, v24, v28, v10
	;;#ASMEND
	s_nop 0
	;;#ASMSTART
	v_dot2_f32_f16 v10, v25, v29, v10
	;;#ASMEND
	s_nop 0
	;;#ASMSTART
	v_dot2_f32_f16 v10, v26, v30, v10
	;;#ASMEND
	s_nop 0
	;;#ASMSTART
	v_dot2_f32_f16 v10, v27, v31, v10
	;;#ASMEND
	s_waitcnt lgkmcnt(2)
	;;#ASMSTART
	v_dot2_f32_f16 v11, v24, v32, v11
	;;#ASMEND
	s_nop 0
	;;#ASMSTART
	v_dot2_f32_f16 v11, v25, v33, v11
	;;#ASMEND
	s_nop 0
	;;#ASMSTART
	v_dot2_f32_f16 v11, v26, v34, v11
	;;#ASMEND
	s_nop 0
	;;#ASMSTART
	v_dot2_f32_f16 v11, v27, v35, v11
	;;#ASMEND
	;; [unrolled: 16-line block ×4, first 2 shown]
	ds_read_b128 v[24:27], v18 offset:32
	ds_read_b128 v[28:31], v19 offset:32
	ds_read_b128 v[32:35], v19 offset:256
	ds_read_b128 v[36:39], v19 offset:480
	ds_read_b128 v[40:43], v19 offset:704
	s_waitcnt lgkmcnt(3)
	;;#ASMSTART
	v_dot2_f32_f16 v10, v24, v28, v10
	;;#ASMEND
	s_nop 0
	;;#ASMSTART
	v_dot2_f32_f16 v10, v25, v29, v10
	;;#ASMEND
	s_nop 0
	;;#ASMSTART
	v_dot2_f32_f16 v10, v26, v30, v10
	;;#ASMEND
	s_nop 0
	;;#ASMSTART
	v_dot2_f32_f16 v10, v27, v31, v10
	;;#ASMEND
	s_waitcnt lgkmcnt(2)
	;;#ASMSTART
	v_dot2_f32_f16 v11, v24, v32, v11
	;;#ASMEND
	s_nop 0
	;;#ASMSTART
	v_dot2_f32_f16 v11, v25, v33, v11
	;;#ASMEND
	s_nop 0
	;;#ASMSTART
	v_dot2_f32_f16 v11, v26, v34, v11
	;;#ASMEND
	s_nop 0
	;;#ASMSTART
	v_dot2_f32_f16 v11, v27, v35, v11
	;;#ASMEND
	;; [unrolled: 16-line block ×4, first 2 shown]
	ds_read_b128 v[24:27], v18 offset:48
	ds_read_b128 v[28:31], v19 offset:48
	;; [unrolled: 1-line block ×5, first 2 shown]
	s_waitcnt lgkmcnt(3)
	;;#ASMSTART
	v_dot2_f32_f16 v10, v24, v28, v10
	;;#ASMEND
	s_nop 0
	;;#ASMSTART
	v_dot2_f32_f16 v10, v25, v29, v10
	;;#ASMEND
	s_nop 0
	;;#ASMSTART
	v_dot2_f32_f16 v10, v26, v30, v10
	;;#ASMEND
	s_nop 0
	;;#ASMSTART
	v_dot2_f32_f16 v10, v27, v31, v10
	;;#ASMEND
	s_waitcnt lgkmcnt(2)
	;;#ASMSTART
	v_dot2_f32_f16 v11, v24, v32, v11
	;;#ASMEND
	s_nop 0
	;;#ASMSTART
	v_dot2_f32_f16 v11, v25, v33, v11
	;;#ASMEND
	s_nop 0
	;;#ASMSTART
	v_dot2_f32_f16 v11, v26, v34, v11
	;;#ASMEND
	s_nop 0
	;;#ASMSTART
	v_dot2_f32_f16 v11, v27, v35, v11
	;;#ASMEND
	;; [unrolled: 16-line block ×4, first 2 shown]
	ds_read_b128 v[24:27], v18 offset:64
	ds_read_b128 v[28:31], v19 offset:64
	;; [unrolled: 1-line block ×5, first 2 shown]
	s_waitcnt lgkmcnt(3)
	;;#ASMSTART
	v_dot2_f32_f16 v10, v24, v28, v10
	;;#ASMEND
	s_nop 0
	;;#ASMSTART
	v_dot2_f32_f16 v10, v25, v29, v10
	;;#ASMEND
	s_nop 0
	;;#ASMSTART
	v_dot2_f32_f16 v10, v26, v30, v10
	;;#ASMEND
	s_nop 0
	;;#ASMSTART
	v_dot2_f32_f16 v10, v27, v31, v10
	;;#ASMEND
	s_waitcnt lgkmcnt(2)
	;;#ASMSTART
	v_dot2_f32_f16 v11, v24, v32, v11
	;;#ASMEND
	s_nop 0
	;;#ASMSTART
	v_dot2_f32_f16 v11, v25, v33, v11
	;;#ASMEND
	s_nop 0
	;;#ASMSTART
	v_dot2_f32_f16 v11, v26, v34, v11
	;;#ASMEND
	s_nop 0
	;;#ASMSTART
	v_dot2_f32_f16 v11, v27, v35, v11
	;;#ASMEND
	;; [unrolled: 16-line block ×4, first 2 shown]
	ds_read_b128 v[24:27], v18 offset:80
	ds_read_b128 v[28:31], v19 offset:80
	;; [unrolled: 1-line block ×5, first 2 shown]
	s_waitcnt lgkmcnt(3)
	;;#ASMSTART
	v_dot2_f32_f16 v10, v24, v28, v10
	;;#ASMEND
	s_nop 0
	;;#ASMSTART
	v_dot2_f32_f16 v10, v25, v29, v10
	;;#ASMEND
	s_nop 0
	;;#ASMSTART
	v_dot2_f32_f16 v10, v26, v30, v10
	;;#ASMEND
	s_nop 0
	;;#ASMSTART
	v_dot2_f32_f16 v10, v27, v31, v10
	;;#ASMEND
	s_waitcnt lgkmcnt(2)
	;;#ASMSTART
	v_dot2_f32_f16 v11, v24, v32, v11
	;;#ASMEND
	s_nop 0
	;;#ASMSTART
	v_dot2_f32_f16 v11, v25, v33, v11
	;;#ASMEND
	s_nop 0
	;;#ASMSTART
	v_dot2_f32_f16 v11, v26, v34, v11
	;;#ASMEND
	s_nop 0
	;;#ASMSTART
	v_dot2_f32_f16 v11, v27, v35, v11
	;;#ASMEND
	;; [unrolled: 16-line block ×4, first 2 shown]
	ds_read_b128 v[24:27], v18 offset:96
	ds_read_b128 v[28:31], v19 offset:96
	;; [unrolled: 1-line block ×5, first 2 shown]
	s_waitcnt lgkmcnt(3)
	;;#ASMSTART
	v_dot2_f32_f16 v10, v24, v28, v10
	;;#ASMEND
	s_nop 0
	;;#ASMSTART
	v_dot2_f32_f16 v10, v25, v29, v10
	;;#ASMEND
	s_nop 0
	;;#ASMSTART
	v_dot2_f32_f16 v10, v26, v30, v10
	;;#ASMEND
	s_nop 0
	;;#ASMSTART
	v_dot2_f32_f16 v10, v27, v31, v10
	;;#ASMEND
	s_waitcnt lgkmcnt(2)
	;;#ASMSTART
	v_dot2_f32_f16 v11, v24, v32, v11
	;;#ASMEND
	s_nop 0
	;;#ASMSTART
	v_dot2_f32_f16 v11, v25, v33, v11
	;;#ASMEND
	s_nop 0
	;;#ASMSTART
	v_dot2_f32_f16 v11, v26, v34, v11
	;;#ASMEND
	s_nop 0
	;;#ASMSTART
	v_dot2_f32_f16 v11, v27, v35, v11
	;;#ASMEND
	;; [unrolled: 16-line block ×4, first 2 shown]
	s_barrier
	s_and_saveexec_b64 s[20:21], s[8:9]
	s_cbranch_execnz .LBB56_67
; %bb.61:
	s_or_b64 exec, exec, s[20:21]
	s_and_saveexec_b64 s[8:9], s[10:11]
	s_cbranch_execnz .LBB56_68
.LBB56_62:
	s_or_b64 exec, exec, s[8:9]
	s_and_saveexec_b64 s[8:9], s[12:13]
	s_cbranch_execz .LBB56_64
.LBB56_63:
	v_mov_b32_e32 v12, 0
	v_mov_b32_e32 v13, v12
	;; [unrolled: 1-line block ×4, first 2 shown]
	scratch_store_dword off, v12, off
	scratch_store_dwordx3 off, v[12:14], off offset:4
	s_mov_b64 s[10:11], 0x70
	s_nop 0
	v_lshl_add_u64 v[12:13], v[16:17], 0, v[80:81]
	v_lshl_add_u64 v[12:13], v[12:13], 0, s[10:11]
	v_mov_b32_e32 v14, s19
	v_cndmask_b32_e64 v13, v14, v13, s[6:7]
	v_mov_b32_e32 v14, 0
	v_cndmask_b32_e64 v12, v14, v12, s[6:7]
	flat_load_dwordx4 v[12:15], v[12:13]
	s_waitcnt vmcnt(0) lgkmcnt(0)
	ds_write_b128 v22, v[12:15]
.LBB56_64:
	s_or_b64 exec, exec, s[8:9]
	s_waitcnt lgkmcnt(0)
	s_barrier
	ds_read_b128 v[12:15], v18
	ds_read_b128 v[20:23], v19 offset:112
	ds_read_b128 v[24:27], v19 offset:336
	;; [unrolled: 1-line block ×4, first 2 shown]
	s_waitcnt lgkmcnt(3)
	;;#ASMSTART
	v_dot2_f32_f16 v10, v12, v20, v10
	;;#ASMEND
	s_nop 0
	;;#ASMSTART
	v_dot2_f32_f16 v10, v13, v21, v10
	;;#ASMEND
	s_cmp_lg_u64 s[56:57], 0
	;;#ASMSTART
	v_dot2_f32_f16 v10, v14, v22, v10
	;;#ASMEND
	s_cselect_b64 s[10:11], -1, 0
	;;#ASMSTART
	v_dot2_f32_f16 v10, v15, v23, v10
	;;#ASMEND
	s_waitcnt lgkmcnt(2)
	;;#ASMSTART
	v_dot2_f32_f16 v11, v12, v24, v11
	;;#ASMEND
	v_cmp_gt_i32_e64 s[8:9], s22, v109
	;;#ASMSTART
	v_dot2_f32_f16 v11, v13, v25, v11
	;;#ASMEND
	s_nop 0
	;;#ASMSTART
	v_dot2_f32_f16 v11, v14, v26, v11
	;;#ASMEND
	s_nop 0
	;;#ASMSTART
	v_dot2_f32_f16 v11, v15, v27, v11
	;;#ASMEND
	s_waitcnt lgkmcnt(1)
	;;#ASMSTART
	v_dot2_f32_f16 v8, v12, v28, v8
	;;#ASMEND
	s_nop 0
	;;#ASMSTART
	v_dot2_f32_f16 v8, v13, v29, v8
	;;#ASMEND
	s_nop 0
	;;#ASMSTART
	v_dot2_f32_f16 v8, v14, v30, v8
	;;#ASMEND
	s_nop 0
	;;#ASMSTART
	v_dot2_f32_f16 v8, v15, v31, v8
	;;#ASMEND
	s_waitcnt lgkmcnt(0)
	;;#ASMSTART
	v_dot2_f32_f16 v9, v12, v32, v9
	;;#ASMEND
	s_nop 0
	;;#ASMSTART
	v_dot2_f32_f16 v9, v13, v33, v9
	;;#ASMEND
	s_nop 0
	;; [unrolled: 4-line block ×3, first 2 shown]
	;;#ASMSTART
	v_dot2_f32_f16 v9, v15, v35, v9
	;;#ASMEND
	ds_read_b128 v[12:15], v18 offset:16
	ds_read_b128 v[20:23], v19 offset:128
	;; [unrolled: 1-line block ×5, first 2 shown]
	s_waitcnt lgkmcnt(3)
	;;#ASMSTART
	v_dot2_f32_f16 v10, v12, v20, v10
	;;#ASMEND
	s_nop 0
	;;#ASMSTART
	v_dot2_f32_f16 v10, v13, v21, v10
	;;#ASMEND
	s_nop 0
	;;#ASMSTART
	v_dot2_f32_f16 v10, v14, v22, v10
	;;#ASMEND
	s_nop 0
	;;#ASMSTART
	v_dot2_f32_f16 v10, v15, v23, v10
	;;#ASMEND
	s_waitcnt lgkmcnt(2)
	;;#ASMSTART
	v_dot2_f32_f16 v11, v12, v24, v11
	;;#ASMEND
	s_nop 0
	;;#ASMSTART
	v_dot2_f32_f16 v11, v13, v25, v11
	;;#ASMEND
	s_nop 0
	;;#ASMSTART
	v_dot2_f32_f16 v11, v14, v26, v11
	;;#ASMEND
	s_nop 0
	;;#ASMSTART
	v_dot2_f32_f16 v11, v15, v27, v11
	;;#ASMEND
	;; [unrolled: 16-line block ×4, first 2 shown]
	ds_read_b128 v[12:15], v18 offset:32
	ds_read_b128 v[20:23], v19 offset:144
	;; [unrolled: 1-line block ×5, first 2 shown]
	s_waitcnt lgkmcnt(3)
	;;#ASMSTART
	v_dot2_f32_f16 v10, v12, v20, v10
	;;#ASMEND
	s_nop 0
	;;#ASMSTART
	v_dot2_f32_f16 v10, v13, v21, v10
	;;#ASMEND
	s_nop 0
	;;#ASMSTART
	v_dot2_f32_f16 v10, v14, v22, v10
	;;#ASMEND
	s_nop 0
	;;#ASMSTART
	v_dot2_f32_f16 v10, v15, v23, v10
	;;#ASMEND
	s_waitcnt lgkmcnt(2)
	;;#ASMSTART
	v_dot2_f32_f16 v11, v12, v24, v11
	;;#ASMEND
	s_nop 0
	;;#ASMSTART
	v_dot2_f32_f16 v11, v13, v25, v11
	;;#ASMEND
	s_nop 0
	;;#ASMSTART
	v_dot2_f32_f16 v11, v14, v26, v11
	;;#ASMEND
	s_nop 0
	;;#ASMSTART
	v_dot2_f32_f16 v11, v15, v27, v11
	;;#ASMEND
	;; [unrolled: 16-line block ×4, first 2 shown]
	ds_read_b128 v[12:15], v18 offset:48
	ds_read_b128 v[20:23], v19 offset:160
	;; [unrolled: 1-line block ×5, first 2 shown]
	s_waitcnt lgkmcnt(3)
	;;#ASMSTART
	v_dot2_f32_f16 v10, v12, v20, v10
	;;#ASMEND
	s_nop 0
	;;#ASMSTART
	v_dot2_f32_f16 v10, v13, v21, v10
	;;#ASMEND
	s_nop 0
	;;#ASMSTART
	v_dot2_f32_f16 v10, v14, v22, v10
	;;#ASMEND
	s_nop 0
	;;#ASMSTART
	v_dot2_f32_f16 v10, v15, v23, v10
	;;#ASMEND
	s_waitcnt lgkmcnt(2)
	;;#ASMSTART
	v_dot2_f32_f16 v11, v12, v24, v11
	;;#ASMEND
	s_nop 0
	;;#ASMSTART
	v_dot2_f32_f16 v11, v13, v25, v11
	;;#ASMEND
	s_nop 0
	;;#ASMSTART
	v_dot2_f32_f16 v11, v14, v26, v11
	;;#ASMEND
	s_nop 0
	;;#ASMSTART
	v_dot2_f32_f16 v11, v15, v27, v11
	;;#ASMEND
	;; [unrolled: 16-line block ×4, first 2 shown]
	ds_read_b128 v[12:15], v18 offset:64
	ds_read_b128 v[20:23], v19 offset:176
	;; [unrolled: 1-line block ×5, first 2 shown]
	s_waitcnt lgkmcnt(3)
	;;#ASMSTART
	v_dot2_f32_f16 v10, v12, v20, v10
	;;#ASMEND
	s_nop 0
	;;#ASMSTART
	v_dot2_f32_f16 v10, v13, v21, v10
	;;#ASMEND
	s_nop 0
	;;#ASMSTART
	v_dot2_f32_f16 v10, v14, v22, v10
	;;#ASMEND
	s_nop 0
	;;#ASMSTART
	v_dot2_f32_f16 v10, v15, v23, v10
	;;#ASMEND
	s_waitcnt lgkmcnt(2)
	;;#ASMSTART
	v_dot2_f32_f16 v11, v12, v24, v11
	;;#ASMEND
	s_nop 0
	;;#ASMSTART
	v_dot2_f32_f16 v11, v13, v25, v11
	;;#ASMEND
	s_nop 0
	;;#ASMSTART
	v_dot2_f32_f16 v11, v14, v26, v11
	;;#ASMEND
	s_nop 0
	;;#ASMSTART
	v_dot2_f32_f16 v11, v15, v27, v11
	;;#ASMEND
	;; [unrolled: 16-line block ×4, first 2 shown]
	ds_read_b128 v[12:15], v18 offset:80
	ds_read_b128 v[20:23], v19 offset:192
	;; [unrolled: 1-line block ×5, first 2 shown]
	s_waitcnt lgkmcnt(3)
	;;#ASMSTART
	v_dot2_f32_f16 v10, v12, v20, v10
	;;#ASMEND
	s_nop 0
	;;#ASMSTART
	v_dot2_f32_f16 v10, v13, v21, v10
	;;#ASMEND
	s_nop 0
	;;#ASMSTART
	v_dot2_f32_f16 v10, v14, v22, v10
	;;#ASMEND
	s_nop 0
	;;#ASMSTART
	v_dot2_f32_f16 v10, v15, v23, v10
	;;#ASMEND
	s_waitcnt lgkmcnt(2)
	;;#ASMSTART
	v_dot2_f32_f16 v11, v12, v24, v11
	;;#ASMEND
	s_nop 0
	;;#ASMSTART
	v_dot2_f32_f16 v11, v13, v25, v11
	;;#ASMEND
	s_nop 0
	;;#ASMSTART
	v_dot2_f32_f16 v11, v14, v26, v11
	;;#ASMEND
	s_nop 0
	;;#ASMSTART
	v_dot2_f32_f16 v11, v15, v27, v11
	;;#ASMEND
	;; [unrolled: 16-line block ×4, first 2 shown]
	ds_read_b128 v[12:15], v18 offset:96
	ds_read_b128 v[20:23], v19 offset:208
	;; [unrolled: 1-line block ×5, first 2 shown]
	s_waitcnt lgkmcnt(3)
	;;#ASMSTART
	v_dot2_f32_f16 v10, v12, v20, v10
	;;#ASMEND
	s_nop 0
	;;#ASMSTART
	v_dot2_f32_f16 v10, v13, v21, v10
	;;#ASMEND
	s_nop 0
	;;#ASMSTART
	v_dot2_f32_f16 v10, v14, v22, v10
	;;#ASMEND
	s_nop 0
	;;#ASMSTART
	v_dot2_f32_f16 v10, v15, v23, v10
	;;#ASMEND
	s_waitcnt lgkmcnt(2)
	;;#ASMSTART
	v_dot2_f32_f16 v11, v12, v24, v11
	;;#ASMEND
	s_nop 0
	;;#ASMSTART
	v_dot2_f32_f16 v11, v13, v25, v11
	;;#ASMEND
	s_nop 0
	;;#ASMSTART
	v_dot2_f32_f16 v11, v14, v26, v11
	;;#ASMEND
	s_nop 0
	;;#ASMSTART
	v_dot2_f32_f16 v11, v15, v27, v11
	;;#ASMEND
	s_waitcnt lgkmcnt(1)
	;;#ASMSTART
	v_dot2_f32_f16 v8, v12, v28, v8
	;;#ASMEND
	s_nop 0
	;;#ASMSTART
	v_dot2_f32_f16 v8, v13, v29, v8
	;;#ASMEND
	s_nop 0
	;;#ASMSTART
	v_dot2_f32_f16 v8, v14, v30, v8
	;;#ASMEND
	s_nop 0
	;;#ASMSTART
	v_dot2_f32_f16 v8, v15, v31, v8
	;;#ASMEND
	s_waitcnt lgkmcnt(0)
	;;#ASMSTART
	v_dot2_f32_f16 v9, v12, v16, v9
	;;#ASMEND
	v_cndmask_b32_e64 v12, 0, 1, s[10:11]
	;;#ASMSTART
	v_dot2_f32_f16 v9, v13, v17, v9
	;;#ASMEND
	v_cmp_ne_u32_e64 s[10:11], 1, v12
	;;#ASMSTART
	v_dot2_f32_f16 v9, v14, v18, v9
	;;#ASMEND
	v_add_u32_e32 v16, s43, v109
	;;#ASMSTART
	v_dot2_f32_f16 v9, v15, v19, v9
	;;#ASMEND
	v_mov_b64_e32 v[14:15], v[6:7]
	v_mov_b64_e32 v[12:13], v[4:5]
	v_mov_b32_e32 v17, v4
	s_and_saveexec_b64 s[12:13], s[8:9]
	s_cbranch_execz .LBB56_71
; %bb.65:
	s_and_b64 vcc, exec, s[10:11]
	s_cbranch_vccnz .LBB56_69
; %bb.66:
	v_mul_hi_u32 v12, s52, v113
	v_add_u32_e32 v12, v113, v12
	v_lshrrev_b32_e32 v12, s53, v12
	v_mul_lo_u32 v12, v12, s54
	v_sub_u32_e32 v12, v113, v12
	v_mad_u64_u32 v[12:13], s[14:15], v12, s46, v[16:17]
	v_ashrrev_i32_e32 v13, 31, v12
	v_lshl_add_u64 v[12:13], v[12:13], 1, s[56:57]
	global_load_ushort v12, v[12:13], off
	s_waitcnt vmcnt(0)
	v_cvt_f32_f16_e32 v12, v12
	v_mul_f32_e32 v12, v75, v12
	s_branch .LBB56_70
.LBB56_67:
	s_mov_b64 s[8:9], 0xd0
	v_mov_b32_e32 v24, 0
	v_lshl_add_u64 v[12:13], v[12:13], 0, s[8:9]
	v_mov_b32_e32 v23, s15
	v_mov_b32_e32 v25, v24
	;; [unrolled: 1-line block ×3, first 2 shown]
	v_cndmask_b32_e32 v13, v23, v13, vcc
	v_mov_b32_e32 v23, 0
	scratch_store_dword off, v24, off
	scratch_store_dwordx3 off, v[24:26], off offset:4
	v_cndmask_b32_e32 v12, v23, v12, vcc
	flat_load_dwordx4 v[24:27], v[12:13]
	s_waitcnt vmcnt(0) lgkmcnt(0)
	ds_write_b128 v20, v[24:27]
	s_or_b64 exec, exec, s[20:21]
	s_and_saveexec_b64 s[8:9], s[10:11]
	s_cbranch_execz .LBB56_62
.LBB56_68:
	v_mov_b32_e32 v24, 0
	v_mov_b32_e32 v83, v24
	v_lshl_add_u64 v[12:13], v[14:15], 0, v[82:83]
	s_mov_b64 s[10:11], 0xb0
	v_lshl_add_u64 v[12:13], v[12:13], 0, s[10:11]
	v_mov_b32_e32 v14, s17
	v_mov_b32_e32 v25, v24
	v_mov_b32_e32 v26, v24
	v_cndmask_b32_e64 v13, v14, v13, s[4:5]
	v_mov_b32_e32 v14, 0
	scratch_store_dword off, v24, off
	scratch_store_dwordx3 off, v[24:26], off offset:4
	v_cndmask_b32_e64 v12, v14, v12, s[4:5]
	flat_load_dwordx4 v[12:15], v[12:13]
	s_waitcnt vmcnt(0) lgkmcnt(0)
	ds_write_b128 v21, v[12:15]
	s_or_b64 exec, exec, s[8:9]
	s_and_saveexec_b64 s[8:9], s[12:13]
	s_cbranch_execnz .LBB56_63
	s_branch .LBB56_64
.LBB56_69:
	v_mov_b32_e32 v12, 0
.LBB56_70:
	v_add_f32_e32 v10, v10, v12
	v_add_f32_e32 v12, 0x40051340, v10
	v_max_f32_e32 v13, v4, v4
	v_max_f32_e32 v17, v13, v12
	v_mov_b64_e32 v[14:15], v[6:7]
	v_mov_b64_e32 v[12:13], v[4:5]
.LBB56_71:
	s_or_b64 exec, exec, s[12:13]
	v_mbcnt_hi_u32_b32 v94, -1, v124
	v_and_b32_e32 v12, 0x60, v94
	v_add_u32_e32 v95, 32, v12
	v_xor_b32_e32 v97, 16, v94
	v_cmp_lt_i32_e32 vcc, v97, v95
	v_xor_b32_e32 v99, 8, v94
	v_xor_b32_e32 v100, 4, v94
	v_cndmask_b32_e32 v12, v94, v97, vcc
	v_lshlrev_b32_e32 v20, 2, v12
	ds_bpermute_b32 v12, v20, v17
	v_cmp_lt_i32_e32 vcc, v99, v95
	v_max_f32_e32 v17, v17, v17
	v_xor_b32_e32 v98, 2, v94
	v_cndmask_b32_e32 v18, v94, v99, vcc
	s_waitcnt lgkmcnt(0)
	v_max_f32_e32 v12, v12, v12
	v_lshlrev_b32_e32 v21, 2, v18
	v_max_f32_e32 v12, v17, v12
	ds_bpermute_b32 v18, v21, v12
	v_cmp_lt_i32_e32 vcc, v100, v95
	v_xor_b32_e32 v96, 1, v94
	s_waitcnt lgkmcnt(0)
	v_max_f32_e32 v18, v18, v18
	v_cndmask_b32_e32 v17, v94, v100, vcc
	v_lshlrev_b32_e32 v17, 2, v17
	v_max_f32_e32 v12, v12, v18
	ds_bpermute_b32 v19, v17, v12
	v_cmp_lt_i32_e32 vcc, v98, v95
	s_waitcnt lgkmcnt(0)
	v_max_f32_e32 v19, v19, v19
	v_cndmask_b32_e32 v18, v94, v98, vcc
	v_lshlrev_b32_e32 v18, 2, v18
	v_max_f32_e32 v12, v12, v19
	ds_bpermute_b32 v22, v18, v12
	v_cmp_lt_i32_e32 vcc, v96, v95
	s_waitcnt lgkmcnt(0)
	v_max_f32_e32 v22, v22, v22
	v_cndmask_b32_e32 v19, v94, v96, vcc
	v_lshlrev_b32_e32 v19, 2, v19
	v_max_f32_e32 v12, v12, v22
	ds_bpermute_b32 v22, v19, v12
	s_waitcnt lgkmcnt(0)
	v_max_f32_e32 v22, v22, v22
	v_max_f32_e32 v12, v12, v22
	s_and_saveexec_b64 s[12:13], s[8:9]
	s_cbranch_execz .LBB56_76
; %bb.72:
	s_and_b64 vcc, exec, s[10:11]
	s_cbranch_vccnz .LBB56_74
; %bb.73:
	v_or_b32_e32 v22, 1, v113
	v_mul_hi_u32 v23, s52, v22
	v_add_u32_e32 v23, v22, v23
	v_lshrrev_b32_e32 v23, s53, v23
	v_mul_lo_u32 v23, v23, s54
	v_sub_u32_e32 v22, v22, v23
	v_mad_u64_u32 v[22:23], s[14:15], v22, s46, v[16:17]
	v_ashrrev_i32_e32 v23, 31, v22
	v_lshl_add_u64 v[22:23], v[22:23], 1, s[56:57]
	global_load_ushort v22, v[22:23], off
	s_waitcnt vmcnt(0)
	v_cvt_f32_f16_e32 v22, v22
	v_mul_f32_e32 v22, v75, v22
	s_branch .LBB56_75
.LBB56_74:
	v_mov_b32_e32 v22, 0
.LBB56_75:
	v_add_f32_e32 v11, v11, v22
	v_add_f32_e32 v22, 0x40051340, v11
	v_max_f32_e32 v13, v13, v13
	v_max_f32_e32 v13, v13, v22
.LBB56_76:
	s_or_b64 exec, exec, s[12:13]
	ds_bpermute_b32 v22, v20, v13
	v_max_f32_e32 v13, v13, v13
	s_waitcnt lgkmcnt(0)
	v_max_f32_e32 v22, v22, v22
	v_max_f32_e32 v13, v13, v22
	ds_bpermute_b32 v22, v21, v13
	s_waitcnt lgkmcnt(0)
	v_max_f32_e32 v22, v22, v22
	v_max_f32_e32 v13, v13, v22
	ds_bpermute_b32 v22, v17, v13
	;; [unrolled: 4-line block ×4, first 2 shown]
	s_waitcnt lgkmcnt(0)
	v_max_f32_e32 v22, v22, v22
	v_max_f32_e32 v13, v13, v22
	s_and_saveexec_b64 s[12:13], s[8:9]
	s_cbranch_execz .LBB56_81
; %bb.77:
	s_and_b64 vcc, exec, s[10:11]
	s_cbranch_vccnz .LBB56_79
; %bb.78:
	v_or_b32_e32 v22, 2, v113
	v_mul_hi_u32 v23, s52, v22
	v_add_u32_e32 v23, v22, v23
	v_lshrrev_b32_e32 v23, s53, v23
	v_mul_lo_u32 v23, v23, s54
	v_sub_u32_e32 v22, v22, v23
	v_mad_u64_u32 v[22:23], s[14:15], v22, s46, v[16:17]
	v_ashrrev_i32_e32 v23, 31, v22
	v_lshl_add_u64 v[22:23], v[22:23], 1, s[56:57]
	global_load_ushort v22, v[22:23], off
	s_waitcnt vmcnt(0)
	v_cvt_f32_f16_e32 v22, v22
	v_mul_f32_e32 v22, v75, v22
	s_branch .LBB56_80
.LBB56_79:
	v_mov_b32_e32 v22, 0
.LBB56_80:
	v_add_f32_e32 v8, v8, v22
	v_add_f32_e32 v22, 0x40051340, v8
	v_max_f32_e32 v14, v14, v14
	v_max_f32_e32 v14, v14, v22
.LBB56_81:
	s_or_b64 exec, exec, s[12:13]
	ds_bpermute_b32 v22, v20, v14
	v_max_f32_e32 v14, v14, v14
	s_waitcnt lgkmcnt(0)
	v_max_f32_e32 v22, v22, v22
	v_max_f32_e32 v14, v14, v22
	ds_bpermute_b32 v22, v21, v14
	s_waitcnt lgkmcnt(0)
	v_max_f32_e32 v22, v22, v22
	v_max_f32_e32 v14, v14, v22
	ds_bpermute_b32 v22, v17, v14
	s_waitcnt lgkmcnt(0)
	v_max_f32_e32 v22, v22, v22
	v_max_f32_e32 v14, v14, v22
	ds_bpermute_b32 v22, v18, v14
	s_waitcnt lgkmcnt(0)
	v_max_f32_e32 v22, v22, v22
	v_max_f32_e32 v14, v14, v22
	ds_bpermute_b32 v22, v19, v14
	s_waitcnt lgkmcnt(0)
	v_max_f32_e32 v22, v22, v22
	v_max_f32_e32 v14, v14, v22
	s_and_saveexec_b64 s[12:13], s[8:9]
	s_cbranch_execz .LBB56_86
; %bb.82:
	s_and_b64 vcc, exec, s[10:11]
	s_cbranch_vccnz .LBB56_84
; %bb.83:
	v_or_b32_e32 v22, 3, v113
	v_mul_hi_u32 v23, s52, v22
	v_add_u32_e32 v23, v22, v23
	v_lshrrev_b32_e32 v23, s53, v23
	v_mul_lo_u32 v23, v23, s54
	v_sub_u32_e32 v22, v22, v23
	v_mad_u64_u32 v[22:23], s[8:9], v22, s46, v[16:17]
	v_ashrrev_i32_e32 v23, 31, v22
	v_lshl_add_u64 v[22:23], v[22:23], 1, s[56:57]
	global_load_ushort v16, v[22:23], off
	s_waitcnt vmcnt(0)
	v_cvt_f32_f16_e32 v16, v16
	v_mul_f32_e32 v16, v75, v16
	s_branch .LBB56_85
.LBB56_84:
	v_mov_b32_e32 v16, 0
.LBB56_85:
	v_add_f32_e32 v9, v9, v16
	v_add_f32_e32 v16, 0x40051340, v9
	v_max_f32_e32 v15, v15, v15
	v_max_f32_e32 v15, v15, v16
.LBB56_86:
	s_or_b64 exec, exec, s[12:13]
	ds_bpermute_b32 v16, v20, v15
	v_max_f32_e32 v15, v15, v15
	s_mov_b64 s[10:11], src_private_base
	v_sub_f32_e32 v10, v10, v12
	s_mov_b32 s10, 0x3fb8aa3b
	s_waitcnt lgkmcnt(0)
	v_max_f32_e32 v16, v16, v16
	v_max_f32_e32 v15, v15, v16
	ds_bpermute_b32 v16, v21, v15
	v_sub_f32_e32 v11, v11, v13
	s_mov_b32 s12, 0xc2ce8ed0
	s_mov_b32 s13, 0x42b17218
	v_cmp_ngt_f32_e32 vcc, s12, v10
	s_waitcnt lgkmcnt(0)
	v_max_f32_e32 v16, v16, v16
	v_max_f32_e32 v15, v15, v16
	ds_bpermute_b32 v16, v17, v15
	v_mul_f32_e32 v17, 0x3fb8aa3b, v10
	v_fma_f32 v20, v10, s10, -v17
	v_rndne_f32_e32 v21, v17
	v_fmac_f32_e32 v20, 0x32a5705f, v10
	s_waitcnt lgkmcnt(0)
	v_max_f32_e32 v16, v16, v16
	v_max_f32_e32 v15, v15, v16
	ds_bpermute_b32 v16, v18, v15
	v_sub_f32_e32 v17, v17, v21
	v_add_f32_e32 v17, v17, v20
	v_cvt_i32_f32_e32 v18, v21
	v_exp_f32_e32 v17, v17
	s_waitcnt lgkmcnt(0)
	v_max_f32_e32 v16, v16, v16
	v_max_f32_e32 v15, v15, v16
	ds_bpermute_b32 v16, v19, v15
	v_ldexp_f32 v17, v17, v18
	v_cndmask_b32_e32 v17, 0, v17, vcc
	v_mov_b32_e32 v19, 0x7f800000
	v_cmp_nlt_f32_e32 vcc, s13, v10
	s_waitcnt lgkmcnt(0)
	v_max_f32_e32 v16, v16, v16
	v_max_f32_e32 v15, v15, v16
	v_mul_f32_e32 v16, 0x3fb8aa3b, v11
	v_fma_f32 v18, v11, s10, -v16
	v_rndne_f32_e32 v20, v16
	v_fmac_f32_e32 v18, 0x32a5705f, v11
	v_sub_f32_e32 v16, v16, v20
	v_add_f32_e32 v16, v16, v18
	v_exp_f32_e32 v18, v16
	v_cvt_i32_f32_e32 v20, v20
	v_sub_f32_e32 v8, v8, v14
	v_cndmask_b32_e32 v10, v19, v17, vcc
	v_cmp_gt_u32_e32 vcc, s22, v109
	v_mul_f32_e32 v17, 0x3fb8aa3b, v8
	v_cmp_ngt_f32_e64 s[8:9], s12, v11
	v_cndmask_b32_e32 v16, 0, v10, vcc
	v_ldexp_f32 v10, v18, v20
	v_fma_f32 v18, v8, s10, -v17
	v_rndne_f32_e32 v20, v17
	v_fmac_f32_e32 v18, 0x32a5705f, v8
	v_sub_f32_e32 v17, v17, v20
	v_add_f32_e32 v17, v17, v18
	v_exp_f32_e32 v18, v17
	v_cvt_i32_f32_e32 v20, v20
	v_cndmask_b32_e64 v10, 0, v10, s[8:9]
	v_cmp_nlt_f32_e64 s[8:9], s13, v11
	v_sub_f32_e32 v9, v9, v15
	v_mul_f32_e32 v11, 0x3fb8aa3b, v9
	v_cndmask_b32_e64 v10, v19, v10, s[8:9]
	v_cndmask_b32_e32 v17, 0, v10, vcc
	v_ldexp_f32 v10, v18, v20
	v_fma_f32 v18, v9, s10, -v11
	v_rndne_f32_e32 v20, v11
	v_fmac_f32_e32 v18, 0x32a5705f, v9
	v_sub_f32_e32 v11, v11, v20
	v_add_f32_e32 v11, v11, v18
	v_exp_f32_e32 v11, v11
	v_cvt_i32_f32_e32 v20, v20
	v_cmp_ngt_f32_e64 s[8:9], s12, v8
	s_barrier
	s_nop 0
	v_cndmask_b32_e64 v10, 0, v10, s[8:9]
	v_cmp_nlt_f32_e64 s[8:9], s13, v8
	v_mul_lo_u32 v88, s2, v92
	s_nop 0
	v_cndmask_b32_e64 v8, v19, v10, s[8:9]
	v_cndmask_b32_e32 v18, 0, v8, vcc
	v_ldexp_f32 v8, v11, v20
	v_cmp_ngt_f32_e64 s[8:9], s12, v9
	s_mul_i32 s12, s43, s2
	v_ashrrev_i32_e32 v89, 31, v88
	v_cndmask_b32_e64 v8, 0, v8, s[8:9]
	v_cmp_nlt_f32_e64 s[8:9], s13, v9
	s_mul_hi_i32 s13, s43, s2
	s_lshl_b64 s[12:13], s[12:13], 2
	v_cndmask_b32_e64 v8, v19, v8, s[8:9]
	v_cndmask_b32_e32 v19, 0, v8, vcc
	v_mov_b32_e32 v8, 0x2c40
	v_lshl_add_u32 v101, v73, 8, v8
	v_add_u32_e32 v10, v101, v114
	v_cvt_pk_f16_f32 v9, v18, v19
	v_cvt_pk_f16_f32 v8, v16, v17
	ds_write_b64 v10, v[8:9]
	v_mul_u32_u24_e32 v8, 0xe0, v92
	v_lshl_or_b32 v8, v74, 2, v8
	v_cmp_gt_u32_e64 s[8:9], 16, v92
	v_add_u32_e32 v124, 0x1cc0, v8
	v_lshl_add_u64 v[20:21], v[78:79], 0, s[12:13]
	s_and_saveexec_b64 s[12:13], s[8:9]
	s_cbranch_execz .LBB56_88
; %bb.87:
	v_mov_b32_e32 v8, 0
	v_mov_b32_e32 v9, v8
	;; [unrolled: 1-line block ×3, first 2 shown]
	scratch_store_dwordx3 off, v[8:10], off offset:4
	v_mov_b32_e32 v83, v8
	scratch_store_dword off, v8, off
	v_lshl_add_u64 v[10:11], v[88:89], 2, v[20:21]
	v_lshl_add_u64 v[8:9], v[10:11], 0, v[82:83]
	s_mov_b64 s[14:15], 0xc0
	v_lshl_add_u64 v[8:9], v[8:9], 0, s[14:15]
	v_mov_b32_e32 v10, s11
	v_cndmask_b32_e64 v9, v10, v9, s[4:5]
	v_mov_b32_e32 v10, 0
	v_cndmask_b32_e64 v8, v10, v8, s[4:5]
	flat_load_dwordx4 v[8:11], v[8:9]
	s_waitcnt vmcnt(0) lgkmcnt(0)
	ds_write_b128 v124, v[8:11]
.LBB56_88:
	s_or_b64 exec, exec, s[12:13]
	v_mul_u32_u24_e32 v8, 0xe0, v93
	s_movk_i32 s10, 0x1c80
	v_mul_lo_u32 v90, s2, v93
	s_mov_b64 s[14:15], src_private_base
	v_cmp_gt_u32_e64 s[4:5], 16, v93
	v_add3_u32 v125, v8, v80, s10
	v_ashrrev_i32_e32 v91, 31, v90
	s_and_saveexec_b64 s[12:13], s[4:5]
	s_cbranch_execz .LBB56_90
; %bb.89:
	v_mov_b32_e32 v8, 0
	v_mov_b32_e32 v9, v8
	;; [unrolled: 1-line block ×3, first 2 shown]
	scratch_store_dwordx3 off, v[8:10], off offset:4
	v_mov_b32_e32 v81, v8
	scratch_store_dword off, v8, off
	v_lshl_add_u64 v[10:11], v[90:91], 2, v[20:21]
	v_lshl_add_u64 v[8:9], v[10:11], 0, v[80:81]
	s_mov_b64 s[16:17], 0x80
	v_lshl_add_u64 v[8:9], v[8:9], 0, s[16:17]
	v_mov_b32_e32 v10, s15
	v_cndmask_b32_e64 v9, v10, v9, s[6:7]
	v_mov_b32_e32 v10, 0
	v_cndmask_b32_e64 v8, v10, v8, s[6:7]
	flat_load_dwordx4 v[8:11], v[8:9]
	s_waitcnt vmcnt(0) lgkmcnt(0)
	ds_write_b128 v125, v[8:11]
.LBB56_90:
	s_or_b64 exec, exec, s[12:13]
	v_add_u32_e32 v106, v123, v111
	v_mul_u32_u24_e32 v9, 0xe0, v106
	v_lshlrev_b32_e32 v84, 2, v72
	s_movk_i32 s6, 0x1c00
	v_mul_lo_u32 v86, s2, v106
	s_mov_b64 s[12:13], src_private_base
	v_cmp_gt_u32_e32 vcc, 16, v106
	v_mov_b32_e32 v8, 0
	v_add3_u32 v107, v9, v84, s6
	v_ashrrev_i32_e32 v87, 31, v86
	s_and_saveexec_b64 s[16:17], vcc
	s_cbranch_execz .LBB56_92
; %bb.91:
	v_mov_b32_e32 v9, v8
	v_mov_b32_e32 v10, v8
	scratch_store_dwordx3 off, v[8:10], off offset:4
	v_mov_b32_e32 v85, v8
	scratch_store_dword off, v8, off
	v_lshl_add_u64 v[10:11], v[86:87], 2, v[20:21]
	v_lshl_add_u64 v[8:9], v[10:11], 0, v[84:85]
	v_mov_b32_e32 v10, s13
	v_cmp_gt_i32_e64 s[6:7], s22, v106
	s_nop 1
	v_cndmask_b32_e64 v9, v10, v9, s[6:7]
	v_mov_b32_e32 v10, 0
	v_cndmask_b32_e64 v8, v10, v8, s[6:7]
	flat_load_dwordx4 v[8:11], v[8:9]
	s_waitcnt vmcnt(0) lgkmcnt(0)
	ds_write_b128 v107, v[8:11]
.LBB56_92:
	s_or_b64 exec, exec, s[16:17]
	v_sub_f32_e32 v4, v4, v12
	s_mov_b32 s10, 0x3fb8aa3b
	v_mul_f32_e32 v8, 0x3fb8aa3b, v4
	v_fma_f32 v9, v4, s10, -v8
	v_rndne_f32_e32 v10, v8
	v_fmac_f32_e32 v9, 0x32a5705f, v4
	v_sub_f32_e32 v8, v8, v10
	v_sub_f32_e32 v5, v5, v13
	v_add_f32_e32 v8, v8, v9
	v_cvt_i32_f32_e32 v9, v10
	v_mul_f32_e32 v10, 0x3fb8aa3b, v5
	v_exp_f32_e32 v8, v8
	v_fma_f32 v11, v5, s10, -v10
	v_rndne_f32_e32 v20, v10
	v_fmac_f32_e32 v11, 0x32a5705f, v5
	v_sub_f32_e32 v10, v10, v20
	v_add_f32_e32 v10, v10, v11
	s_mov_b32 s12, 0xc2ce8ed0
	v_exp_f32_e32 v10, v10
	v_cvt_i32_f32_e32 v11, v20
	v_ldexp_f32 v8, v8, v9
	v_cmp_ngt_f32_e64 s[6:7], s12, v4
	s_mov_b32 s14, 0x42b17218
	v_mov_b32_e32 v9, 0x7f800000
	v_cndmask_b32_e64 v8, 0, v8, s[6:7]
	v_cmp_nlt_f32_e64 s[6:7], s14, v4
	v_sub_f32_e32 v6, v6, v14
	v_ldexp_f32 v4, v10, v11
	v_cndmask_b32_e64 v102, v9, v8, s[6:7]
	v_mul_f32_e32 v8, 0x3fb8aa3b, v6
	v_fma_f32 v10, v6, s10, -v8
	v_rndne_f32_e32 v11, v8
	v_fmac_f32_e32 v10, 0x32a5705f, v6
	v_sub_f32_e32 v8, v8, v11
	v_add_f32_e32 v8, v8, v10
	v_exp_f32_e32 v8, v8
	v_cvt_i32_f32_e32 v10, v11
	v_cmp_ngt_f32_e64 s[6:7], s12, v5
	s_waitcnt lgkmcnt(0)
	s_barrier
	v_cndmask_b32_e64 v4, 0, v4, s[6:7]
	v_cmp_nlt_f32_e64 s[6:7], s14, v5
	v_sub_f32_e32 v5, v7, v15
	v_mul_f32_e32 v7, 0x3fb8aa3b, v5
	v_cndmask_b32_e64 v103, v9, v4, s[6:7]
	v_ldexp_f32 v4, v8, v10
	v_fma_f32 v8, v5, s10, -v7
	v_rndne_f32_e32 v10, v7
	v_fmac_f32_e32 v8, 0x32a5705f, v5
	v_sub_f32_e32 v7, v7, v10
	v_add_f32_e32 v7, v7, v8
	v_exp_f32_e32 v7, v7
	v_cvt_i32_f32_e32 v8, v10
	v_cmp_ngt_f32_e64 s[6:7], s12, v6
	v_cvt_f16_f32_e32 v85, v102
	s_nop 0
	v_cndmask_b32_e64 v4, 0, v4, s[6:7]
	v_cmp_nlt_f32_e64 s[6:7], s14, v6
	v_cvt_f16_f32_e32 v123, v103
	s_add_i32 s22, s22, -16
	v_cndmask_b32_e64 v104, v9, v4, s[6:7]
	v_ldexp_f32 v4, v7, v8
	v_cmp_ngt_f32_e64 s[6:7], s12, v5
	v_cvt_f16_f32_e32 v126, v104
	s_nop 0
	v_cndmask_b32_e64 v4, 0, v4, s[6:7]
	v_cmp_nlt_f32_e64 s[6:7], s14, v5
	s_nop 1
	v_cndmask_b32_e64 v105, v9, v4, s[6:7]
	v_add_u32_e32 v4, 0x1800, v114
	ds_read2_b64 v[40:43], v4 offset0:128 offset1:156
	ds_read_b128 v[72:75], v101
	ds_read_b128 v[68:71], v101 offset:16
	ds_read_b128 v[60:63], v101 offset:32
	;; [unrolled: 1-line block ×3, first 2 shown]
	ds_read2_b64 v[36:39], v4 offset0:184 offset1:212
	v_add_u32_e32 v4, 0x1c00, v114
	ds_read2_b64 v[32:35], v4 offset0:112 offset1:140
	v_add_u32_e32 v4, 0x2000, v114
	ds_read2_b64 v[28:31], v4 offset0:40 offset1:68
	ds_read2_b64 v[24:27], v4 offset0:96 offset1:124
	;; [unrolled: 1-line block ×3, first 2 shown]
	ds_read_b128 v[64:67], v101 offset:64
	ds_read_b128 v[56:59], v101 offset:80
	ds_read2_b64 v[8:11], v4 offset0:208 offset1:236
	v_add_u32_e32 v4, 0x2800, v114
	ds_read2_b64 v[4:7], v4 offset0:8 offset1:36
	ds_read_b128 v[52:55], v101 offset:96
	ds_read_b128 v[44:47], v101 offset:112
	v_cvt_f16_f32_e32 v127, v105
	s_or_b32 s6, s43, 16
	s_mul_hi_i32 s7, s6, s2
	s_mul_i32 s6, s6, s2
	s_lshl_b64 s[6:7], s[6:7], 2
	v_lshl_add_u64 v[78:79], v[78:79], 0, s[6:7]
	s_waitcnt lgkmcnt(0)
	s_barrier
	s_and_saveexec_b64 s[16:17], s[8:9]
	s_cbranch_execz .LBB56_94
; %bb.93:
	v_mov_b32_e32 v128, 0
	v_lshl_add_u64 v[88:89], v[88:89], 2, v[78:79]
	v_mov_b32_e32 v83, v128
	v_lshl_add_u64 v[82:83], v[88:89], 0, v[82:83]
	s_mov_b64 s[6:7], 0xc0
	v_lshl_add_u64 v[82:83], v[82:83], 0, s[6:7]
	v_mov_b32_e32 v81, s11
	v_cmp_gt_i32_e64 s[6:7], s22, v92
	v_mov_b32_e32 v129, v128
	v_mov_b32_e32 v130, v128
	v_cndmask_b32_e64 v83, v81, v83, s[6:7]
	v_mov_b32_e32 v81, 0
	scratch_store_dword off, v128, off
	scratch_store_dwordx3 off, v[128:130], off offset:4
	v_cndmask_b32_e64 v82, v81, v82, s[6:7]
	flat_load_dwordx4 v[128:131], v[82:83]
	s_waitcnt vmcnt(0) lgkmcnt(0)
	ds_write_b128 v124, v[128:131]
.LBB56_94:
	s_or_b64 exec, exec, s[16:17]
	s_mov_b32 s2, 0x10001
	s_and_saveexec_b64 s[6:7], s[4:5]
	s_cbranch_execz .LBB56_96
; %bb.95:
	v_mov_b32_e32 v128, 0
	v_lshl_add_u64 v[82:83], v[90:91], 2, v[78:79]
	v_mov_b32_e32 v81, v128
	v_lshl_add_u64 v[80:81], v[82:83], 0, v[80:81]
	s_mov_b64 s[4:5], 0x80
	v_lshl_add_u64 v[80:81], v[80:81], 0, s[4:5]
	v_mov_b32_e32 v82, s15
	v_cmp_gt_i32_e64 s[4:5], s22, v93
	v_mov_b32_e32 v129, v128
	v_mov_b32_e32 v130, v128
	v_cndmask_b32_e64 v81, v82, v81, s[4:5]
	v_mov_b32_e32 v82, 0
	scratch_store_dword off, v128, off
	scratch_store_dwordx3 off, v[128:130], off offset:4
	v_cndmask_b32_e64 v80, v82, v80, s[4:5]
	flat_load_dwordx4 v[80:83], v[80:81]
	s_waitcnt vmcnt(0) lgkmcnt(0)
	ds_write_b128 v125, v[80:83]
.LBB56_96:
	s_or_b64 exec, exec, s[6:7]
	v_mul_u32_u24_e32 v147, 0x10001, v85
	v_mul_u32_u24_e32 v146, 0x10001, v123
	;; [unrolled: 1-line block ×4, first 2 shown]
	v_mul_u32_u24_sdwa v142, v72, s2 dst_sel:DWORD dst_unused:UNUSED_PAD src0_sel:WORD_0 src1_sel:DWORD
	v_mul_u32_u24_sdwa v143, v72, s2 dst_sel:DWORD dst_unused:UNUSED_PAD src0_sel:WORD_1 src1_sel:DWORD
	v_mul_u32_u24_sdwa v144, v73, s2 dst_sel:DWORD dst_unused:UNUSED_PAD src0_sel:WORD_0 src1_sel:DWORD
	v_mul_u32_u24_sdwa v145, v73, s2 dst_sel:DWORD dst_unused:UNUSED_PAD src0_sel:WORD_1 src1_sel:DWORD
	;; [unrolled: 2-line block ×32, first 2 shown]
	s_and_saveexec_b64 s[4:5], vcc
	s_cbranch_execz .LBB56_98
; %bb.97:
	v_mov_b32_e32 v150, 0
	v_lshl_add_u64 v[78:79], v[86:87], 2, v[78:79]
	v_mov_b32_e32 v85, v150
	v_lshl_add_u64 v[78:79], v[78:79], 0, v[84:85]
	v_mov_b32_e32 v84, s13
	v_cmp_gt_i32_e32 vcc, s22, v106
	v_mov_b32_e32 v151, v150
	v_mov_b32_e32 v152, v150
	v_cndmask_b32_e32 v79, v84, v79, vcc
	v_mov_b32_e32 v84, 0
	scratch_store_dword off, v150, off
	scratch_store_dwordx3 off, v[150:152], off offset:4
	v_cndmask_b32_e32 v78, v84, v78, vcc
	flat_load_dwordx4 v[84:87], v[78:79]
	s_waitcnt vmcnt(0) lgkmcnt(0)
	ds_write_b128 v107, v[84:87]
.LBB56_98:
	s_or_b64 exec, exec, s[4:5]
	v_pk_mul_f16 v78, v122, v147
	v_pk_mul_f16 v79, v120, v146
	;; [unrolled: 1-line block ×8, first 2 shown]
	v_pk_fma_f16 v87, v121, v147, v87
	v_pk_fma_f16 v106, v119, v146, v106
	;; [unrolled: 1-line block ×120, first 2 shown]
	v_add_u32_e32 v36, 0x1800, v114
	v_pk_fma_f16 v28, v6, v44, v11
	v_pk_fma_f16 v29, v6, v45, v21
	v_pk_fma_f16 v30, v6, v46, v23
	v_pk_fma_f16 v31, v6, v47, v4
	v_pk_fma_f16 v32, v7, v44, v8
	v_pk_fma_f16 v33, v7, v45, v10
	v_pk_fma_f16 v34, v7, v46, v20
	v_pk_fma_f16 v35, v7, v47, v5
	v_fmac_f32_e32 v16, v0, v102
	v_fmac_f32_e32 v17, v1, v103
	;; [unrolled: 1-line block ×4, first 2 shown]
	s_waitcnt lgkmcnt(0)
	s_barrier
	ds_read2_b64 v[0:3], v36 offset0:128 offset1:156
	ds_read_b128 v[4:7], v101 offset:128
	ds_read_b128 v[8:11], v101 offset:144
	;; [unrolled: 1-line block ×4, first 2 shown]
	s_waitcnt lgkmcnt(3)
	v_mul_u32_u24_sdwa v37, v4, s2 dst_sel:DWORD dst_unused:UNUSED_PAD src0_sel:WORD_0 src1_sel:DWORD
	v_mul_u32_u24_sdwa v4, v4, s2 dst_sel:DWORD dst_unused:UNUSED_PAD src0_sel:WORD_1 src1_sel:DWORD
	v_mul_u32_u24_sdwa v38, v5, s2 dst_sel:DWORD dst_unused:UNUSED_PAD src0_sel:WORD_0 src1_sel:DWORD
	v_mul_u32_u24_sdwa v5, v5, s2 dst_sel:DWORD dst_unused:UNUSED_PAD src0_sel:WORD_1 src1_sel:DWORD
	v_pk_fma_f16 v28, v0, v37, v28
	v_pk_fma_f16 v29, v0, v4, v29
	;; [unrolled: 1-line block ×8, first 2 shown]
	v_mul_u32_u24_sdwa v5, v6, s2 dst_sel:DWORD dst_unused:UNUSED_PAD src0_sel:WORD_0 src1_sel:DWORD
	v_mul_u32_u24_sdwa v6, v6, s2 dst_sel:DWORD dst_unused:UNUSED_PAD src0_sel:WORD_1 src1_sel:DWORD
	v_mul_u32_u24_sdwa v33, v7, s2 dst_sel:DWORD dst_unused:UNUSED_PAD src0_sel:WORD_0 src1_sel:DWORD
	v_mul_u32_u24_sdwa v7, v7, s2 dst_sel:DWORD dst_unused:UNUSED_PAD src0_sel:WORD_1 src1_sel:DWORD
	v_pk_fma_f16 v28, v2, v5, v28
	v_pk_fma_f16 v29, v2, v6, v29
	;; [unrolled: 1-line block ×8, first 2 shown]
	ds_read2_b64 v[0:3], v36 offset0:184 offset1:212
	s_waitcnt lgkmcnt(3)
	v_mul_u32_u24_sdwa v31, v8, s2 dst_sel:DWORD dst_unused:UNUSED_PAD src0_sel:WORD_0 src1_sel:DWORD
	v_mul_u32_u24_sdwa v8, v8, s2 dst_sel:DWORD dst_unused:UNUSED_PAD src0_sel:WORD_1 src1_sel:DWORD
	v_mul_u32_u24_sdwa v32, v9, s2 dst_sel:DWORD dst_unused:UNUSED_PAD src0_sel:WORD_0 src1_sel:DWORD
	v_mul_u32_u24_sdwa v9, v9, s2 dst_sel:DWORD dst_unused:UNUSED_PAD src0_sel:WORD_1 src1_sel:DWORD
	s_waitcnt lgkmcnt(0)
	v_pk_fma_f16 v28, v0, v31, v28
	v_pk_fma_f16 v29, v0, v8, v29
	;; [unrolled: 1-line block ×8, first 2 shown]
	v_mul_u32_u24_sdwa v7, v10, s2 dst_sel:DWORD dst_unused:UNUSED_PAD src0_sel:WORD_0 src1_sel:DWORD
	v_mul_u32_u24_sdwa v8, v10, s2 dst_sel:DWORD dst_unused:UNUSED_PAD src0_sel:WORD_1 src1_sel:DWORD
	v_mul_u32_u24_sdwa v9, v11, s2 dst_sel:DWORD dst_unused:UNUSED_PAD src0_sel:WORD_0 src1_sel:DWORD
	v_mul_u32_u24_sdwa v10, v11, s2 dst_sel:DWORD dst_unused:UNUSED_PAD src0_sel:WORD_1 src1_sel:DWORD
	v_pk_fma_f16 v11, v2, v7, v28
	v_pk_fma_f16 v28, v2, v8, v29
	;; [unrolled: 1-line block ×4, first 2 shown]
	v_add_u32_e32 v0, 0x1c00, v114
	v_pk_fma_f16 v5, v3, v7, v5
	v_pk_fma_f16 v4, v3, v8, v4
	;; [unrolled: 1-line block ×4, first 2 shown]
	ds_read2_b64 v[0:3], v0 offset0:112 offset1:140
	v_mul_u32_u24_sdwa v8, v20, s2 dst_sel:DWORD dst_unused:UNUSED_PAD src0_sel:WORD_0 src1_sel:DWORD
	v_mul_u32_u24_sdwa v9, v20, s2 dst_sel:DWORD dst_unused:UNUSED_PAD src0_sel:WORD_1 src1_sel:DWORD
	v_mul_u32_u24_sdwa v10, v21, s2 dst_sel:DWORD dst_unused:UNUSED_PAD src0_sel:WORD_0 src1_sel:DWORD
	v_mul_u32_u24_sdwa v20, v21, s2 dst_sel:DWORD dst_unused:UNUSED_PAD src0_sel:WORD_1 src1_sel:DWORD
	s_waitcnt lgkmcnt(0)
	v_pk_fma_f16 v11, v0, v8, v11
	v_pk_fma_f16 v21, v0, v9, v28
	;; [unrolled: 1-line block ×8, first 2 shown]
	v_mul_u32_u24_sdwa v7, v22, s2 dst_sel:DWORD dst_unused:UNUSED_PAD src0_sel:WORD_0 src1_sel:DWORD
	v_mul_u32_u24_sdwa v8, v22, s2 dst_sel:DWORD dst_unused:UNUSED_PAD src0_sel:WORD_1 src1_sel:DWORD
	v_mul_u32_u24_sdwa v9, v23, s2 dst_sel:DWORD dst_unused:UNUSED_PAD src0_sel:WORD_0 src1_sel:DWORD
	v_mul_u32_u24_sdwa v10, v23, s2 dst_sel:DWORD dst_unused:UNUSED_PAD src0_sel:WORD_1 src1_sel:DWORD
	v_add_u32_e32 v23, 0x2000, v114
	v_pk_fma_f16 v11, v2, v7, v11
	v_pk_fma_f16 v20, v2, v8, v21
	;; [unrolled: 1-line block ×8, first 2 shown]
	ds_read2_b64 v[0:3], v23 offset0:40 offset1:68
	v_mul_u32_u24_sdwa v8, v24, s2 dst_sel:DWORD dst_unused:UNUSED_PAD src0_sel:WORD_0 src1_sel:DWORD
	v_mul_u32_u24_sdwa v9, v24, s2 dst_sel:DWORD dst_unused:UNUSED_PAD src0_sel:WORD_1 src1_sel:DWORD
	v_mul_u32_u24_sdwa v10, v25, s2 dst_sel:DWORD dst_unused:UNUSED_PAD src0_sel:WORD_0 src1_sel:DWORD
	v_mul_u32_u24_sdwa v24, v25, s2 dst_sel:DWORD dst_unused:UNUSED_PAD src0_sel:WORD_1 src1_sel:DWORD
	s_waitcnt lgkmcnt(0)
	v_pk_fma_f16 v11, v0, v8, v11
	v_pk_fma_f16 v20, v0, v9, v20
	;; [unrolled: 1-line block ×6, first 2 shown]
	v_mul_u32_u24_sdwa v6, v26, s2 dst_sel:DWORD dst_unused:UNUSED_PAD src0_sel:WORD_0 src1_sel:DWORD
	v_mul_u32_u24_sdwa v7, v26, s2 dst_sel:DWORD dst_unused:UNUSED_PAD src0_sel:WORD_1 src1_sel:DWORD
	v_pk_fma_f16 v21, v0, v10, v21
	v_pk_fma_f16 v0, v0, v24, v22
	;; [unrolled: 1-line block ×6, first 2 shown]
	ds_read_b128 v[4:7], v101 offset:192
	v_mul_u32_u24_sdwa v9, v27, s2 dst_sel:DWORD dst_unused:UNUSED_PAD src0_sel:WORD_0 src1_sel:DWORD
	v_mul_u32_u24_sdwa v10, v27, s2 dst_sel:DWORD dst_unused:UNUSED_PAD src0_sel:WORD_1 src1_sel:DWORD
	v_pk_fma_f16 v21, v2, v9, v21
	v_pk_fma_f16 v24, v2, v10, v0
	;; [unrolled: 1-line block ×4, first 2 shown]
	ds_read2_b64 v[0:3], v23 offset0:96 offset1:124
	ds_read_b128 v[8:11], v101 offset:208
	s_waitcnt lgkmcnt(2)
	v_mul_u32_u24_sdwa v29, v4, s2 dst_sel:DWORD dst_unused:UNUSED_PAD src0_sel:WORD_0 src1_sel:DWORD
	v_mul_u32_u24_sdwa v4, v4, s2 dst_sel:DWORD dst_unused:UNUSED_PAD src0_sel:WORD_1 src1_sel:DWORD
	v_mul_u32_u24_sdwa v30, v5, s2 dst_sel:DWORD dst_unused:UNUSED_PAD src0_sel:WORD_0 src1_sel:DWORD
	v_mul_u32_u24_sdwa v5, v5, s2 dst_sel:DWORD dst_unused:UNUSED_PAD src0_sel:WORD_1 src1_sel:DWORD
	s_waitcnt lgkmcnt(1)
	v_pk_fma_f16 v22, v0, v29, v22
	v_pk_fma_f16 v20, v0, v4, v20
	;; [unrolled: 1-line block ×8, first 2 shown]
	v_mul_u32_u24_sdwa v5, v6, s2 dst_sel:DWORD dst_unused:UNUSED_PAD src0_sel:WORD_0 src1_sel:DWORD
	v_mul_u32_u24_sdwa v6, v6, s2 dst_sel:DWORD dst_unused:UNUSED_PAD src0_sel:WORD_1 src1_sel:DWORD
	v_mul_u32_u24_sdwa v26, v7, s2 dst_sel:DWORD dst_unused:UNUSED_PAD src0_sel:WORD_0 src1_sel:DWORD
	v_mul_u32_u24_sdwa v7, v7, s2 dst_sel:DWORD dst_unused:UNUSED_PAD src0_sel:WORD_1 src1_sel:DWORD
	v_pk_fma_f16 v22, v2, v5, v22
	v_pk_fma_f16 v20, v2, v6, v20
	;; [unrolled: 1-line block ×8, first 2 shown]
	ds_read2_b64 v[0:3], v23 offset0:152 offset1:180
	s_waitcnt lgkmcnt(1)
	v_mul_u32_u24_sdwa v24, v8, s2 dst_sel:DWORD dst_unused:UNUSED_PAD src0_sel:WORD_0 src1_sel:DWORD
	v_mul_u32_u24_sdwa v8, v8, s2 dst_sel:DWORD dst_unused:UNUSED_PAD src0_sel:WORD_1 src1_sel:DWORD
	v_mul_u32_u24_sdwa v25, v9, s2 dst_sel:DWORD dst_unused:UNUSED_PAD src0_sel:WORD_0 src1_sel:DWORD
	v_mul_u32_u24_sdwa v9, v9, s2 dst_sel:DWORD dst_unused:UNUSED_PAD src0_sel:WORD_1 src1_sel:DWORD
	s_waitcnt lgkmcnt(0)
	v_pk_fma_f16 v22, v0, v24, v22
	v_pk_fma_f16 v20, v0, v8, v20
	v_pk_fma_f16 v5, v1, v24, v5
	v_pk_fma_f16 v4, v1, v8, v4
	v_pk_fma_f16 v8, v1, v25, v6
	v_pk_fma_f16 v1, v1, v9, v7
	v_mul_u32_u24_sdwa v6, v10, s2 dst_sel:DWORD dst_unused:UNUSED_PAD src0_sel:WORD_0 src1_sel:DWORD
	v_mul_u32_u24_sdwa v7, v10, s2 dst_sel:DWORD dst_unused:UNUSED_PAD src0_sel:WORD_1 src1_sel:DWORD
	v_pk_fma_f16 v21, v0, v25, v21
	v_pk_fma_f16 v22, v2, v6, v22
	;; [unrolled: 1-line block ×5, first 2 shown]
	ds_read_b128 v[4:7], v101 offset:224
	v_pk_fma_f16 v0, v0, v9, v27
	v_mul_u32_u24_sdwa v9, v11, s2 dst_sel:DWORD dst_unused:UNUSED_PAD src0_sel:WORD_0 src1_sel:DWORD
	v_mul_u32_u24_sdwa v10, v11, s2 dst_sel:DWORD dst_unused:UNUSED_PAD src0_sel:WORD_1 src1_sel:DWORD
	v_pk_fma_f16 v21, v2, v9, v21
	v_pk_fma_f16 v24, v2, v10, v0
	;; [unrolled: 1-line block ×4, first 2 shown]
	ds_read2_b64 v[0:3], v23 offset0:208 offset1:236
	ds_read_b128 v[8:11], v101 offset:240
	s_waitcnt lgkmcnt(2)
	v_mul_u32_u24_sdwa v23, v4, s2 dst_sel:DWORD dst_unused:UNUSED_PAD src0_sel:WORD_0 src1_sel:DWORD
	v_mul_u32_u24_sdwa v4, v4, s2 dst_sel:DWORD dst_unused:UNUSED_PAD src0_sel:WORD_1 src1_sel:DWORD
	v_mul_u32_u24_sdwa v29, v5, s2 dst_sel:DWORD dst_unused:UNUSED_PAD src0_sel:WORD_0 src1_sel:DWORD
	v_mul_u32_u24_sdwa v5, v5, s2 dst_sel:DWORD dst_unused:UNUSED_PAD src0_sel:WORD_1 src1_sel:DWORD
	s_waitcnt lgkmcnt(1)
	v_pk_fma_f16 v22, v0, v23, v22
	v_pk_fma_f16 v20, v0, v4, v20
	v_pk_fma_f16 v21, v0, v29, v21
	v_pk_fma_f16 v0, v0, v5, v24
	v_pk_fma_f16 v23, v1, v23, v25
	v_mul_u32_u24_sdwa v25, v7, s2 dst_sel:DWORD dst_unused:UNUSED_PAD src0_sel:WORD_0 src1_sel:DWORD
	v_mul_u32_u24_sdwa v7, v7, s2 dst_sel:DWORD dst_unused:UNUSED_PAD src0_sel:WORD_1 src1_sel:DWORD
	v_pk_fma_f16 v4, v1, v4, v26
	v_pk_fma_f16 v24, v1, v29, v27
	;; [unrolled: 1-line block ×3, first 2 shown]
	v_mul_u32_u24_sdwa v5, v6, s2 dst_sel:DWORD dst_unused:UNUSED_PAD src0_sel:WORD_0 src1_sel:DWORD
	v_mul_u32_u24_sdwa v6, v6, s2 dst_sel:DWORD dst_unused:UNUSED_PAD src0_sel:WORD_1 src1_sel:DWORD
	v_pk_fma_f16 v26, v2, v7, v0
	v_add_u32_e32 v0, 0x2800, v114
	v_pk_fma_f16 v22, v2, v5, v22
	v_pk_fma_f16 v20, v2, v6, v20
	;; [unrolled: 1-line block ×7, first 2 shown]
	ds_read2_b64 v[0:3], v0 offset0:8 offset1:36
	s_waitcnt lgkmcnt(1)
	v_mul_u32_u24_sdwa v23, v8, s2 dst_sel:DWORD dst_unused:UNUSED_PAD src0_sel:WORD_0 src1_sel:DWORD
	v_mul_u32_u24_sdwa v8, v8, s2 dst_sel:DWORD dst_unused:UNUSED_PAD src0_sel:WORD_1 src1_sel:DWORD
	v_mul_u32_u24_sdwa v24, v9, s2 dst_sel:DWORD dst_unused:UNUSED_PAD src0_sel:WORD_0 src1_sel:DWORD
	v_mul_u32_u24_sdwa v9, v9, s2 dst_sel:DWORD dst_unused:UNUSED_PAD src0_sel:WORD_1 src1_sel:DWORD
	s_waitcnt lgkmcnt(0)
	v_pk_fma_f16 v22, v0, v23, v22
	v_pk_fma_f16 v20, v0, v8, v20
	;; [unrolled: 1-line block ×8, first 2 shown]
	v_mul_u32_u24_sdwa v7, v10, s2 dst_sel:DWORD dst_unused:UNUSED_PAD src0_sel:WORD_0 src1_sel:DWORD
	v_mul_u32_u24_sdwa v8, v10, s2 dst_sel:DWORD dst_unused:UNUSED_PAD src0_sel:WORD_1 src1_sel:DWORD
	v_mul_u32_u24_sdwa v9, v11, s2 dst_sel:DWORD dst_unused:UNUSED_PAD src0_sel:WORD_0 src1_sel:DWORD
	v_mul_u32_u24_sdwa v10, v11, s2 dst_sel:DWORD dst_unused:UNUSED_PAD src0_sel:WORD_1 src1_sel:DWORD
	v_pk_fma_f16 v121, v2, v7, v22
	v_pk_fma_f16 v122, v3, v7, v5
	;; [unrolled: 1-line block ×4, first 2 shown]
	v_mov_b64_e32 v[4:5], v[12:13]
	v_pk_fma_f16 v119, v2, v8, v20
	v_pk_fma_f16 v117, v2, v9, v21
	;; [unrolled: 1-line block ×4, first 2 shown]
	v_mov_b64_e32 v[6:7], v[14:15]
	s_barrier
.LBB56_99:
	v_cmp_lt_i32_e32 vcc, v97, v95
	s_cmp_eq_u64 s[44:45], 0
	s_cselect_b64 s[4:5], -1, 0
	v_cndmask_b32_e32 v0, v94, v97, vcc
	v_cmp_lt_i32_e32 vcc, v99, v95
	v_lshlrev_b32_e32 v3, 2, v0
	ds_bpermute_b32 v1, v3, v17
	v_cndmask_b32_e32 v0, v94, v99, vcc
	v_cmp_lt_i32_e32 vcc, v100, v95
	v_lshlrev_b32_e32 v11, 2, v0
	ds_bpermute_b32 v2, v3, v18
	v_cndmask_b32_e32 v0, v94, v100, vcc
	v_lshlrev_b32_e32 v12, 2, v0
	ds_bpermute_b32 v0, v3, v16
	ds_bpermute_b32 v3, v3, v19
	v_cmp_lt_i32_e32 vcc, v98, v95
	s_cmp_lg_u32 s3, 0
	s_cselect_b64 s[6:7], -1, 0
	s_waitcnt lgkmcnt(1)
	v_pk_add_f32 v[0:1], v[16:17], v[0:1]
	s_waitcnt lgkmcnt(0)
	v_pk_add_f32 v[2:3], v[18:19], v[2:3]
	ds_bpermute_b32 v8, v11, v0
	ds_bpermute_b32 v9, v11, v1
	;; [unrolled: 1-line block ×4, first 2 shown]
	v_cndmask_b32_e32 v13, v94, v98, vcc
	v_lshlrev_b32_e32 v13, 2, v13
	s_waitcnt lgkmcnt(2)
	v_pk_add_f32 v[0:1], v[0:1], v[8:9]
	ds_bpermute_b32 v8, v12, v0
	s_waitcnt lgkmcnt(1)
	v_pk_add_f32 v[2:3], v[2:3], v[10:11]
	ds_bpermute_b32 v9, v12, v1
	ds_bpermute_b32 v10, v12, v2
	;; [unrolled: 1-line block ×3, first 2 shown]
	v_cmp_lt_i32_e32 vcc, v96, v95
	s_or_b64 s[4:5], s[6:7], s[4:5]
	s_waitcnt lgkmcnt(2)
	v_pk_add_f32 v[0:1], v[0:1], v[8:9]
	ds_bpermute_b32 v8, v13, v0
	s_waitcnt lgkmcnt(1)
	v_pk_add_f32 v[2:3], v[2:3], v[10:11]
	ds_bpermute_b32 v9, v13, v1
	ds_bpermute_b32 v10, v13, v2
	;; [unrolled: 1-line block ×3, first 2 shown]
	v_cndmask_b32_e32 v12, v94, v96, vcc
	v_lshlrev_b32_e32 v13, 2, v12
	s_waitcnt lgkmcnt(2)
	v_pk_add_f32 v[0:1], v[0:1], v[8:9]
	ds_bpermute_b32 v8, v13, v0
	s_waitcnt lgkmcnt(1)
	v_pk_add_f32 v[10:11], v[2:3], v[10:11]
	ds_bpermute_b32 v9, v13, v1
	ds_bpermute_b32 v12, v13, v10
	;; [unrolled: 1-line block ×3, first 2 shown]
	s_and_b64 vcc, exec, s[4:5]
	s_waitcnt lgkmcnt(2)
	v_pk_add_f32 v[2:3], v[0:1], v[8:9]
	s_waitcnt lgkmcnt(0)
	v_pk_add_f32 v[0:1], v[10:11], v[12:13]
	s_cbranch_vccnz .LBB56_101
; %bb.100:
	s_lshl_b64 s[4:5], s[34:35], 2
	s_add_u32 s4, s44, s4
	s_addc_u32 s5, s45, s5
	v_mov_b32_e32 v8, 0
	global_load_dword v15, v8, s[4:5]
	v_max_f32_e32 v8, v4, v4
	v_max_f32_e32 v9, v5, v5
	s_mov_b32 s5, 0x3fb8aa3b
	v_max_f32_e32 v10, v6, v6
	s_mov_b32 s2, 0xc2ce8ed0
	s_mov_b32 s4, 0x42b17218
	v_mov_b32_e32 v16, 0x7f800000
	s_waitcnt vmcnt(0)
	v_max_f32_e32 v11, v15, v15
	v_max_f32_e32 v8, v8, v11
	v_sub_f32_e32 v4, v4, v8
	v_max_f32_e32 v9, v9, v11
	v_sub_f32_e32 v12, v15, v8
	v_mul_f32_e32 v17, 0x3fb8aa3b, v4
	v_sub_f32_e32 v5, v5, v9
	v_mul_f32_e32 v18, 0x3fb8aa3b, v12
	v_fma_f32 v23, v4, s5, -v17
	v_rndne_f32_e32 v24, v17
	v_max_f32_e32 v10, v10, v11
	v_sub_f32_e32 v13, v15, v9
	v_mul_f32_e32 v19, 0x3fb8aa3b, v5
	v_fma_f32 v25, v12, s5, -v18
	v_rndne_f32_e32 v26, v18
	v_fmac_f32_e32 v23, 0x32a5705f, v4
	v_sub_f32_e32 v17, v17, v24
	v_sub_f32_e32 v6, v6, v10
	v_mul_f32_e32 v20, 0x3fb8aa3b, v13
	v_fma_f32 v27, v5, s5, -v19
	v_rndne_f32_e32 v28, v19
	v_fmac_f32_e32 v25, 0x32a5705f, v12
	v_sub_f32_e32 v18, v18, v26
	v_add_f32_e32 v17, v17, v23
	v_mul_f32_e32 v21, 0x3fb8aa3b, v6
	v_fma_f32 v29, v13, s5, -v20
	v_rndne_f32_e32 v30, v20
	v_cvt_i32_f32_e32 v24, v24
	v_fmac_f32_e32 v27, 0x32a5705f, v5
	v_sub_f32_e32 v19, v19, v28
	v_add_f32_e32 v18, v18, v25
	v_exp_f32_e32 v17, v17
	v_fma_f32 v31, v6, s5, -v21
	v_rndne_f32_e32 v32, v21
	v_cvt_i32_f32_e32 v26, v26
	v_fmac_f32_e32 v29, 0x32a5705f, v13
	v_sub_f32_e32 v20, v20, v30
	v_add_f32_e32 v19, v19, v27
	v_exp_f32_e32 v18, v18
	v_cvt_i32_f32_e32 v28, v28
	v_fmac_f32_e32 v31, 0x32a5705f, v6
	v_sub_f32_e32 v21, v21, v32
	v_add_f32_e32 v20, v20, v29
	v_exp_f32_e32 v19, v19
	v_cvt_i32_f32_e32 v30, v30
	v_add_f32_e32 v21, v21, v31
	v_exp_f32_e32 v20, v20
	v_cvt_i32_f32_e32 v32, v32
	v_exp_f32_e32 v21, v21
	v_ldexp_f32 v17, v17, v24
	v_cmp_ngt_f32_e32 vcc, s2, v4
	v_ldexp_f32 v18, v18, v26
	v_ldexp_f32 v19, v19, v28
	v_cndmask_b32_e32 v17, 0, v17, vcc
	v_cmp_ngt_f32_e32 vcc, s2, v12
	v_ldexp_f32 v20, v20, v30
	v_ldexp_f32 v21, v21, v32
	v_cndmask_b32_e32 v18, 0, v18, vcc
	v_cmp_ngt_f32_e32 vcc, s2, v5
	v_sub_f32_e32 v14, v15, v10
	v_mul_f32_e32 v22, 0x3fb8aa3b, v14
	v_cndmask_b32_e32 v19, 0, v19, vcc
	v_cmp_ngt_f32_e32 vcc, s2, v13
	v_fma_f32 v33, v14, s5, -v22
	v_rndne_f32_e32 v34, v22
	v_cndmask_b32_e32 v20, 0, v20, vcc
	v_cmp_ngt_f32_e32 vcc, s2, v6
	v_fmac_f32_e32 v33, 0x32a5705f, v14
	v_sub_f32_e32 v22, v22, v34
	v_cndmask_b32_e32 v21, 0, v21, vcc
	v_cmp_nlt_f32_e32 vcc, s4, v4
	v_add_f32_e32 v22, v22, v33
	v_cvt_i32_f32_e32 v34, v34
	v_cndmask_b32_e32 v4, v16, v17, vcc
	v_cmp_nlt_f32_e32 vcc, s4, v12
	v_cvt_f16_f32_e32 v17, v4
	v_exp_f32_e32 v22, v22
	v_cndmask_b32_e32 v12, v16, v18, vcc
	v_cmp_nlt_f32_e32 vcc, s4, v5
	v_mul_u32_u24_e32 v17, 0x10001, v17
	v_pk_mul_f16 v121, v121, v17
	v_cndmask_b32_e32 v5, v16, v19, vcc
	v_cvt_f16_f32_e32 v18, v5
	v_cmp_nlt_f32_e32 vcc, s4, v13
	v_pk_mul_f16 v122, v122, v17
	v_ldexp_f32 v17, v22, v34
	v_mul_u32_u24_e32 v18, 0x10001, v18
	v_pk_mul_f16 v119, v119, v18
	v_pk_mul_f16 v120, v120, v18
	v_max_f32_e32 v18, v7, v7
	v_max_f32_e32 v11, v18, v11
	v_sub_f32_e32 v7, v7, v11
	v_cndmask_b32_e32 v13, v16, v20, vcc
	v_cmp_nlt_f32_e32 vcc, s4, v6
	v_mul_f32_e32 v18, 0x3fb8aa3b, v7
	v_fma_f32 v19, v7, s5, -v18
	v_cndmask_b32_e32 v6, v16, v21, vcc
	v_cmp_ngt_f32_e32 vcc, s2, v14
	v_rndne_f32_e32 v20, v18
	v_fmac_f32_e32 v19, 0x32a5705f, v7
	v_cndmask_b32_e32 v17, 0, v17, vcc
	v_cmp_nlt_f32_e32 vcc, s4, v14
	v_sub_f32_e32 v18, v18, v20
	v_add_f32_e32 v18, v18, v19
	v_cndmask_b32_e32 v14, v16, v17, vcc
	v_cvt_f16_f32_e32 v17, v6
	v_exp_f32_e32 v18, v18
	v_cvt_i32_f32_e32 v19, v20
	v_sub_f32_e32 v15, v15, v11
	v_mul_u32_u24_e32 v17, 0x10001, v17
	v_pk_mul_f16 v117, v117, v17
	v_pk_mul_f16 v118, v118, v17
	v_ldexp_f32 v17, v18, v19
	v_mul_f32_e32 v18, 0x3fb8aa3b, v15
	v_fma_f32 v19, v15, s5, -v18
	v_rndne_f32_e32 v20, v18
	v_fmac_f32_e32 v19, 0x32a5705f, v15
	v_sub_f32_e32 v18, v18, v20
	v_add_f32_e32 v18, v18, v19
	v_exp_f32_e32 v18, v18
	v_cvt_i32_f32_e32 v19, v20
	v_cmp_ngt_f32_e32 vcc, s2, v7
	v_pk_fma_f32 v[2:3], v[2:3], v[4:5], v[12:13]
	s_nop 0
	v_cndmask_b32_e32 v17, 0, v17, vcc
	v_cmp_nlt_f32_e32 vcc, s4, v7
	s_nop 1
	v_cndmask_b32_e32 v7, v16, v17, vcc
	v_ldexp_f32 v17, v18, v19
	v_cvt_f16_f32_e32 v18, v7
	v_cmp_ngt_f32_e32 vcc, s2, v15
	s_nop 1
	v_cndmask_b32_e32 v17, 0, v17, vcc
	v_cmp_nlt_f32_e32 vcc, s4, v15
	s_nop 1
	v_cndmask_b32_e32 v15, v16, v17, vcc
	v_mul_u32_u24_e32 v16, 0x10001, v18
	v_pk_fma_f32 v[0:1], v[0:1], v[6:7], v[14:15]
	v_mov_b64_e32 v[4:5], v[8:9]
	v_pk_mul_f16 v115, v115, v16
	v_pk_mul_f16 v116, v116, v16
	v_mov_b64_e32 v[6:7], v[10:11]
.LBB56_101:
	v_cmp_gt_i32_e32 vcc, s54, v113
	s_and_saveexec_b64 s[4:5], vcc
	s_cbranch_execz .LBB56_129
; %bb.102:
	s_load_dword s2, s[0:1], 0xd4
	v_mov_b32_e32 v8, 1.0
	s_waitcnt lgkmcnt(0)
	s_cmp_lg_u32 s2, 1
	s_cselect_b64 s[0:1], -1, 0
	s_cmp_eq_u32 s2, 1
	s_cselect_b64 s[6:7], -1, 0
	s_and_b64 vcc, exec, s[0:1]
	s_cbranch_vccnz .LBB56_104
; %bb.103:
	v_div_scale_f32 v8, s[4:5], v2, v2, 1.0
	v_rcp_f32_e32 v9, v8
	v_div_scale_f32 v10, vcc, 1.0, v2, 1.0
	v_fma_f32 v11, -v8, v9, 1.0
	v_fmac_f32_e32 v9, v11, v9
	v_mul_f32_e32 v11, v10, v9
	v_fma_f32 v12, -v8, v11, v10
	v_fmac_f32_e32 v11, v12, v9
	v_fma_f32 v8, -v8, v11, v10
	v_div_fmas_f32 v8, v8, v9, v11
	v_div_fixup_f32 v8, v8, v2, 1.0
.LBB56_104:
	s_mul_i32 s8, s33, s54
	s_add_i32 s8, s8, s42
	v_add_u32_e32 v9, s8, v111
	v_mul_lo_u32 v9, v9, s55
	v_add_u32_e32 v9, s34, v9
	v_mul_lo_u32 v9, s2, v9
	v_add_u32_e32 v10, s3, v9
	s_and_saveexec_b64 s[4:5], s[30:31]
	s_cbranch_execz .LBB56_106
; %bb.105:
	v_cvt_f32_f16_sdwa v15, v121 dst_sel:DWORD dst_unused:UNUSED_PAD src0_sel:WORD_1
	v_cvt_f32_f16_e32 v14, v121
	v_cvt_f32_f16_sdwa v17, v122 dst_sel:DWORD dst_unused:UNUSED_PAD src0_sel:WORD_1
	v_cvt_f32_f16_e32 v16, v122
	s_movk_i32 s9, 0x70
	v_mad_u64_u32 v[12:13], s[10:11], v10, s9, v[76:77]
	v_mov_b32_e32 v13, 0
	v_lshl_add_u64 v[18:19], v[12:13], 2, s[48:49]
	v_pk_mul_f32 v[12:13], v[8:9], v[14:15] op_sel_hi:[0,1]
	v_pk_mul_f32 v[14:15], v[8:9], v[16:17] op_sel_hi:[0,1]
	global_store_dwordx4 v[18:19], v[12:15], off
.LBB56_106:
	s_or_b64 exec, exec, s[4:5]
	v_cmp_eq_u32_e32 vcc, 0, v109
	s_and_b64 s[4:5], vcc, s[0:1]
	s_and_saveexec_b64 s[0:1], s[4:5]
	s_cbranch_execz .LBB56_108
; %bb.107:
	v_ashrrev_i32_e32 v11, 31, v10
	v_lshl_add_u64 v[8:9], v[10:11], 3, s[50:51]
	v_mov_b32_e32 v10, v4
	v_mov_b32_e32 v11, v2
	global_store_dwordx2 v[8:9], v[10:11], off
.LBB56_108:
	s_or_b64 exec, exec, s[0:1]
	v_cmp_gt_i32_e32 vcc, s54, v112
	s_and_b64 exec, exec, vcc
	s_cbranch_execz .LBB56_129
; %bb.109:
	v_cndmask_b32_e64 v2, 0, 1, s[6:7]
	v_cmp_ne_u32_e64 s[0:1], 1, v2
	s_andn2_b64 vcc, exec, s[6:7]
	v_mov_b32_e32 v2, 1.0
	s_cbranch_vccnz .LBB56_111
; %bb.110:
	v_div_scale_f32 v2, s[6:7], v3, v3, 1.0
	v_rcp_f32_e32 v4, v2
	v_div_scale_f32 v8, vcc, 1.0, v3, 1.0
	v_fma_f32 v9, -v2, v4, 1.0
	v_fmac_f32_e32 v4, v9, v4
	v_mul_f32_e32 v9, v8, v4
	v_fma_f32 v10, -v2, v9, v8
	v_fmac_f32_e32 v9, v10, v4
	v_fma_f32 v2, -v2, v9, v8
	v_div_fmas_f32 v2, v2, v4, v9
	v_div_fixup_f32 v2, v2, v3, 1.0
.LBB56_111:
	v_add_u32_e32 v4, s8, v110
	v_mul_lo_u32 v4, v4, s55
	v_add_u32_e32 v4, s34, v4
	v_mul_lo_u32 v4, s2, v4
	v_add_u32_e32 v8, s3, v4
	s_and_saveexec_b64 s[6:7], s[30:31]
	s_cbranch_execz .LBB56_113
; %bb.112:
	v_cvt_f32_f16_sdwa v13, v119 dst_sel:DWORD dst_unused:UNUSED_PAD src0_sel:WORD_1
	v_cvt_f32_f16_e32 v12, v119
	v_cvt_f32_f16_sdwa v15, v120 dst_sel:DWORD dst_unused:UNUSED_PAD src0_sel:WORD_1
	v_cvt_f32_f16_e32 v14, v120
	s_movk_i32 s9, 0x70
	v_mad_u64_u32 v[10:11], s[10:11], v8, s9, v[76:77]
	v_mov_b32_e32 v11, 0
	v_lshl_add_u64 v[16:17], v[10:11], 2, s[48:49]
	v_pk_mul_f32 v[10:11], v[2:3], v[12:13] op_sel_hi:[0,1]
	v_pk_mul_f32 v[12:13], v[2:3], v[14:15] op_sel_hi:[0,1]
	global_store_dwordx4 v[16:17], v[10:13], off
.LBB56_113:
	s_or_b64 exec, exec, s[6:7]
	s_and_saveexec_b64 s[6:7], s[4:5]
	s_cbranch_execz .LBB56_115
; %bb.114:
	v_ashrrev_i32_e32 v9, 31, v8
	v_lshl_add_u64 v[8:9], v[8:9], 3, s[50:51]
	v_mov_b32_e32 v2, v5
	global_store_dwordx2 v[8:9], v[2:3], off
.LBB56_115:
	s_or_b64 exec, exec, s[6:7]
	v_add_u32_e32 v2, s42, v108
	v_cmp_gt_i32_e32 vcc, s54, v2
	s_and_b64 exec, exec, vcc
	s_cbranch_execz .LBB56_129
; %bb.116:
	s_and_b64 vcc, exec, s[0:1]
	v_mov_b32_e32 v4, 1.0
	s_cbranch_vccnz .LBB56_118
; %bb.117:
	v_div_scale_f32 v2, s[6:7], v0, v0, 1.0
	v_rcp_f32_e32 v3, v2
	v_div_scale_f32 v4, vcc, 1.0, v0, 1.0
	v_fma_f32 v5, -v2, v3, 1.0
	v_fmac_f32_e32 v3, v5, v3
	v_mul_f32_e32 v5, v4, v3
	v_fma_f32 v8, -v2, v5, v4
	v_fmac_f32_e32 v5, v8, v3
	v_fma_f32 v2, -v2, v5, v4
	v_div_fmas_f32 v2, v2, v3, v5
	v_div_fixup_f32 v4, v2, v0, 1.0
.LBB56_118:
	v_add_u32_e32 v2, s8, v108
	v_mul_lo_u32 v2, v2, s55
	v_add_u32_e32 v2, s34, v2
	v_mul_lo_u32 v2, s2, v2
	v_add_u32_e32 v2, s3, v2
	s_and_saveexec_b64 s[6:7], s[30:31]
	s_cbranch_execz .LBB56_120
; %bb.119:
	v_cvt_f32_f16_sdwa v11, v117 dst_sel:DWORD dst_unused:UNUSED_PAD src0_sel:WORD_1
	v_cvt_f32_f16_e32 v10, v117
	v_cvt_f32_f16_sdwa v13, v118 dst_sel:DWORD dst_unused:UNUSED_PAD src0_sel:WORD_1
	v_cvt_f32_f16_e32 v12, v118
	s_movk_i32 s9, 0x70
	v_mad_u64_u32 v[8:9], s[10:11], v2, s9, v[76:77]
	v_mov_b32_e32 v9, 0
	v_lshl_add_u64 v[14:15], v[8:9], 2, s[48:49]
	v_pk_mul_f32 v[8:9], v[4:5], v[10:11] op_sel_hi:[0,1]
	v_pk_mul_f32 v[10:11], v[4:5], v[12:13] op_sel_hi:[0,1]
	global_store_dwordx4 v[14:15], v[8:11], off
.LBB56_120:
	s_or_b64 exec, exec, s[6:7]
	s_and_saveexec_b64 s[6:7], s[4:5]
	s_cbranch_execz .LBB56_122
; %bb.121:
	v_ashrrev_i32_e32 v3, 31, v2
	v_lshl_add_u64 v[2:3], v[2:3], 3, s[50:51]
	v_mov_b32_e32 v4, v6
	v_mov_b32_e32 v5, v0
	global_store_dwordx2 v[2:3], v[4:5], off
.LBB56_122:
	s_or_b64 exec, exec, s[6:7]
	v_add_u32_e32 v0, s42, v77
	v_cmp_gt_i32_e32 vcc, s54, v0
	s_and_b64 exec, exec, vcc
	s_cbranch_execz .LBB56_129
; %bb.123:
	s_and_b64 vcc, exec, s[0:1]
	v_mov_b32_e32 v0, 1.0
	s_cbranch_vccnz .LBB56_125
; %bb.124:
	v_div_scale_f32 v0, s[0:1], v1, v1, 1.0
	v_rcp_f32_e32 v2, v0
	v_div_scale_f32 v3, vcc, 1.0, v1, 1.0
	v_fma_f32 v4, -v0, v2, 1.0
	v_fmac_f32_e32 v2, v4, v2
	v_mul_f32_e32 v4, v3, v2
	v_fma_f32 v5, -v0, v4, v3
	v_fmac_f32_e32 v4, v5, v2
	v_fma_f32 v0, -v0, v4, v3
	v_div_fmas_f32 v0, v0, v2, v4
	v_div_fixup_f32 v0, v0, v1, 1.0
.LBB56_125:
	v_add_u32_e32 v2, s8, v77
	v_mul_lo_u32 v2, v2, s55
	v_add_u32_e32 v2, s34, v2
	v_mul_lo_u32 v2, s2, v2
	v_add_u32_e32 v2, s3, v2
	s_and_saveexec_b64 s[0:1], s[30:31]
	s_cbranch_execz .LBB56_127
; %bb.126:
	v_cvt_f32_f16_sdwa v9, v115 dst_sel:DWORD dst_unused:UNUSED_PAD src0_sel:WORD_1
	v_cvt_f32_f16_e32 v8, v115
	v_cvt_f32_f16_sdwa v11, v116 dst_sel:DWORD dst_unused:UNUSED_PAD src0_sel:WORD_1
	v_cvt_f32_f16_e32 v10, v116
	s_movk_i32 s2, 0x70
	v_mad_u64_u32 v[4:5], s[2:3], v2, s2, v[76:77]
	v_mov_b32_e32 v5, 0
	v_lshl_add_u64 v[4:5], v[4:5], 2, s[48:49]
	v_pk_mul_f32 v[8:9], v[0:1], v[8:9] op_sel_hi:[0,1]
	v_pk_mul_f32 v[10:11], v[0:1], v[10:11] op_sel_hi:[0,1]
	global_store_dwordx4 v[4:5], v[8:11], off
.LBB56_127:
	s_or_b64 exec, exec, s[0:1]
	s_and_b64 exec, exec, s[4:5]
	s_cbranch_execz .LBB56_129
; %bb.128:
	v_ashrrev_i32_e32 v3, 31, v2
	v_lshl_add_u64 v[2:3], v[2:3], 3, s[50:51]
	v_mov_b32_e32 v0, v7
	global_store_dwordx2 v[2:3], v[0:1], off
.LBB56_129:
	s_endpgm
	.section	.rodata,"a",@progbits
	.p2align	6, 0x0
	.amdhsa_kernel _ZL15flash_attn_tileILi112ELi112ELi32ELi1ELb0EEvPKcS1_S1_S1_S1_PKiPfP15HIP_vector_typeIfLj2EEffffjfiS5_IjLj3EEiiiiiiiiiiiliiliiiiil
		.amdhsa_group_segment_fixed_size 13376
		.amdhsa_private_segment_fixed_size 32
		.amdhsa_kernarg_size 464
		.amdhsa_user_sgpr_count 2
		.amdhsa_user_sgpr_dispatch_ptr 0
		.amdhsa_user_sgpr_queue_ptr 0
		.amdhsa_user_sgpr_kernarg_segment_ptr 1
		.amdhsa_user_sgpr_dispatch_id 0
		.amdhsa_user_sgpr_kernarg_preload_length 0
		.amdhsa_user_sgpr_kernarg_preload_offset 0
		.amdhsa_user_sgpr_private_segment_size 0
		.amdhsa_uses_dynamic_stack 0
		.amdhsa_enable_private_segment 1
		.amdhsa_system_sgpr_workgroup_id_x 1
		.amdhsa_system_sgpr_workgroup_id_y 1
		.amdhsa_system_sgpr_workgroup_id_z 1
		.amdhsa_system_sgpr_workgroup_info 0
		.amdhsa_system_vgpr_workitem_id 1
		.amdhsa_next_free_vgpr 182
		.amdhsa_next_free_sgpr 64
		.amdhsa_accum_offset 184
		.amdhsa_reserve_vcc 1
		.amdhsa_float_round_mode_32 0
		.amdhsa_float_round_mode_16_64 0
		.amdhsa_float_denorm_mode_32 3
		.amdhsa_float_denorm_mode_16_64 3
		.amdhsa_dx10_clamp 1
		.amdhsa_ieee_mode 1
		.amdhsa_fp16_overflow 0
		.amdhsa_tg_split 0
		.amdhsa_exception_fp_ieee_invalid_op 0
		.amdhsa_exception_fp_denorm_src 0
		.amdhsa_exception_fp_ieee_div_zero 0
		.amdhsa_exception_fp_ieee_overflow 0
		.amdhsa_exception_fp_ieee_underflow 0
		.amdhsa_exception_fp_ieee_inexact 0
		.amdhsa_exception_int_div_zero 0
	.end_amdhsa_kernel
	.section	.text._ZL15flash_attn_tileILi112ELi112ELi32ELi1ELb0EEvPKcS1_S1_S1_S1_PKiPfP15HIP_vector_typeIfLj2EEffffjfiS5_IjLj3EEiiiiiiiiiiiliiliiiiil,"axG",@progbits,_ZL15flash_attn_tileILi112ELi112ELi32ELi1ELb0EEvPKcS1_S1_S1_S1_PKiPfP15HIP_vector_typeIfLj2EEffffjfiS5_IjLj3EEiiiiiiiiiiiliiliiiiil,comdat
.Lfunc_end56:
	.size	_ZL15flash_attn_tileILi112ELi112ELi32ELi1ELb0EEvPKcS1_S1_S1_S1_PKiPfP15HIP_vector_typeIfLj2EEffffjfiS5_IjLj3EEiiiiiiiiiiiliiliiiiil, .Lfunc_end56-_ZL15flash_attn_tileILi112ELi112ELi32ELi1ELb0EEvPKcS1_S1_S1_S1_PKiPfP15HIP_vector_typeIfLj2EEffffjfiS5_IjLj3EEiiiiiiiiiiiliiliiiiil
                                        ; -- End function
	.set _ZL15flash_attn_tileILi112ELi112ELi32ELi1ELb0EEvPKcS1_S1_S1_S1_PKiPfP15HIP_vector_typeIfLj2EEffffjfiS5_IjLj3EEiiiiiiiiiiiliiliiiiil.num_vgpr, 182
	.set _ZL15flash_attn_tileILi112ELi112ELi32ELi1ELb0EEvPKcS1_S1_S1_S1_PKiPfP15HIP_vector_typeIfLj2EEffffjfiS5_IjLj3EEiiiiiiiiiiiliiliiiiil.num_agpr, 0
	.set _ZL15flash_attn_tileILi112ELi112ELi32ELi1ELb0EEvPKcS1_S1_S1_S1_PKiPfP15HIP_vector_typeIfLj2EEffffjfiS5_IjLj3EEiiiiiiiiiiiliiliiiiil.numbered_sgpr, 64
	.set _ZL15flash_attn_tileILi112ELi112ELi32ELi1ELb0EEvPKcS1_S1_S1_S1_PKiPfP15HIP_vector_typeIfLj2EEffffjfiS5_IjLj3EEiiiiiiiiiiiliiliiiiil.num_named_barrier, 0
	.set _ZL15flash_attn_tileILi112ELi112ELi32ELi1ELb0EEvPKcS1_S1_S1_S1_PKiPfP15HIP_vector_typeIfLj2EEffffjfiS5_IjLj3EEiiiiiiiiiiiliiliiiiil.private_seg_size, 32
	.set _ZL15flash_attn_tileILi112ELi112ELi32ELi1ELb0EEvPKcS1_S1_S1_S1_PKiPfP15HIP_vector_typeIfLj2EEffffjfiS5_IjLj3EEiiiiiiiiiiiliiliiiiil.uses_vcc, 1
	.set _ZL15flash_attn_tileILi112ELi112ELi32ELi1ELb0EEvPKcS1_S1_S1_S1_PKiPfP15HIP_vector_typeIfLj2EEffffjfiS5_IjLj3EEiiiiiiiiiiiliiliiiiil.uses_flat_scratch, 0
	.set _ZL15flash_attn_tileILi112ELi112ELi32ELi1ELb0EEvPKcS1_S1_S1_S1_PKiPfP15HIP_vector_typeIfLj2EEffffjfiS5_IjLj3EEiiiiiiiiiiiliiliiiiil.has_dyn_sized_stack, 0
	.set _ZL15flash_attn_tileILi112ELi112ELi32ELi1ELb0EEvPKcS1_S1_S1_S1_PKiPfP15HIP_vector_typeIfLj2EEffffjfiS5_IjLj3EEiiiiiiiiiiiliiliiiiil.has_recursion, 0
	.set _ZL15flash_attn_tileILi112ELi112ELi32ELi1ELb0EEvPKcS1_S1_S1_S1_PKiPfP15HIP_vector_typeIfLj2EEffffjfiS5_IjLj3EEiiiiiiiiiiiliiliiiiil.has_indirect_call, 0
	.section	.AMDGPU.csdata,"",@progbits
; Kernel info:
; codeLenInByte = 28992
; TotalNumSgprs: 70
; NumVgprs: 182
; NumAgprs: 0
; TotalNumVgprs: 182
; ScratchSize: 32
; MemoryBound: 0
; FloatMode: 240
; IeeeMode: 1
; LDSByteSize: 13376 bytes/workgroup (compile time only)
; SGPRBlocks: 8
; VGPRBlocks: 22
; NumSGPRsForWavesPerEU: 70
; NumVGPRsForWavesPerEU: 182
; AccumOffset: 184
; Occupancy: 2
; WaveLimiterHint : 1
; COMPUTE_PGM_RSRC2:SCRATCH_EN: 1
; COMPUTE_PGM_RSRC2:USER_SGPR: 2
; COMPUTE_PGM_RSRC2:TRAP_HANDLER: 0
; COMPUTE_PGM_RSRC2:TGID_X_EN: 1
; COMPUTE_PGM_RSRC2:TGID_Y_EN: 1
; COMPUTE_PGM_RSRC2:TGID_Z_EN: 1
; COMPUTE_PGM_RSRC2:TIDIG_COMP_CNT: 1
; COMPUTE_PGM_RSRC3_GFX90A:ACCUM_OFFSET: 45
; COMPUTE_PGM_RSRC3_GFX90A:TG_SPLIT: 0
	.section	.text._ZL33flash_attn_stream_k_fixup_uniformILi112ELi32ELi1EEvPfPK15HIP_vector_typeIfLj2EEiiiiiiS1_IjLj3EES5_S5_,"axG",@progbits,_ZL33flash_attn_stream_k_fixup_uniformILi112ELi32ELi1EEvPfPK15HIP_vector_typeIfLj2EEiiiiiiS1_IjLj3EES5_S5_,comdat
	.globl	_ZL33flash_attn_stream_k_fixup_uniformILi112ELi32ELi1EEvPfPK15HIP_vector_typeIfLj2EEiiiiiiS1_IjLj3EES5_S5_ ; -- Begin function _ZL33flash_attn_stream_k_fixup_uniformILi112ELi32ELi1EEvPfPK15HIP_vector_typeIfLj2EEiiiiiiS1_IjLj3EES5_S5_
	.p2align	8
	.type	_ZL33flash_attn_stream_k_fixup_uniformILi112ELi32ELi1EEvPfPK15HIP_vector_typeIfLj2EEiiiiiiS1_IjLj3EES5_S5_,@function
_ZL33flash_attn_stream_k_fixup_uniformILi112ELi32ELi1EEvPfPK15HIP_vector_typeIfLj2EEiiiiiiS1_IjLj3EES5_S5_: ; @_ZL33flash_attn_stream_k_fixup_uniformILi112ELi32ELi1EEvPfPK15HIP_vector_typeIfLj2EEiiiiiiS1_IjLj3EES5_S5_
; %bb.0:
	s_load_dwordx8 s[8:15], s[0:1], 0x1c
	s_load_dwordx2 s[6:7], s[0:1], 0x10
	s_load_dwordx4 s[16:19], s[0:1], 0x3c
	s_waitcnt lgkmcnt(0)
	s_mul_hi_u32 s5, s11, s2
	s_add_i32 s5, s2, s5
	s_lshr_b32 s5, s5, s12
	s_mul_i32 s11, s5, s13
	s_sub_i32 s12, s2, s11
	s_mul_hi_u32 s11, s12, s14
	s_add_i32 s11, s12, s11
	s_lshr_b32 s11, s11, s15
	s_mul_i32 s13, s11, s16
	s_sub_i32 s12, s12, s13
	;; [unrolled: 5-line block ×3, first 2 shown]
	s_lshl_b32 s12, s17, 5
	s_add_i32 s12, s12, s3
	s_cmp_lt_i32 s12, s6
	s_cselect_b64 s[12:13], -1, 0
	s_add_i32 s16, s16, s4
	s_cmp_lt_i32 s16, s9
	s_cselect_b64 s[14:15], -1, 0
	s_and_b64 s[12:13], s[12:13], s[14:15]
	s_andn2_b64 vcc, exec, s[12:13]
	s_cbranch_vccnz .LBB57_6
; %bb.1:
	s_load_dwordx4 s[12:15], s[0:1], 0x0
	s_mul_i32 s0, s5, s6
	s_mul_i32 s11, s11, s9
	s_add_i32 s0, s0, s3
	s_mul_i32 s0, s0, s7
	s_add_i32 s5, s16, s11
	;; [unrolled: 2-line block ×3, first 2 shown]
	s_mulk_i32 s1, 0xe00
	s_mulk_i32 s0, 0x70
	s_add_i32 s0, s0, s1
	v_add_u32_e32 v4, s0, v0
	s_waitcnt lgkmcnt(0)
	v_mov_b32_e32 v2, s12
	v_mov_b32_e32 v3, s13
	v_ashrrev_i32_e32 v5, 31, v4
	v_lshl_add_u64 v[2:3], v[4:5], 2, v[2:3]
	global_load_dword v5, v[2:3], off
	s_mul_i32 s6, s10, s2
	s_add_i32 s7, s6, s10
	s_add_i32 s3, s3, s4
	s_lshl_b32 s0, s7, 5
	s_add_i32 s0, s3, s0
	s_sub_i32 s0, s0, 32
	s_ashr_i32 s1, s0, 31
	s_lshl_b64 s[0:1], s[0:1], 3
	s_add_u32 s0, s14, s0
	s_addc_u32 s1, s15, s1
	s_load_dword s9, s[0:1], 0x4
	s_add_i32 s4, s7, -2
	s_cmp_lt_i32 s4, s6
	s_cbranch_scc1 .LBB57_4
; %bb.2:
	s_lshl_b32 s4, s8, 7
	s_ashr_i32 s5, s4, 31
	s_lshl_b64 s[4:5], s[4:5], 2
	s_add_u32 s4, s14, s4
	s_addc_u32 s5, s15, s5
	s_load_dword s0, s[0:1], 0x0
	s_add_i32 s2, s2, 1
	s_mul_i32 s10, s10, s2
	s_mul_i32 s1, s3, 0x70
	s_lshl_b32 s2, s10, 5
	s_mulk_i32 s10, 0xe00
	s_add_i32 s2, s3, s2
	s_lshl_b32 s3, s8, 5
	s_add_i32 s1, s1, s10
	s_add_i32 s2, s2, s3
	v_add_u32_e32 v0, s1, v0
	s_add_i32 s7, s7, -1
	s_sub_i32 s2, s2, 64
	v_add_u32_e32 v0, 0xffffe400, v0
	s_waitcnt lgkmcnt(0)
	v_mov_b32_e32 v7, s0
	v_mov_b32_e32 v4, s9
	s_mov_b32 s8, 0x3fb8aa3b
	s_mov_b32 s9, 0xc2ce8ed0
	;; [unrolled: 1-line block ×3, first 2 shown]
	v_mov_b32_e32 v6, 0x7f800000
	s_mov_b32 s11, 0xc1a00000
.LBB57_3:                               ; =>This Inner Loop Header: Depth=1
	v_ashrrev_i32_e32 v1, 31, v0
	v_lshl_add_u64 v[8:9], v[0:1], 2, s[4:5]
	global_load_dword v9, v[8:9], off
	s_ashr_i32 s3, s2, 31
	s_lshl_b64 s[0:1], s[2:3], 3
	s_add_u32 s0, s14, s0
	s_addc_u32 s1, s15, s1
	s_load_dwordx2 s[0:1], s[0:1], 0x0
	v_max_f32_e32 v1, v7, v7
	s_add_i32 s7, s7, -1
	s_sub_i32 s2, s2, 32
	v_add_u32_e32 v0, 0xfffff200, v0
	s_waitcnt lgkmcnt(0)
	v_max_f32_e64 v10, s0, s0
	v_max_f32_e32 v1, v1, v10
	v_sub_f32_e32 v11, s0, v1
	v_sub_f32_e32 v10, v7, v1
	v_mul_f32_e32 v12, 0x3fb8aa3b, v11
	v_mov_b32_e32 v7, v1
	v_mul_f32_e32 v1, 0x3fb8aa3b, v10
	v_fma_f32 v15, v11, s8, -v12
	v_rndne_f32_e32 v16, v12
	v_fma_f32 v13, v10, s8, -v1
	v_rndne_f32_e32 v14, v1
	v_fmac_f32_e32 v15, 0x32a5705f, v11
	v_sub_f32_e32 v12, v12, v16
	v_fmac_f32_e32 v13, 0x32a5705f, v10
	v_sub_f32_e32 v1, v1, v14
	v_add_f32_e32 v12, v12, v15
	v_cvt_i32_f32_e32 v16, v16
	v_add_f32_e32 v1, v1, v13
	v_exp_f32_e32 v12, v12
	v_cvt_i32_f32_e32 v14, v14
	v_exp_f32_e32 v1, v1
	v_cmp_ngt_f32_e32 vcc, s9, v11
	v_ldexp_f32 v12, v12, v16
	v_mov_b32_e32 v8, s1
	v_ldexp_f32 v1, v1, v14
	v_cmp_ngt_f32_e64 s[0:1], s9, v10
	v_cndmask_b32_e32 v12, 0, v12, vcc
	v_cmp_nlt_f32_e32 vcc, s10, v11
	v_cndmask_b32_e64 v1, 0, v1, s[0:1]
	v_cmp_nlt_f32_e64 s[0:1], s10, v10
	v_cndmask_b32_e32 v12, v6, v12, vcc
	v_cmp_le_f32_e32 vcc, s11, v11
	v_cndmask_b32_e64 v1, v6, v1, s[0:1]
	v_cmp_le_f32_e64 s[0:1], s11, v10
	v_cndmask_b32_e32 v12, 0, v12, vcc
	s_cmp_le_i32 s7, s6
	v_cndmask_b32_e64 v10, 0, v1, s[0:1]
	s_waitcnt vmcnt(0)
	v_pk_mul_f32 v[8:9], v[8:9], v[12:13] op_sel_hi:[1,0]
	s_nop 0
	v_pk_fma_f32 v[4:5], v[4:5], v[10:11], v[8:9] op_sel_hi:[1,0,1]
	s_cbranch_scc0 .LBB57_3
	s_branch .LBB57_5
.LBB57_4:
	s_waitcnt lgkmcnt(0)
	v_mov_b32_e32 v4, s9
.LBB57_5:
	s_waitcnt vmcnt(0)
	v_div_scale_f32 v0, s[0:1], v4, v4, v5
	v_rcp_f32_e32 v1, v0
	v_div_scale_f32 v6, vcc, v5, v4, v5
	v_fma_f32 v7, -v0, v1, 1.0
	v_fmac_f32_e32 v1, v7, v1
	v_mul_f32_e32 v7, v6, v1
	v_fma_f32 v8, -v0, v7, v6
	v_fmac_f32_e32 v7, v8, v1
	v_fma_f32 v0, -v0, v7, v6
	v_div_fmas_f32 v0, v0, v1, v7
	v_div_fixup_f32 v0, v0, v4, v5
	global_store_dword v[2:3], v0, off
.LBB57_6:
	s_endpgm
	.section	.rodata,"a",@progbits
	.p2align	6, 0x0
	.amdhsa_kernel _ZL33flash_attn_stream_k_fixup_uniformILi112ELi32ELi1EEvPfPK15HIP_vector_typeIfLj2EEiiiiiiS1_IjLj3EES5_S5_
		.amdhsa_group_segment_fixed_size 0
		.amdhsa_private_segment_fixed_size 0
		.amdhsa_kernarg_size 76
		.amdhsa_user_sgpr_count 2
		.amdhsa_user_sgpr_dispatch_ptr 0
		.amdhsa_user_sgpr_queue_ptr 0
		.amdhsa_user_sgpr_kernarg_segment_ptr 1
		.amdhsa_user_sgpr_dispatch_id 0
		.amdhsa_user_sgpr_kernarg_preload_length 0
		.amdhsa_user_sgpr_kernarg_preload_offset 0
		.amdhsa_user_sgpr_private_segment_size 0
		.amdhsa_uses_dynamic_stack 0
		.amdhsa_enable_private_segment 0
		.amdhsa_system_sgpr_workgroup_id_x 1
		.amdhsa_system_sgpr_workgroup_id_y 1
		.amdhsa_system_sgpr_workgroup_id_z 1
		.amdhsa_system_sgpr_workgroup_info 0
		.amdhsa_system_vgpr_workitem_id 0
		.amdhsa_next_free_vgpr 17
		.amdhsa_next_free_sgpr 20
		.amdhsa_accum_offset 20
		.amdhsa_reserve_vcc 1
		.amdhsa_float_round_mode_32 0
		.amdhsa_float_round_mode_16_64 0
		.amdhsa_float_denorm_mode_32 3
		.amdhsa_float_denorm_mode_16_64 3
		.amdhsa_dx10_clamp 1
		.amdhsa_ieee_mode 1
		.amdhsa_fp16_overflow 0
		.amdhsa_tg_split 0
		.amdhsa_exception_fp_ieee_invalid_op 0
		.amdhsa_exception_fp_denorm_src 0
		.amdhsa_exception_fp_ieee_div_zero 0
		.amdhsa_exception_fp_ieee_overflow 0
		.amdhsa_exception_fp_ieee_underflow 0
		.amdhsa_exception_fp_ieee_inexact 0
		.amdhsa_exception_int_div_zero 0
	.end_amdhsa_kernel
	.section	.text._ZL33flash_attn_stream_k_fixup_uniformILi112ELi32ELi1EEvPfPK15HIP_vector_typeIfLj2EEiiiiiiS1_IjLj3EES5_S5_,"axG",@progbits,_ZL33flash_attn_stream_k_fixup_uniformILi112ELi32ELi1EEvPfPK15HIP_vector_typeIfLj2EEiiiiiiS1_IjLj3EES5_S5_,comdat
.Lfunc_end57:
	.size	_ZL33flash_attn_stream_k_fixup_uniformILi112ELi32ELi1EEvPfPK15HIP_vector_typeIfLj2EEiiiiiiS1_IjLj3EES5_S5_, .Lfunc_end57-_ZL33flash_attn_stream_k_fixup_uniformILi112ELi32ELi1EEvPfPK15HIP_vector_typeIfLj2EEiiiiiiS1_IjLj3EES5_S5_
                                        ; -- End function
	.set _ZL33flash_attn_stream_k_fixup_uniformILi112ELi32ELi1EEvPfPK15HIP_vector_typeIfLj2EEiiiiiiS1_IjLj3EES5_S5_.num_vgpr, 17
	.set _ZL33flash_attn_stream_k_fixup_uniformILi112ELi32ELi1EEvPfPK15HIP_vector_typeIfLj2EEiiiiiiS1_IjLj3EES5_S5_.num_agpr, 0
	.set _ZL33flash_attn_stream_k_fixup_uniformILi112ELi32ELi1EEvPfPK15HIP_vector_typeIfLj2EEiiiiiiS1_IjLj3EES5_S5_.numbered_sgpr, 20
	.set _ZL33flash_attn_stream_k_fixup_uniformILi112ELi32ELi1EEvPfPK15HIP_vector_typeIfLj2EEiiiiiiS1_IjLj3EES5_S5_.num_named_barrier, 0
	.set _ZL33flash_attn_stream_k_fixup_uniformILi112ELi32ELi1EEvPfPK15HIP_vector_typeIfLj2EEiiiiiiS1_IjLj3EES5_S5_.private_seg_size, 0
	.set _ZL33flash_attn_stream_k_fixup_uniformILi112ELi32ELi1EEvPfPK15HIP_vector_typeIfLj2EEiiiiiiS1_IjLj3EES5_S5_.uses_vcc, 1
	.set _ZL33flash_attn_stream_k_fixup_uniformILi112ELi32ELi1EEvPfPK15HIP_vector_typeIfLj2EEiiiiiiS1_IjLj3EES5_S5_.uses_flat_scratch, 0
	.set _ZL33flash_attn_stream_k_fixup_uniformILi112ELi32ELi1EEvPfPK15HIP_vector_typeIfLj2EEiiiiiiS1_IjLj3EES5_S5_.has_dyn_sized_stack, 0
	.set _ZL33flash_attn_stream_k_fixup_uniformILi112ELi32ELi1EEvPfPK15HIP_vector_typeIfLj2EEiiiiiiS1_IjLj3EES5_S5_.has_recursion, 0
	.set _ZL33flash_attn_stream_k_fixup_uniformILi112ELi32ELi1EEvPfPK15HIP_vector_typeIfLj2EEiiiiiiS1_IjLj3EES5_S5_.has_indirect_call, 0
	.section	.AMDGPU.csdata,"",@progbits
; Kernel info:
; codeLenInByte = 816
; TotalNumSgprs: 26
; NumVgprs: 17
; NumAgprs: 0
; TotalNumVgprs: 17
; ScratchSize: 0
; MemoryBound: 0
; FloatMode: 240
; IeeeMode: 1
; LDSByteSize: 0 bytes/workgroup (compile time only)
; SGPRBlocks: 3
; VGPRBlocks: 2
; NumSGPRsForWavesPerEU: 26
; NumVGPRsForWavesPerEU: 17
; AccumOffset: 20
; Occupancy: 8
; WaveLimiterHint : 0
; COMPUTE_PGM_RSRC2:SCRATCH_EN: 0
; COMPUTE_PGM_RSRC2:USER_SGPR: 2
; COMPUTE_PGM_RSRC2:TRAP_HANDLER: 0
; COMPUTE_PGM_RSRC2:TGID_X_EN: 1
; COMPUTE_PGM_RSRC2:TGID_Y_EN: 1
; COMPUTE_PGM_RSRC2:TGID_Z_EN: 1
; COMPUTE_PGM_RSRC2:TIDIG_COMP_CNT: 0
; COMPUTE_PGM_RSRC3_GFX90A:ACCUM_OFFSET: 4
; COMPUTE_PGM_RSRC3_GFX90A:TG_SPLIT: 0
	.section	.text._ZL33flash_attn_stream_k_fixup_generalILi112ELi32ELi1EEvPfPK15HIP_vector_typeIfLj2EEiiiiS1_IjLj3EES5_S5_S5_,"axG",@progbits,_ZL33flash_attn_stream_k_fixup_generalILi112ELi32ELi1EEvPfPK15HIP_vector_typeIfLj2EEiiiiS1_IjLj3EES5_S5_S5_,comdat
	.globl	_ZL33flash_attn_stream_k_fixup_generalILi112ELi32ELi1EEvPfPK15HIP_vector_typeIfLj2EEiiiiS1_IjLj3EES5_S5_S5_ ; -- Begin function _ZL33flash_attn_stream_k_fixup_generalILi112ELi32ELi1EEvPfPK15HIP_vector_typeIfLj2EEiiiiS1_IjLj3EES5_S5_S5_
	.p2align	8
	.type	_ZL33flash_attn_stream_k_fixup_generalILi112ELi32ELi1EEvPfPK15HIP_vector_typeIfLj2EEiiiiS1_IjLj3EES5_S5_S5_,@function
_ZL33flash_attn_stream_k_fixup_generalILi112ELi32ELi1EEvPfPK15HIP_vector_typeIfLj2EEiiiiS1_IjLj3EES5_S5_S5_: ; @_ZL33flash_attn_stream_k_fixup_generalILi112ELi32ELi1EEvPfPK15HIP_vector_typeIfLj2EEiiiiS1_IjLj3EES5_S5_S5_
; %bb.0:
	s_load_dwordx4 s[8:11], s[0:1], 0x10
	s_load_dword s22, s[0:1], 0x50
	s_mov_b32 s12, 0
	s_waitcnt lgkmcnt(0)
	s_mul_hi_i32 s13, s11, s2
	s_cmp_lg_u64 s[12:13], 0
	s_mul_i32 s5, s11, s2
	s_cbranch_scc0 .LBB58_20
; %bb.1:
	s_add_u32 s6, s22, 0
	s_addc_u32 s7, 0, 0
	s_xor_b64 s[6:7], s[6:7], 0
	v_cvt_f32_u32_e32 v1, s6
	v_cvt_f32_u32_e32 v2, s7
	s_sub_u32 s12, 0, s6
	s_subb_u32 s18, 0, s7
	v_fmamk_f32 v1, v2, 0x4f800000, v1
	v_rcp_f32_e32 v1, v1
	s_nop 0
	v_mul_f32_e32 v1, 0x5f7ffffc, v1
	v_mul_f32_e32 v2, 0x2f800000, v1
	v_trunc_f32_e32 v2, v2
	v_fmamk_f32 v1, v2, 0xcf800000, v1
	v_cvt_u32_f32_e32 v2, v2
	v_cvt_u32_f32_e32 v1, v1
	v_readfirstlane_b32 s19, v2
	v_readfirstlane_b32 s14, v1
	s_mul_i32 s15, s12, s19
	s_mul_hi_u32 s21, s12, s14
	s_mul_i32 s20, s18, s14
	s_add_i32 s15, s21, s15
	s_add_i32 s15, s15, s20
	s_mul_i32 s23, s12, s14
	s_mul_i32 s21, s14, s15
	s_mul_hi_u32 s24, s14, s23
	s_mul_hi_u32 s20, s14, s15
	s_add_u32 s21, s24, s21
	s_addc_u32 s20, 0, s20
	s_mul_hi_u32 s25, s19, s23
	s_mul_i32 s23, s19, s23
	s_add_u32 s21, s21, s23
	s_mul_hi_u32 s24, s19, s15
	s_addc_u32 s20, s20, s25
	s_addc_u32 s21, s24, 0
	s_mul_i32 s15, s19, s15
	s_add_u32 s15, s20, s15
	s_addc_u32 s20, 0, s21
	s_add_u32 s21, s14, s15
	s_cselect_b64 s[14:15], -1, 0
	s_cmp_lg_u64 s[14:15], 0
	s_addc_u32 s19, s19, s20
	s_mul_i32 s14, s12, s19
	s_mul_hi_u32 s15, s12, s21
	s_add_i32 s14, s15, s14
	s_mul_i32 s18, s18, s21
	s_add_i32 s14, s14, s18
	s_mul_i32 s12, s12, s21
	s_mul_hi_u32 s18, s19, s12
	s_mul_i32 s20, s19, s12
	s_mul_i32 s24, s21, s14
	s_mul_hi_u32 s12, s21, s12
	s_mul_hi_u32 s23, s21, s14
	s_add_u32 s12, s12, s24
	s_addc_u32 s23, 0, s23
	s_add_u32 s12, s12, s20
	s_mul_hi_u32 s15, s19, s14
	s_addc_u32 s12, s23, s18
	s_addc_u32 s15, s15, 0
	s_mul_i32 s14, s19, s14
	s_add_u32 s12, s12, s14
	s_addc_u32 s18, 0, s15
	s_add_u32 s20, s21, s12
	s_cselect_b64 s[14:15], -1, 0
	s_cmp_lg_u64 s[14:15], 0
	s_addc_u32 s18, s19, s18
	s_ashr_i32 s14, s13, 31
	s_add_u32 s12, s5, s14
	s_mov_b32 s15, s14
	s_addc_u32 s13, s13, s14
	s_xor_b64 s[12:13], s[12:13], s[14:15]
	s_mul_i32 s21, s12, s18
	s_mul_hi_u32 s23, s12, s20
	s_mul_hi_u32 s19, s12, s18
	s_add_u32 s21, s23, s21
	s_addc_u32 s19, 0, s19
	s_mul_hi_u32 s24, s13, s20
	s_mul_i32 s20, s13, s20
	s_add_u32 s20, s21, s20
	s_mul_hi_u32 s23, s13, s18
	s_addc_u32 s19, s19, s24
	s_addc_u32 s20, s23, 0
	s_mul_i32 s18, s13, s18
	s_add_u32 s23, s19, s18
	s_addc_u32 s24, 0, s20
	s_mul_i32 s18, s6, s24
	s_mul_hi_u32 s19, s6, s23
	s_add_i32 s18, s19, s18
	s_mul_i32 s19, s7, s23
	s_add_i32 s25, s18, s19
	s_sub_i32 s20, s13, s25
	s_mul_i32 s18, s6, s23
	s_sub_u32 s12, s12, s18
	s_cselect_b64 s[18:19], -1, 0
	s_cmp_lg_u64 s[18:19], 0
	s_subb_u32 s26, s20, s7
	s_sub_u32 s27, s12, s6
	s_cselect_b64 s[20:21], -1, 0
	s_cmp_lg_u64 s[20:21], 0
	s_subb_u32 s20, s26, 0
	s_cmp_ge_u32 s20, s7
	s_cselect_b32 s21, -1, 0
	s_cmp_ge_u32 s27, s6
	s_cselect_b32 s26, -1, 0
	s_cmp_eq_u32 s20, s7
	s_cselect_b32 s20, s26, s21
	s_add_u32 s21, s23, 1
	s_addc_u32 s26, s24, 0
	s_add_u32 s27, s23, 2
	s_addc_u32 s28, s24, 0
	s_cmp_lg_u32 s20, 0
	s_cselect_b32 s20, s27, s21
	s_cselect_b32 s21, s28, s26
	s_cmp_lg_u64 s[18:19], 0
	s_subb_u32 s13, s13, s25
	s_cmp_ge_u32 s13, s7
	s_cselect_b32 s18, -1, 0
	s_cmp_ge_u32 s12, s6
	s_cselect_b32 s6, -1, 0
	s_cmp_eq_u32 s13, s7
	s_cselect_b32 s6, s6, s18
	s_cmp_lg_u32 s6, 0
	s_cselect_b32 s7, s21, s24
	s_cselect_b32 s6, s20, s23
	s_xor_b64 s[12:13], s[14:15], 0
	s_xor_b64 s[6:7], s[6:7], s[12:13]
	s_sub_u32 s6, s6, s12
	s_load_dwordx4 s[12:15], s[0:1], 0x44
	s_cbranch_execnz .LBB58_3
.LBB58_2:
	v_cvt_f32_u32_e32 v1, s22
	s_sub_i32 s6, 0, s22
	v_rcp_iflag_f32_e32 v1, v1
	s_nop 0
	v_mul_f32_e32 v1, 0x4f7ffffe, v1
	v_cvt_u32_f32_e32 v1, v1
	s_nop 0
	v_readfirstlane_b32 s7, v1
	s_mul_i32 s6, s6, s7
	s_mul_hi_u32 s6, s7, s6
	s_add_i32 s7, s7, s6
	s_mul_hi_u32 s6, s5, s7
	s_waitcnt lgkmcnt(0)
	s_mul_i32 s15, s6, s22
	s_sub_i32 s5, s5, s15
	s_add_i32 s7, s6, 1
	s_sub_i32 s15, s5, s22
	s_cmp_ge_u32 s5, s22
	s_cselect_b32 s6, s7, s6
	s_cselect_b32 s5, s15, s5
	s_add_i32 s7, s6, 1
	s_cmp_ge_u32 s5, s22
	s_cselect_b32 s6, s7, s6
.LBB58_3:
	s_add_i32 s5, s2, 1
	s_mul_hi_i32 s21, s11, s5
	s_mov_b32 s20, 0
	s_cmp_lg_u64 s[20:21], 0
	s_mul_i32 s5, s11, s5
	s_cbranch_scc0 .LBB58_21
; %bb.4:
	s_add_u32 s16, s22, 0
	s_addc_u32 s17, 0, 0
	s_xor_b64 s[18:19], s[16:17], 0
	v_cvt_f32_u32_e32 v1, s18
	v_cvt_f32_u32_e32 v2, s19
	s_sub_u32 s7, 0, s18
	s_waitcnt lgkmcnt(0)
	s_subb_u32 s15, 0, s19
	v_fmamk_f32 v1, v2, 0x4f800000, v1
	v_rcp_f32_e32 v1, v1
	s_nop 0
	v_mul_f32_e32 v1, 0x5f7ffffc, v1
	v_mul_f32_e32 v2, 0x2f800000, v1
	v_trunc_f32_e32 v2, v2
	v_fmamk_f32 v1, v2, 0xcf800000, v1
	v_cvt_u32_f32_e32 v2, v2
	v_cvt_u32_f32_e32 v1, v1
	v_readfirstlane_b32 s20, v2
	v_readfirstlane_b32 s23, v1
	s_mul_i32 s24, s7, s20
	s_mul_hi_u32 s26, s7, s23
	s_mul_i32 s25, s15, s23
	s_add_i32 s24, s26, s24
	s_add_i32 s24, s24, s25
	s_mul_i32 s27, s7, s23
	s_mul_i32 s26, s23, s24
	s_mul_hi_u32 s28, s23, s27
	s_mul_hi_u32 s25, s23, s24
	s_add_u32 s26, s28, s26
	s_addc_u32 s25, 0, s25
	s_mul_hi_u32 s29, s20, s27
	s_mul_i32 s27, s20, s27
	s_add_u32 s26, s26, s27
	s_mul_hi_u32 s28, s20, s24
	s_addc_u32 s25, s25, s29
	s_addc_u32 s26, s28, 0
	s_mul_i32 s24, s20, s24
	s_add_u32 s24, s25, s24
	s_addc_u32 s26, 0, s26
	s_add_u32 s23, s23, s24
	s_cselect_b64 s[24:25], -1, 0
	s_cmp_lg_u64 s[24:25], 0
	s_addc_u32 s20, s20, s26
	s_mul_i32 s24, s7, s20
	s_mul_hi_u32 s25, s7, s23
	s_add_i32 s24, s25, s24
	s_mul_i32 s15, s15, s23
	s_add_i32 s24, s24, s15
	s_mul_i32 s7, s7, s23
	s_mul_hi_u32 s25, s20, s7
	s_mul_i32 s26, s20, s7
	s_mul_i32 s28, s23, s24
	s_mul_hi_u32 s7, s23, s7
	s_mul_hi_u32 s27, s23, s24
	s_add_u32 s7, s7, s28
	s_addc_u32 s27, 0, s27
	s_add_u32 s7, s7, s26
	s_mul_hi_u32 s15, s20, s24
	s_addc_u32 s7, s27, s25
	s_addc_u32 s15, s15, 0
	s_mul_i32 s24, s20, s24
	s_add_u32 s7, s7, s24
	s_addc_u32 s15, 0, s15
	s_add_u32 s7, s23, s7
	s_cselect_b64 s[24:25], -1, 0
	s_cmp_lg_u64 s[24:25], 0
	s_addc_u32 s15, s20, s15
	s_ashr_i32 s24, s21, 31
	s_add_u32 s20, s5, s24
	s_mov_b32 s25, s24
	s_addc_u32 s21, s21, s24
	s_xor_b64 s[20:21], s[20:21], s[24:25]
	s_mul_i32 s26, s20, s15
	s_mul_hi_u32 s27, s20, s7
	s_mul_hi_u32 s23, s20, s15
	s_add_u32 s26, s27, s26
	s_addc_u32 s23, 0, s23
	s_mul_hi_u32 s28, s21, s7
	s_mul_i32 s7, s21, s7
	s_add_u32 s7, s26, s7
	s_mul_hi_u32 s27, s21, s15
	s_addc_u32 s7, s23, s28
	s_addc_u32 s23, s27, 0
	s_mul_i32 s15, s21, s15
	s_add_u32 s7, s7, s15
	s_addc_u32 s15, 0, s23
	s_mul_i32 s23, s18, s15
	s_mul_hi_u32 s26, s18, s7
	s_add_i32 s23, s26, s23
	s_mul_i32 s26, s19, s7
	s_add_i32 s23, s23, s26
	s_sub_i32 s28, s21, s23
	s_mul_i32 s26, s18, s7
	s_sub_u32 s20, s20, s26
	s_cselect_b64 s[26:27], -1, 0
	s_cmp_lg_u64 s[26:27], 0
	s_subb_u32 s30, s28, s19
	s_sub_u32 s31, s20, s18
	s_cselect_b64 s[28:29], -1, 0
	s_cmp_lg_u64 s[28:29], 0
	s_subb_u32 s28, s30, 0
	s_cmp_ge_u32 s28, s19
	s_cselect_b32 s29, -1, 0
	s_cmp_ge_u32 s31, s18
	s_cselect_b32 s30, -1, 0
	s_cmp_eq_u32 s28, s19
	s_cselect_b32 s28, s30, s29
	s_add_u32 s29, s7, 1
	s_addc_u32 s30, s15, 0
	s_add_u32 s31, s7, 2
	s_addc_u32 s33, s15, 0
	s_cmp_lg_u32 s28, 0
	s_cselect_b32 s28, s31, s29
	s_cselect_b32 s29, s33, s30
	s_cmp_lg_u64 s[26:27], 0
	s_subb_u32 s21, s21, s23
	s_cmp_ge_u32 s21, s19
	s_cselect_b32 s23, -1, 0
	s_cmp_ge_u32 s20, s18
	s_cselect_b32 s18, -1, 0
	s_cmp_eq_u32 s21, s19
	s_cselect_b32 s18, s18, s23
	s_cmp_lg_u32 s18, 0
	s_cselect_b32 s19, s29, s15
	s_cselect_b32 s18, s28, s7
	s_xor_b64 s[20:21], s[24:25], 0
	s_xor_b64 s[18:19], s[18:19], s[20:21]
	s_sub_u32 s18, s18, s20
	s_cbranch_execnz .LBB58_6
.LBB58_5:
	v_cvt_f32_u32_e32 v1, s22
	s_sub_i32 s7, 0, s22
	v_rcp_iflag_f32_e32 v1, v1
	s_nop 0
	v_mul_f32_e32 v1, 0x4f7ffffe, v1
	v_cvt_u32_f32_e32 v1, v1
	s_waitcnt lgkmcnt(0)
	v_readfirstlane_b32 s15, v1
	s_mul_i32 s7, s7, s15
	s_mul_hi_u32 s7, s15, s7
	s_add_i32 s15, s15, s7
	s_mul_hi_u32 s7, s5, s15
	s_mul_i32 s16, s7, s22
	s_sub_i32 s5, s5, s16
	s_add_i32 s15, s7, 1
	s_sub_i32 s16, s5, s22
	s_cmp_ge_u32 s5, s22
	s_cselect_b32 s7, s15, s7
	s_cselect_b32 s5, s16, s5
	s_add_i32 s15, s7, 1
	s_cmp_ge_u32 s5, s22
	s_cselect_b32 s18, s15, s7
.LBB58_6:
	s_cmp_eq_u32 s6, s18
	s_waitcnt lgkmcnt(0)
	s_mul_hi_u32 s5, s6, s12
	s_cselect_b64 s[16:17], -1, 0
	s_add_i32 s5, s5, s6
	s_lshr_b32 s7, s5, s13
	s_mul_i32 s5, s7, s14
	s_cmp_eq_u32 s5, s6
	s_mul_hi_u32 s5, s18, s12
	s_cselect_b64 s[20:21], -1, 0
	s_add_i32 s5, s5, s18
	s_lshr_b32 s5, s5, s13
	s_cmp_eq_u32 s7, s5
	s_mul_i32 s5, s5, s14
	s_cselect_b64 s[24:25], -1, 0
	s_cmp_lg_u32 s5, s18
	s_cselect_b64 s[18:19], -1, 0
	s_and_b64 s[18:19], s[24:25], s[18:19]
	s_or_b64 s[16:17], s[16:17], s[20:21]
	s_or_b64 s[16:17], s[16:17], s[18:19]
	s_and_b64 vcc, exec, s[16:17]
	s_cbranch_vccnz .LBB58_23
; %bb.7:
	s_load_dwordx8 s[24:31], s[0:1], 0x20
	s_load_dword s5, s[0:1], 0x40
	s_waitcnt lgkmcnt(0)
	s_mul_hi_u32 s15, s6, s24
	s_add_i32 s15, s15, s6
	s_lshr_b32 s20, s15, s25
	s_mul_i32 s15, s20, s26
	s_sub_i32 s15, s6, s15
	s_mul_hi_u32 s16, s15, s27
	s_add_i32 s16, s15, s16
	s_lshr_b32 s21, s16, s28
	s_mul_i32 s16, s21, s29
	s_sub_i32 s15, s15, s16
	;; [unrolled: 5-line block ×3, first 2 shown]
	s_mul_hi_u32 s15, s5, s12
	s_add_i32 s5, s5, s15
	s_lshr_b32 s23, s5, s13
	s_lshl_b32 s5, s23, 5
	s_add_i32 s5, s5, s3
	s_cmp_lt_i32 s5, s8
	s_cselect_b64 s[16:17], -1, 0
	s_add_i32 s24, s24, s4
	s_cmp_lt_i32 s24, s10
	s_cselect_b64 s[18:19], -1, 0
	s_and_b64 s[16:17], s[16:17], s[18:19]
	s_andn2_b64 vcc, exec, s[16:17]
	s_cbranch_vccnz .LBB58_23
; %bb.8:
	s_load_dwordx4 s[16:19], s[0:1], 0x0
	s_mov_b32 s0, 0
	s_add_i32 s15, s3, s4
	s_lshl_b32 s4, s22, 7
	s_mov_b32 s5, s0
	s_lshl_b64 s[4:5], s[4:5], 2
	s_waitcnt lgkmcnt(0)
	s_add_u32 s4, s18, s4
	s_mul_i32 s1, s20, s8
	s_addc_u32 s5, s19, s5
	s_mul_i32 s21, s21, s10
	s_add_i32 s1, s1, s3
	s_mul_i32 s1, s1, s9
	s_add_i32 s3, s24, s21
	;; [unrolled: 2-line block ×3, first 2 shown]
	s_mulk_i32 s8, 0xe00
	s_mulk_i32 s1, 0x70
	s_add_i32 s8, s8, s1
	v_add_u32_e32 v4, s8, v0
	v_mov_b32_e32 v2, s16
	v_mov_b32_e32 v3, s17
	v_ashrrev_i32_e32 v5, 31, v4
	v_lshl_add_u64 v[2:3], v[4:5], 2, v[2:3]
	global_load_dword v1, v[2:3], off
	v_cvt_f32_u32_e32 v4, s22
	s_lshl_b32 s1, s2, 5
	s_add_i32 s8, s1, s15
	s_ashr_i32 s9, s8, 31
	s_lshl_b64 s[8:9], s[8:9], 3
	v_rcp_iflag_f32_e32 v4, v4
	s_add_u32 s8, s18, s8
	s_addc_u32 s9, s19, s9
	s_load_dwordx2 s[8:9], s[8:9], 0x0
	v_mul_f32_e32 v4, 0x4f7ffffe, v4
	v_cvt_u32_f32_e32 v7, v4
	s_mul_i32 s1, s15, 0x70
	s_add_i32 s21, s2, -1
	v_add_u32_e32 v6, s1, v0
	s_waitcnt lgkmcnt(0)
	v_mov_b32_e32 v0, s9
	v_mov_b32_e32 v9, s8
	s_mov_b32 s10, 0x3fb8aa3b
	s_mov_b32 s20, 0xc2ce8ed0
	;; [unrolled: 1-line block ×4, first 2 shown]
	v_mov_b32_e32 v8, 0x7f800000
	s_mul_hi_i32 s1, s21, s11
	s_cmp_lg_u64 s[0:1], 0
	s_mul_i32 s16, s21, s11
	s_cbranch_scc0 .LBB58_19
.LBB58_9:
	s_add_u32 s2, s22, 0
	s_addc_u32 s3, 0, 0
	s_xor_b64 s[2:3], s[2:3], 0
	v_cvt_f32_u32_e32 v4, s2
	v_cvt_f32_u32_e32 v5, s3
	s_sub_u32 s17, 0, s2
	s_subb_u32 s25, 0, s3
	v_fmac_f32_e32 v4, 0x4f800000, v5
	v_rcp_f32_e32 v4, v4
	s_nop 0
	v_mul_f32_e32 v4, 0x5f7ffffc, v4
	v_mul_f32_e32 v5, 0x2f800000, v4
	v_trunc_f32_e32 v5, v5
	v_fmac_f32_e32 v4, 0xcf800000, v5
	v_cvt_u32_f32_e32 v5, v5
	v_cvt_u32_f32_e32 v4, v4
	v_readfirstlane_b32 s26, v5
	v_readfirstlane_b32 s8, v4
	s_mul_i32 s9, s17, s26
	s_mul_hi_u32 s28, s17, s8
	s_mul_i32 s27, s25, s8
	s_add_i32 s9, s28, s9
	s_mul_i32 s29, s17, s8
	s_add_i32 s9, s9, s27
	s_mul_i32 s28, s8, s9
	s_mul_hi_u32 s30, s8, s29
	s_mul_hi_u32 s27, s8, s9
	s_add_u32 s28, s30, s28
	s_addc_u32 s27, 0, s27
	s_mul_hi_u32 s31, s26, s29
	s_mul_i32 s29, s26, s29
	s_add_u32 s28, s28, s29
	s_mul_hi_u32 s30, s26, s9
	s_addc_u32 s27, s27, s31
	s_addc_u32 s28, s30, 0
	s_mul_i32 s9, s26, s9
	s_add_u32 s9, s27, s9
	s_addc_u32 s27, 0, s28
	s_add_u32 s28, s8, s9
	s_cselect_b64 s[8:9], -1, 0
	s_cmp_lg_u64 s[8:9], 0
	s_addc_u32 s26, s26, s27
	s_mul_i32 s8, s17, s26
	s_mul_hi_u32 s9, s17, s28
	s_add_i32 s8, s9, s8
	s_mul_i32 s25, s25, s28
	s_add_i32 s8, s8, s25
	s_mul_i32 s17, s17, s28
	s_mul_hi_u32 s25, s26, s17
	s_mul_i32 s27, s26, s17
	s_mul_i32 s30, s28, s8
	s_mul_hi_u32 s17, s28, s17
	s_mul_hi_u32 s29, s28, s8
	s_add_u32 s17, s17, s30
	s_addc_u32 s29, 0, s29
	s_add_u32 s17, s17, s27
	s_mul_hi_u32 s9, s26, s8
	s_addc_u32 s17, s29, s25
	s_addc_u32 s9, s9, 0
	s_mul_i32 s8, s26, s8
	s_add_u32 s8, s17, s8
	s_addc_u32 s17, 0, s9
	s_add_u32 s25, s28, s8
	s_cselect_b64 s[8:9], -1, 0
	s_cmp_lg_u64 s[8:9], 0
	s_addc_u32 s17, s26, s17
	s_ashr_i32 s8, s1, 31
	s_add_u32 s26, s16, s8
	s_mov_b32 s9, s8
	s_addc_u32 s27, s1, s8
	s_xor_b64 s[26:27], s[26:27], s[8:9]
	s_mul_i32 s28, s26, s17
	s_mul_hi_u32 s29, s26, s25
	s_mul_hi_u32 s1, s26, s17
	s_add_u32 s28, s29, s28
	s_addc_u32 s1, 0, s1
	s_mul_hi_u32 s30, s27, s25
	s_mul_i32 s25, s27, s25
	s_add_u32 s25, s28, s25
	s_mul_hi_u32 s29, s27, s17
	s_addc_u32 s1, s1, s30
	s_addc_u32 s25, s29, 0
	s_mul_i32 s17, s27, s17
	s_add_u32 s1, s1, s17
	s_addc_u32 s17, 0, s25
	s_mul_i32 s25, s2, s17
	s_mul_hi_u32 s28, s2, s1
	s_add_i32 s25, s28, s25
	s_mul_i32 s28, s3, s1
	s_add_i32 s25, s25, s28
	s_sub_i32 s30, s27, s25
	s_mul_i32 s28, s2, s1
	s_sub_u32 s26, s26, s28
	s_cselect_b64 s[28:29], -1, 0
	s_cmp_lg_u64 s[28:29], 0
	s_subb_u32 s33, s30, s3
	s_sub_u32 s34, s26, s2
	s_cselect_b64 s[30:31], -1, 0
	s_cmp_lg_u64 s[30:31], 0
	s_subb_u32 s30, s33, 0
	s_cmp_ge_u32 s30, s3
	s_cselect_b32 s31, -1, 0
	s_cmp_ge_u32 s34, s2
	s_cselect_b32 s33, -1, 0
	s_cmp_eq_u32 s30, s3
	s_cselect_b32 s30, s33, s31
	s_add_u32 s31, s1, 1
	s_addc_u32 s33, s17, 0
	s_add_u32 s34, s1, 2
	s_addc_u32 s35, s17, 0
	s_cmp_lg_u32 s30, 0
	s_cselect_b32 s30, s34, s31
	s_cselect_b32 s31, s35, s33
	s_cmp_lg_u64 s[28:29], 0
	s_subb_u32 s25, s27, s25
	s_cmp_ge_u32 s25, s3
	s_cselect_b32 s27, -1, 0
	s_cmp_ge_u32 s26, s2
	s_cselect_b32 s2, -1, 0
	s_cmp_eq_u32 s25, s3
	s_cselect_b32 s2, s2, s27
	s_cmp_lg_u32 s2, 0
	s_cselect_b32 s3, s31, s17
	s_cselect_b32 s2, s30, s1
	s_xor_b64 s[8:9], s[8:9], 0
	s_xor_b64 s[2:3], s[2:3], s[8:9]
	s_sub_u32 s8, s2, s8
	s_cbranch_execnz .LBB58_11
.LBB58_10:
	s_sub_i32 s1, 0, s22
	v_readfirstlane_b32 s2, v7
	s_mul_i32 s1, s1, s2
	s_mul_hi_u32 s1, s2, s1
	s_add_i32 s2, s2, s1
	s_mul_hi_u32 s1, s16, s2
	s_mul_i32 s3, s1, s22
	s_sub_i32 s3, s16, s3
	s_add_i32 s2, s1, 1
	s_sub_i32 s8, s3, s22
	s_cmp_ge_u32 s3, s22
	s_cselect_b32 s1, s2, s1
	s_cselect_b32 s3, s8, s3
	s_add_i32 s2, s1, 1
	s_cmp_ge_u32 s3, s22
	s_cselect_b32 s8, s2, s1
.LBB58_11:
	s_cmp_lg_u32 s6, s8
	s_cbranch_scc0 .LBB58_15
; %bb.12:
	s_add_i32 s1, s21, s22
	s_lshl_b32 s1, s1, 5
	s_add_i32 s2, s1, s15
	s_mov_b32 s3, s0
	s_lshl_b64 s[2:3], s[2:3], 3
	s_add_u32 s16, s18, s2
	s_mul_hi_u32 s1, s8, s12
	s_addc_u32 s17, s19, s3
	s_add_i32 s1, s1, s8
	s_lshr_b32 s1, s1, s13
	s_mul_i32 s2, s1, s14
	s_cmp_eq_u32 s2, s8
	s_cselect_b64 s[2:3], -1, 0
	s_cmp_lt_u32 s1, s7
	s_cselect_b64 s[26:27], -1, 0
	s_or_b64 s[26:27], s[26:27], s[2:3]
	s_mov_b64 s[2:3], -1
	s_and_b64 vcc, exec, s[26:27]
	s_mov_b32 s1, s21
	s_mov_b32 s25, s6
	s_cbranch_vccnz .LBB58_14
; %bb.13:
	s_add_i32 s1, s21, -1
	s_mov_b64 s[2:3], 0
	s_mov_b32 s25, s8
.LBB58_14:
	s_mul_i32 s8, s21, 0xe00
	v_add_u32_e32 v4, s8, v6
	v_ashrrev_i32_e32 v5, 31, v4
	v_lshl_add_u64 v[4:5], v[4:5], 2, s[4:5]
	global_load_dword v5, v[4:5], off
	s_load_dwordx2 s[8:9], s[16:17], 0x0
	v_max_f32_e32 v4, v9, v9
	s_waitcnt lgkmcnt(0)
	v_max_f32_e64 v10, s8, s8
	v_max_f32_e32 v10, v4, v10
	v_sub_f32_e32 v11, v9, v10
	v_sub_f32_e32 v13, s8, v10
	v_mul_f32_e32 v4, 0x3fb8aa3b, v11
	v_mul_f32_e32 v12, 0x3fb8aa3b, v13
	v_fma_f32 v14, v11, s10, -v4
	v_rndne_f32_e32 v15, v4
	v_fma_f32 v16, v13, s10, -v12
	v_rndne_f32_e32 v17, v12
	v_fmac_f32_e32 v14, 0x32a5705f, v11
	v_sub_f32_e32 v4, v4, v15
	v_fmac_f32_e32 v16, 0x32a5705f, v13
	v_sub_f32_e32 v12, v12, v17
	v_add_f32_e32 v4, v4, v14
	v_cvt_i32_f32_e32 v15, v15
	v_add_f32_e32 v12, v12, v16
	v_exp_f32_e32 v14, v4
	v_cvt_i32_f32_e32 v17, v17
	v_exp_f32_e32 v12, v12
	v_cmp_ngt_f32_e32 vcc, s20, v11
	v_ldexp_f32 v14, v14, v15
	v_mov_b32_e32 v4, s9
	v_ldexp_f32 v12, v12, v17
	v_cndmask_b32_e32 v14, 0, v14, vcc
	v_cmp_ngt_f32_e32 vcc, s20, v13
	s_nop 1
	v_cndmask_b32_e32 v12, 0, v12, vcc
	v_cmp_nlt_f32_e32 vcc, s23, v11
	s_nop 1
	v_cndmask_b32_e32 v14, v8, v14, vcc
	v_cmp_nlt_f32_e32 vcc, s23, v13
	s_nop 1
	v_cndmask_b32_e32 v15, v8, v12, vcc
	v_cmp_le_f32_e32 vcc, s24, v11
	s_nop 1
	v_cndmask_b32_e32 v12, 0, v14, vcc
	v_cmp_le_f32_e32 vcc, s24, v13
	s_nop 1
	v_cndmask_b32_e32 v14, 0, v15, vcc
	s_waitcnt vmcnt(0)
	v_pk_mul_f32 v[4:5], v[4:5], v[14:15] op_sel_hi:[1,0]
	s_nop 0
	v_pk_fma_f32 v[4:5], v[0:1], v[12:13], v[4:5] op_sel_hi:[1,0,1]
	s_cbranch_execz .LBB58_16
	s_branch .LBB58_17
.LBB58_15:
                                        ; implicit-def: $vgpr4_vgpr5
                                        ; implicit-def: $sgpr2_sgpr3
                                        ; implicit-def: $vgpr10
                                        ; implicit-def: $sgpr1
                                        ; implicit-def: $sgpr25
.LBB58_16:
	s_add_i32 s1, s21, -1
	s_mov_b64 s[2:3], 0
	s_mov_b32 s25, s6
	v_mov_b32_e32 v10, v9
	s_waitcnt vmcnt(0)
	v_mov_b64_e32 v[4:5], v[0:1]
.LBB58_17:
	s_andn2_b64 vcc, exec, s[2:3]
	s_cbranch_vccz .LBB58_22
; %bb.18:
	s_mov_b32 s6, s25
	s_mov_b32 s21, s1
	v_mov_b32_e32 v9, v10
	s_waitcnt vmcnt(0)
	v_mov_b64_e32 v[0:1], v[4:5]
	s_mul_hi_i32 s1, s21, s11
	s_cmp_lg_u64 s[0:1], 0
	s_mul_i32 s16, s21, s11
	s_cbranch_scc1 .LBB58_9
.LBB58_19:
                                        ; implicit-def: $sgpr8_sgpr9
	s_branch .LBB58_10
.LBB58_20:
                                        ; implicit-def: $sgpr6_sgpr7
	s_load_dwordx4 s[12:15], s[0:1], 0x44
	s_branch .LBB58_2
.LBB58_21:
                                        ; implicit-def: $sgpr18_sgpr19
	s_branch .LBB58_5
.LBB58_22:
	v_div_scale_f32 v0, s[0:1], v4, v4, v5
	s_waitcnt vmcnt(0)
	v_rcp_f32_e32 v1, v0
	v_div_scale_f32 v6, vcc, v5, v4, v5
	v_fma_f32 v7, -v0, v1, 1.0
	v_fmac_f32_e32 v1, v7, v1
	v_mul_f32_e32 v7, v6, v1
	v_fma_f32 v8, -v0, v7, v6
	v_fmac_f32_e32 v7, v8, v1
	v_fma_f32 v0, -v0, v7, v6
	v_div_fmas_f32 v0, v0, v1, v7
	v_div_fixup_f32 v0, v0, v4, v5
	global_store_dword v[2:3], v0, off
.LBB58_23:
	s_endpgm
	.section	.rodata,"a",@progbits
	.p2align	6, 0x0
	.amdhsa_kernel _ZL33flash_attn_stream_k_fixup_generalILi112ELi32ELi1EEvPfPK15HIP_vector_typeIfLj2EEiiiiS1_IjLj3EES5_S5_S5_
		.amdhsa_group_segment_fixed_size 0
		.amdhsa_private_segment_fixed_size 0
		.amdhsa_kernarg_size 336
		.amdhsa_user_sgpr_count 2
		.amdhsa_user_sgpr_dispatch_ptr 0
		.amdhsa_user_sgpr_queue_ptr 0
		.amdhsa_user_sgpr_kernarg_segment_ptr 1
		.amdhsa_user_sgpr_dispatch_id 0
		.amdhsa_user_sgpr_kernarg_preload_length 0
		.amdhsa_user_sgpr_kernarg_preload_offset 0
		.amdhsa_user_sgpr_private_segment_size 0
		.amdhsa_uses_dynamic_stack 0
		.amdhsa_enable_private_segment 0
		.amdhsa_system_sgpr_workgroup_id_x 1
		.amdhsa_system_sgpr_workgroup_id_y 1
		.amdhsa_system_sgpr_workgroup_id_z 1
		.amdhsa_system_sgpr_workgroup_info 0
		.amdhsa_system_vgpr_workitem_id 0
		.amdhsa_next_free_vgpr 18
		.amdhsa_next_free_sgpr 36
		.amdhsa_accum_offset 20
		.amdhsa_reserve_vcc 1
		.amdhsa_float_round_mode_32 0
		.amdhsa_float_round_mode_16_64 0
		.amdhsa_float_denorm_mode_32 3
		.amdhsa_float_denorm_mode_16_64 3
		.amdhsa_dx10_clamp 1
		.amdhsa_ieee_mode 1
		.amdhsa_fp16_overflow 0
		.amdhsa_tg_split 0
		.amdhsa_exception_fp_ieee_invalid_op 0
		.amdhsa_exception_fp_denorm_src 0
		.amdhsa_exception_fp_ieee_div_zero 0
		.amdhsa_exception_fp_ieee_overflow 0
		.amdhsa_exception_fp_ieee_underflow 0
		.amdhsa_exception_fp_ieee_inexact 0
		.amdhsa_exception_int_div_zero 0
	.end_amdhsa_kernel
	.section	.text._ZL33flash_attn_stream_k_fixup_generalILi112ELi32ELi1EEvPfPK15HIP_vector_typeIfLj2EEiiiiS1_IjLj3EES5_S5_S5_,"axG",@progbits,_ZL33flash_attn_stream_k_fixup_generalILi112ELi32ELi1EEvPfPK15HIP_vector_typeIfLj2EEiiiiS1_IjLj3EES5_S5_S5_,comdat
.Lfunc_end58:
	.size	_ZL33flash_attn_stream_k_fixup_generalILi112ELi32ELi1EEvPfPK15HIP_vector_typeIfLj2EEiiiiS1_IjLj3EES5_S5_S5_, .Lfunc_end58-_ZL33flash_attn_stream_k_fixup_generalILi112ELi32ELi1EEvPfPK15HIP_vector_typeIfLj2EEiiiiS1_IjLj3EES5_S5_S5_
                                        ; -- End function
	.set _ZL33flash_attn_stream_k_fixup_generalILi112ELi32ELi1EEvPfPK15HIP_vector_typeIfLj2EEiiiiS1_IjLj3EES5_S5_S5_.num_vgpr, 18
	.set _ZL33flash_attn_stream_k_fixup_generalILi112ELi32ELi1EEvPfPK15HIP_vector_typeIfLj2EEiiiiS1_IjLj3EES5_S5_S5_.num_agpr, 0
	.set _ZL33flash_attn_stream_k_fixup_generalILi112ELi32ELi1EEvPfPK15HIP_vector_typeIfLj2EEiiiiS1_IjLj3EES5_S5_S5_.numbered_sgpr, 36
	.set _ZL33flash_attn_stream_k_fixup_generalILi112ELi32ELi1EEvPfPK15HIP_vector_typeIfLj2EEiiiiS1_IjLj3EES5_S5_S5_.num_named_barrier, 0
	.set _ZL33flash_attn_stream_k_fixup_generalILi112ELi32ELi1EEvPfPK15HIP_vector_typeIfLj2EEiiiiS1_IjLj3EES5_S5_S5_.private_seg_size, 0
	.set _ZL33flash_attn_stream_k_fixup_generalILi112ELi32ELi1EEvPfPK15HIP_vector_typeIfLj2EEiiiiS1_IjLj3EES5_S5_S5_.uses_vcc, 1
	.set _ZL33flash_attn_stream_k_fixup_generalILi112ELi32ELi1EEvPfPK15HIP_vector_typeIfLj2EEiiiiS1_IjLj3EES5_S5_S5_.uses_flat_scratch, 0
	.set _ZL33flash_attn_stream_k_fixup_generalILi112ELi32ELi1EEvPfPK15HIP_vector_typeIfLj2EEiiiiS1_IjLj3EES5_S5_S5_.has_dyn_sized_stack, 0
	.set _ZL33flash_attn_stream_k_fixup_generalILi112ELi32ELi1EEvPfPK15HIP_vector_typeIfLj2EEiiiiS1_IjLj3EES5_S5_S5_.has_recursion, 0
	.set _ZL33flash_attn_stream_k_fixup_generalILi112ELi32ELi1EEvPfPK15HIP_vector_typeIfLj2EEiiiiS1_IjLj3EES5_S5_S5_.has_indirect_call, 0
	.section	.AMDGPU.csdata,"",@progbits
; Kernel info:
; codeLenInByte = 2936
; TotalNumSgprs: 42
; NumVgprs: 18
; NumAgprs: 0
; TotalNumVgprs: 18
; ScratchSize: 0
; MemoryBound: 0
; FloatMode: 240
; IeeeMode: 1
; LDSByteSize: 0 bytes/workgroup (compile time only)
; SGPRBlocks: 5
; VGPRBlocks: 2
; NumSGPRsForWavesPerEU: 42
; NumVGPRsForWavesPerEU: 18
; AccumOffset: 20
; Occupancy: 8
; WaveLimiterHint : 0
; COMPUTE_PGM_RSRC2:SCRATCH_EN: 0
; COMPUTE_PGM_RSRC2:USER_SGPR: 2
; COMPUTE_PGM_RSRC2:TRAP_HANDLER: 0
; COMPUTE_PGM_RSRC2:TGID_X_EN: 1
; COMPUTE_PGM_RSRC2:TGID_Y_EN: 1
; COMPUTE_PGM_RSRC2:TGID_Z_EN: 1
; COMPUTE_PGM_RSRC2:TIDIG_COMP_CNT: 0
; COMPUTE_PGM_RSRC3_GFX90A:ACCUM_OFFSET: 4
; COMPUTE_PGM_RSRC3_GFX90A:TG_SPLIT: 0
	.section	.text._ZL15flash_attn_tileILi112ELi112ELi16ELi1ELb0EEvPKcS1_S1_S1_S1_PKiPfP15HIP_vector_typeIfLj2EEffffjfiS5_IjLj3EEiiiiiiiiiiiliiliiiiil,"axG",@progbits,_ZL15flash_attn_tileILi112ELi112ELi16ELi1ELb0EEvPKcS1_S1_S1_S1_PKiPfP15HIP_vector_typeIfLj2EEffffjfiS5_IjLj3EEiiiiiiiiiiiliiliiiiil,comdat
	.globl	_ZL15flash_attn_tileILi112ELi112ELi16ELi1ELb0EEvPKcS1_S1_S1_S1_PKiPfP15HIP_vector_typeIfLj2EEffffjfiS5_IjLj3EEiiiiiiiiiiiliiliiiiil ; -- Begin function _ZL15flash_attn_tileILi112ELi112ELi16ELi1ELb0EEvPKcS1_S1_S1_S1_PKiPfP15HIP_vector_typeIfLj2EEffffjfiS5_IjLj3EEiiiiiiiiiiiliiliiiiil
	.p2align	8
	.type	_ZL15flash_attn_tileILi112ELi112ELi16ELi1ELb0EEvPKcS1_S1_S1_S1_PKiPfP15HIP_vector_typeIfLj2EEffffjfiS5_IjLj3EEiiiiiiiiiiiliiliiiiil,@function
_ZL15flash_attn_tileILi112ELi112ELi16ELi1ELb0EEvPKcS1_S1_S1_S1_PKiPfP15HIP_vector_typeIfLj2EEffffjfiS5_IjLj3EEiiiiiiiiiiiliiliiiiil: ; @_ZL15flash_attn_tileILi112ELi112ELi16ELi1ELb0EEvPKcS1_S1_S1_S1_PKiPfP15HIP_vector_typeIfLj2EEffffjfiS5_IjLj3EEiiiiiiiiiiiliiliiiiil
; %bb.0:
	s_load_dwordx4 s[36:39], s[0:1], 0x5c
	s_load_dwordx2 s[42:43], s[0:1], 0x80
	s_load_dwordx16 s[16:31], s[0:1], 0x0
	s_load_dwordx2 s[12:13], s[0:1], 0xb8
	s_mov_b64 s[40:41], 0
	s_waitcnt lgkmcnt(0)
	v_cvt_f32_u32_e32 v1, s39
	s_sub_i32 s5, 0, s39
	v_rcp_iflag_f32_e32 v1, v1
	s_nop 0
	v_mul_f32_e32 v1, 0x4f7ffffe, v1
	v_cvt_u32_f32_e32 v1, v1
	s_nop 0
	v_readfirstlane_b32 s6, v1
	s_mul_i32 s5, s5, s6
	s_mul_hi_u32 s5, s6, s5
	s_add_i32 s6, s6, s5
	s_mul_hi_u32 s5, s4, s6
	s_mul_i32 s6, s5, s39
	s_sub_i32 s6, s4, s6
	s_add_i32 s7, s5, 1
	s_sub_i32 s8, s6, s39
	s_cmp_ge_u32 s6, s39
	s_cselect_b32 s5, s7, s5
	s_cselect_b32 s6, s8, s6
	s_add_i32 s7, s5, 1
	s_cmp_ge_u32 s6, s39
	s_cselect_b32 s33, s7, s5
	s_abs_i32 s5, s43
	v_cvt_f32_u32_e32 v1, s5
	s_sub_i32 s8, 0, s5
	s_abs_i32 s7, s39
	s_xor_b32 s6, s39, s43
	v_rcp_iflag_f32_e32 v1, v1
	s_ashr_i32 s6, s6, 31
	s_cmp_eq_u64 s[22:23], 0
	v_mul_f32_e32 v1, 0x4f7ffffe, v1
	v_cvt_u32_f32_e32 v1, v1
	v_mul_lo_u32 v2, s8, v1
	v_mul_hi_u32 v2, v1, v2
	v_add_u32_e32 v1, v1, v2
	v_mul_hi_u32 v1, s7, v1
	v_mul_lo_u32 v2, v1, s5
	v_sub_u32_e32 v2, s7, v2
	v_add_u32_e32 v3, 1, v1
	v_subrev_u32_e32 v4, s5, v2
	v_cmp_le_u32_e32 vcc, s5, v2
	s_nop 1
	v_cndmask_b32_e32 v1, v1, v3, vcc
	v_cndmask_b32_e32 v2, v2, v4, vcc
	v_add_u32_e32 v3, 1, v1
	v_cmp_le_u32_e32 vcc, s5, v2
	s_mul_i32 s5, s33, s39
	s_nop 0
	v_cndmask_b32_e32 v1, v1, v3, vcc
	v_xor_b32_e32 v1, s6, v1
	v_subrev_u32_e32 v3, s6, v1
	v_sub_u32_e32 v1, 0, v3
	v_max_i32_e32 v2, v3, v1
	v_cvt_f32_u32_e32 v1, v2
	v_sub_u32_e32 v4, 0, v2
	v_rcp_iflag_f32_e32 v1, v1
	s_nop 0
	v_mul_f32_e32 v1, 0x4f7ffffe, v1
	v_cvt_u32_f32_e32 v1, v1
	v_mul_lo_u32 v4, v4, v1
	s_cbranch_scc1 .LBB59_2
; %bb.1:
	s_abs_i32 s8, s12
	v_cvt_f32_u32_e32 v5, s8
	s_sub_i32 s11, 0, s8
	s_abs_i32 s10, s33
	s_ashr_i32 s9, s33, 31
	v_rcp_iflag_f32_e32 v5, v5
	s_load_dwordx2 s[6:7], s[0:1], 0xc8
	v_mul_f32_e32 v5, 0x4f7ffffe, v5
	v_cvt_u32_f32_e32 v5, v5
	s_nop 0
	v_readfirstlane_b32 s12, v5
	s_mul_i32 s11, s11, s12
	s_mul_hi_u32 s11, s12, s11
	s_add_i32 s12, s12, s11
	s_mul_hi_u32 s11, s10, s12
	s_mul_i32 s11, s11, s8
	s_sub_i32 s10, s10, s11
	s_sub_i32 s11, s10, s8
	s_cmp_ge_u32 s10, s8
	s_cselect_b32 s10, s11, s10
	s_sub_i32 s11, s10, s8
	s_cmp_ge_u32 s10, s8
	s_cselect_b32 s8, s11, s10
	s_xor_b32 s8, s8, s9
	s_sub_i32 s8, s8, s9
	s_ashr_i32 s9, s8, 31
	s_waitcnt lgkmcnt(0)
	s_mul_hi_u32 s10, s6, s8
	s_mul_i32 s9, s6, s9
	s_mul_i32 s7, s7, s8
	s_add_i32 s9, s10, s9
	s_add_i32 s9, s9, s7
	s_mul_i32 s6, s6, s8
	s_add_u32 s40, s22, s6
	s_addc_u32 s41, s23, s9
.LBB59_2:
	s_load_dwordx4 s[8:11], s[0:1], 0x40
	s_sub_i32 s34, s4, s5
	s_load_dword s4, s[0:1], 0x50
	v_mul_hi_u32 v4, v1, v4
	v_mov_b32_e32 v57, 1.0
	s_waitcnt lgkmcnt(0)
	v_cmp_le_f32_e64 s[6:7], s9, 0
	s_and_b64 vcc, exec, s[6:7]
	s_cbranch_vccnz .LBB59_4
; %bb.3:
	v_mov_b32_e32 v5, s4
	v_sub_co_u32_e32 v5, vcc, s34, v5
	v_mov_b32_e32 v6, s11
	v_mov_b32_e32 v7, s10
	s_add_i32 s4, s34, 1
	v_lshlrev_b32_e32 v5, 1, v5
	v_cndmask_b32_e32 v6, v6, v7, vcc
	v_or_b32_e32 v5, 1, v5
	v_mov_b32_e32 v7, s4
	v_cndmask_b32_e32 v5, v5, v7, vcc
	v_cvt_f32_i32_e32 v5, v5
	v_cmp_neq_f32_e32 vcc, 1.0, v6
	s_mov_b32 s4, 0x3f2aaaab
	s_movk_i32 s6, 0x204
	v_cndmask_b32_e32 v5, 1.0, v5, vcc
	v_cmp_neq_f32_e32 vcc, 0, v5
	s_mov_b32 s5, 0x42b17218
	s_mov_b32 s7, 0x3fb8aa3b
	v_cndmask_b32_e32 v22, 1.0, v6, vcc
	v_frexp_mant_f32_e64 v6, |v22|
	v_cmp_gt_f32_e32 vcc, s4, v6
	s_mov_b32 s4, 0x3f317218
	s_brev_b32 s9, -2
	v_cndmask_b32_e64 v7, 1.0, 2.0, vcc
	v_mul_f32_e32 v6, v6, v7
	v_add_f32_e32 v9, 1.0, v6
	v_rcp_f32_e32 v14, v9
	v_add_f32_e32 v7, -1.0, v9
	v_sub_f32_e32 v11, v6, v7
	v_add_f32_e32 v7, -1.0, v6
	v_mul_f32_e32 v15, v7, v14
	v_mul_f32_e32 v8, v9, v15
	v_fma_f32 v10, v15, v9, -v8
	v_fmac_f32_e32 v10, v15, v11
	v_add_f32_e32 v6, v8, v10
	v_sub_f32_e32 v9, v7, v6
	v_pk_add_f32 v[12:13], v[6:7], v[8:9] neg_lo:[0,1] neg_hi:[0,1]
	v_mov_b32_e32 v11, v6
	v_pk_add_f32 v[6:7], v[12:13], v[10:11] neg_lo:[0,1] neg_hi:[0,1]
	v_mov_b32_e32 v10, 0x3e91f4c4
	v_add_f32_e32 v6, v6, v7
	v_add_f32_e32 v6, v9, v6
	v_mul_f32_e32 v7, v14, v6
	v_add_f32_e32 v6, v15, v7
	v_sub_f32_e32 v8, v6, v15
	v_sub_f32_e32 v16, v7, v8
	v_mul_f32_e32 v7, v6, v6
	v_fma_f32 v9, v6, v6, -v7
	v_add_f32_e32 v8, v16, v16
	v_fmac_f32_e32 v9, v6, v8
	v_add_f32_e32 v8, v7, v9
	v_fmac_f32_e32 v10, 0x3e76c4e1, v8
	v_fmaak_f32 v10, v8, v10, 0x3ecccdef
	v_sub_f32_e32 v7, v8, v7
	v_sub_f32_e32 v17, v9, v7
	v_mul_f32_e32 v7, v8, v10
	v_fma_f32 v9, v8, v10, -v7
	v_fmac_f32_e32 v9, v17, v10
	v_add_f32_e32 v10, v7, v9
	v_add_f32_e32 v11, 0x3f2aaaaa, v10
	v_sub_f32_e32 v7, v10, v7
	v_sub_f32_e32 v7, v9, v7
	v_add_f32_e32 v9, 0xbf2aaaaa, v11
	v_add_f32_e32 v7, 0x31739010, v7
	v_sub_f32_e32 v9, v10, v9
	v_pk_mul_f32 v[12:13], v[6:7], v[8:9]
	v_pk_add_f32 v[14:15], v[6:7], v[8:9]
	v_fma_f32 v10, v8, v6, -v12
	v_fmac_f32_e32 v10, v8, v16
	v_mov_b32_e32 v13, v15
	v_fmac_f32_e32 v10, v17, v6
	v_pk_add_f32 v[8:9], v[12:13], v[10:11]
	v_ldexp_f32 v18, v16, 1
	v_sub_f32_e32 v7, v8, v12
	v_sub_f32_e32 v7, v10, v7
	;; [unrolled: 1-line block ×3, first 2 shown]
	v_add_f32_e32 v13, v15, v10
	v_pk_mul_f32 v[10:11], v[8:9], v[8:9] op_sel:[0,1] op_sel_hi:[1,0]
	v_cvt_f64_f32_e64 v[14:15], |v22|
	v_frexp_exp_i32_f64_e32 v11, v[14:15]
	v_subbrev_co_u32_e32 v11, vcc, 0, v11, vcc
	v_cvt_f32_i32_e32 v11, v11
	v_fma_f32 v12, v8, v9, -v10
	v_fmac_f32_e32 v12, v8, v13
	v_fmac_f32_e32 v12, v7, v9
	v_mul_f32_e32 v8, 0x3f317218, v11
	v_fma_f32 v7, v11, s4, -v8
	v_fmamk_f32 v14, v11, 0xb102e308, v7
	v_ldexp_f32 v15, v6, 1
	v_add_f32_e32 v9, v10, v12
	v_pk_add_f32 v[6:7], v[8:9], v[14:15]
	v_mov_b32_e32 v16, v9
	v_mov_b32_e32 v17, v7
	;; [unrolled: 1-line block ×3, first 2 shown]
	v_pk_add_f32 v[10:11], v[16:17], v[10:11] neg_lo:[0,1] neg_hi:[0,1]
	v_mov_b32_e32 v13, v9
	v_pk_add_f32 v[10:11], v[12:13], v[10:11] neg_lo:[0,1] neg_hi:[0,1]
	v_mov_b32_e32 v15, v6
	v_add_f32_e32 v9, v18, v10
	v_add_f32_e32 v9, v9, v11
	v_pk_add_f32 v[10:11], v[6:7], v[8:9] neg_lo:[0,1] neg_hi:[0,1]
	v_pk_add_f32 v[12:13], v[6:7], v[8:9]
	v_mov_b32_e32 v20, v7
	v_mov_b32_e32 v11, v13
	v_pk_add_f32 v[16:17], v[14:15], v[10:11] neg_lo:[0,1] neg_hi:[0,1]
	v_pk_add_f32 v[10:11], v[14:15], v[10:11]
	v_mov_b32_e32 v8, v9
	v_pk_add_f32 v[14:15], v[10:11], v[6:7] op_sel:[1,0] op_sel_hi:[0,1] neg_lo:[0,1] neg_hi:[0,1]
	v_pk_add_f32 v[18:19], v[12:13], v[14:15] op_sel_hi:[1,0] neg_lo:[0,1] neg_hi:[0,1]
	v_mov_b32_e32 v12, v13
	v_mov_b32_e32 v13, v11
	;; [unrolled: 1-line block ×3, first 2 shown]
	v_pk_add_f32 v[12:13], v[12:13], v[20:21] neg_lo:[0,1] neg_hi:[0,1]
	v_mov_b32_e32 v9, v6
	v_pk_add_f32 v[6:7], v[8:9], v[12:13] neg_lo:[0,1] neg_hi:[0,1]
	v_mov_b32_e32 v18, v16
	v_pk_add_f32 v[8:9], v[18:19], v[6:7]
	v_mov_b32_e32 v17, v11
	v_pk_add_f32 v[12:13], v[8:9], v[8:9] op_sel:[0,1] op_sel_hi:[1,0]
	s_mov_b32 s4, 0x7f800000
	v_pk_add_f32 v[10:11], v[10:11], v[12:13] op_sel:[1,0] op_sel_hi:[0,1]
	v_mov_b32_e32 v9, v10
	v_pk_add_f32 v[14:15], v[8:9], v[16:17] neg_lo:[0,1] neg_hi:[0,1]
	v_mov_b32_e32 v7, v12
	v_sub_f32_e32 v8, v8, v14
	v_pk_add_f32 v[6:7], v[6:7], v[14:15] neg_lo:[0,1] neg_hi:[0,1]
	v_sub_f32_e32 v8, v16, v8
	v_add_f32_e32 v6, v6, v8
	v_add_f32_e32 v6, v6, v7
	;; [unrolled: 1-line block ×3, first 2 shown]
	v_sub_f32_e32 v8, v7, v10
	v_sub_f32_e32 v6, v6, v8
	v_mul_f32_e32 v8, v5, v7
	v_fma_f32 v7, v5, v7, -v8
	v_fmac_f32_e32 v7, v5, v6
	v_add_f32_e32 v6, v8, v7
	v_cmp_class_f32_e64 vcc, v8, s6
	v_sub_f32_e32 v9, v6, v8
	v_sub_f32_e32 v7, v7, v9
	v_cndmask_b32_e32 v6, v6, v8, vcc
	v_mov_b32_e32 v8, 0x37000000
	v_cmp_eq_f32_e32 vcc, s5, v6
	v_cmp_class_f32_e64 s[10:11], v22, s6
	s_nop 0
	v_cndmask_b32_e32 v8, 0, v8, vcc
	v_sub_f32_e32 v9, v6, v8
	v_mul_f32_e32 v10, 0x3fb8aa3b, v9
	v_fma_f32 v11, v9, s7, -v10
	v_rndne_f32_e32 v12, v10
	v_fmamk_f32 v11, v9, 0x32a5705f, v11
	v_sub_f32_e32 v10, v10, v12
	v_add_f32_e32 v10, v10, v11
	v_exp_f32_e32 v10, v10
	v_cvt_i32_f32_e32 v11, v12
	v_cmp_neq_f32_e64 vcc, |v6|, s4
	s_mov_b32 s4, 0xc2ce8ed0
	s_nop 0
	v_cndmask_b32_e32 v6, 0, v7, vcc
	v_ldexp_f32 v7, v10, v11
	v_cmp_ngt_f32_e32 vcc, s4, v9
	v_add_f32_e32 v6, v8, v6
	v_mov_b32_e32 v8, 0x7f800000
	v_cndmask_b32_e32 v7, 0, v7, vcc
	v_cmp_nlt_f32_e32 vcc, s5, v9
	v_mov_b32_e32 v9, 0x7fc00000
	s_nop 0
	v_cndmask_b32_e32 v7, v8, v7, vcc
	v_fma_f32 v6, v7, v6, v7
	v_cmp_class_f32_e64 vcc, v7, s6
	v_cmp_gt_f32_e64 s[6:7], 0, v5
	s_nop 0
	v_cndmask_b32_e32 v6, v6, v7, vcc
	v_trunc_f32_e32 v7, v5
	v_cmp_eq_f32_e32 vcc, v7, v5
	v_mul_f32_e32 v7, 0.5, v5
	v_trunc_f32_e32 v10, v7
	v_cmp_neq_f32_e64 s[4:5], v10, v7
	s_and_b64 s[4:5], vcc, s[4:5]
	s_nop 0
	v_cndmask_b32_e64 v7, 1.0, v22, s[4:5]
	v_bfi_b32 v6, s9, v6, v7
	v_cndmask_b32_e32 v7, v9, v6, vcc
	v_cmp_gt_f32_e32 vcc, 0, v22
	s_nop 1
	v_cndmask_b32_e32 v6, v6, v7, vcc
	v_cmp_eq_f32_e32 vcc, 0, v22
	s_xor_b64 s[6:7], s[6:7], vcc
	v_cndmask_b32_e64 v5, v8, 0, s[6:7]
	v_cndmask_b32_e64 v7, 0, v22, s[4:5]
	v_bfi_b32 v5, s9, v5, v7
	s_or_b64 vcc, vcc, s[10:11]
	v_cndmask_b32_e32 v5, v6, v5, vcc
	v_cmp_o_f32_e32 vcc, v22, v22
	s_nop 1
	v_cndmask_b32_e32 v57, v9, v5, vcc
.LBB59_4:
	s_load_dwordx4 s[4:7], s[0:1], 0x70
	s_abs_i32 s9, s34
	s_lshl_b32 s43, s2, 4
	v_bfe_u32 v55, v0, 10, 10
	v_and_b32_e32 v49, 0x3ff, v0
	s_waitcnt lgkmcnt(0)
	s_mul_i32 s6, s33, s6
	s_ashr_i32 s7, s6, 31
	s_mul_i32 s5, s34, s5
	s_add_u32 s6, s16, s6
	s_addc_u32 s7, s17, s7
	s_ashr_i32 s10, s5, 31
	s_add_u32 s6, s6, s5
	v_add_u32_e32 v4, v1, v4
	s_addc_u32 s7, s7, s10
	v_lshlrev_b32_e32 v87, 1, v55
	s_ashr_i32 s5, s4, 31
	v_lshlrev_b32_e32 v0, 4, v49
	v_mov_b32_e32 v1, 0
	v_lshlrev_b32_e32 v90, 3, v49
	v_cmp_gt_u32_e64 s[22:23], 28, v49
	s_lshr_b64 s[4:5], s[4:5], 2
	v_lshl_add_u64 v[0:1], s[6:7], 0, v[0:1]
	v_add_u32_e32 v5, 0x1040, v90
	v_add_u32_e32 v89, s43, v87
	s_and_saveexec_b64 s[6:7], s[22:23]
	s_cbranch_execz .LBB59_6
; %bb.5:
	v_mul_hi_u32 v6, v89, s36
	v_add_u32_e32 v6, v89, v6
	v_lshrrev_b32_e32 v6, s37, v6
	v_mul_lo_u32 v6, v6, s38
	v_sub_u32_e32 v9, v89, v6
	v_mad_u64_u32 v[6:7], s[10:11], s4, v9, 0
	v_mov_b32_e32 v8, v7
	v_mad_u64_u32 v[8:9], s[10:11], s5, v9, v[8:9]
	v_mov_b32_e32 v7, v8
	v_lshl_add_u64 v[6:7], v[6:7], 2, v[0:1]
	global_load_dwordx4 v[6:9], v[6:7], off
	s_movk_i32 s10, 0x1c0
	v_mad_u32_u24 v10, v55, s10, v5
	s_waitcnt vmcnt(0)
	v_fma_mixlo_f16 v11, s8, v6, 0
	v_mov_b32_e32 v6, v9
	v_pk_mul_f32 v[6:7], s[8:9], v[6:7] op_sel_hi:[0,1]
	v_cvt_pk_f16_f32 v6, v6, v7
	v_fma_mixlo_f16 v8, s8, v8, 0
	v_and_b32_e32 v9, 0xffff, v11
	v_lshlrev_b32_e32 v7, 16, v6
	v_and_b32_e32 v6, 0xffff0000, v6
	v_and_b32_e32 v8, 0xffff, v8
	v_or_b32_e32 v6, v6, v9
	v_or3_b32 v7, v7, v8, 0
	v_or3_b32 v6, 0, 0, v6
	ds_write_b64 v10, v[6:7]
.LBB59_6:
	s_or_b64 exec, exec, s[6:7]
	v_or_b32_e32 v86, 1, v87
	v_mul_hi_u32 v4, s9, v4
	v_add_u32_e32 v88, s43, v86
	s_and_saveexec_b64 s[6:7], s[22:23]
	s_cbranch_execz .LBB59_8
; %bb.7:
	v_mul_hi_u32 v6, v88, s36
	v_add_u32_e32 v6, v88, v6
	v_lshrrev_b32_e32 v6, s37, v6
	v_mul_lo_u32 v6, v6, s38
	v_sub_u32_e32 v9, v88, v6
	v_mad_u64_u32 v[6:7], s[10:11], s4, v9, 0
	v_mov_b32_e32 v8, v7
	v_mad_u64_u32 v[8:9], s[4:5], s5, v9, v[8:9]
	v_mov_b32_e32 v7, v8
	v_lshl_add_u64 v[0:1], v[6:7], 2, v[0:1]
	global_load_dwordx4 v[6:9], v[0:1], off
	s_movk_i32 s4, 0xe0
	v_mad_u32_u24 v5, v86, s4, v5
	s_waitcnt vmcnt(0)
	v_fma_mixlo_f16 v0, s8, v6, 0
	v_fma_mixlo_f16 v1, s8, v8, 0
	v_mov_b32_e32 v6, v9
	v_and_b32_e32 v8, 0xffff, v0
	v_and_b32_e32 v9, 0xffff, v1
	v_pk_mul_f32 v[0:1], s[8:9], v[6:7] op_sel_hi:[0,1]
	v_cvt_pk_f16_f32 v0, v0, v1
	v_lshlrev_b32_e32 v1, 16, v0
	v_and_b32_e32 v0, 0xffff0000, v0
	v_or_b32_e32 v0, v0, v8
	v_or3_b32 v1, v1, v9, 0
	v_or3_b32 v0, 0, 0, v0
	ds_write_b64 v5, v[0:1]
.LBB59_8:
	s_or_b64 exec, exec, s[6:7]
	s_ashr_i32 s35, s34, 31
	v_ashrrev_i32_e32 v0, 31, v3
	s_cmp_eq_u64 s[26:27], 0
	s_waitcnt lgkmcnt(0)
	s_barrier
	s_cbranch_scc1 .LBB59_10
; %bb.9:
	s_load_dword s4, s[0:1], 0xd0
	s_mov_b32 s5, 0
	s_waitcnt lgkmcnt(0)
	s_mul_i32 s4, s4, s33
	s_add_i32 s4, s4, s2
	s_lshl_b64 s[4:5], s[4:5], 2
	s_add_u32 s4, s26, s4
	s_addc_u32 s5, s27, s5
	s_load_dword s42, s[4:5], 0x0
.LBB59_10:
	s_load_dwordx2 s[10:11], s[0:1], 0x8c
	s_nop 0
	s_load_dwordx4 s[4:7], s[0:1], 0x98
	v_mul_lo_u32 v1, v4, v2
	v_sub_u32_e32 v1, s9, v1
	v_add_u32_e32 v3, 1, v4
	v_sub_u32_e32 v5, v1, v2
	v_cmp_ge_u32_e32 vcc, v1, v2
	s_waitcnt lgkmcnt(0)
	s_ashr_i32 s2, s6, 2
	s_ashr_i32 s6, s33, 31
	v_cndmask_b32_e32 v3, v4, v3, vcc
	v_cndmask_b32_e32 v1, v1, v5, vcc
	v_add_u32_e32 v4, 1, v3
	v_cmp_ge_u32_e32 vcc, v1, v2
	s_load_dwordx2 s[14:15], s[0:1], 0xa8
	s_ashr_i32 s50, s10, 2
	s_mul_hi_u32 s8, s4, s33
	s_mul_i32 s10, s4, s6
	v_xor_b32_e32 v0, s35, v0
	v_cndmask_b32_e32 v1, v3, v4, vcc
	s_add_i32 s8, s8, s10
	s_mul_i32 s5, s5, s33
	v_xor_b32_e32 v1, v1, v0
	s_ashr_i32 s49, s13, 1
	s_add_i32 s8, s8, s5
	s_mul_i32 s4, s4, s33
	v_sub_u32_e32 v2, v1, v0
	s_add_u32 s4, s18, s4
	v_mul_lo_u32 v0, v2, s11
	s_addc_u32 s5, s19, s8
	v_ashrrev_i32_e32 v1, 31, v0
	v_lshl_add_u64 v[62:63], s[4:5], 0, v[0:1]
	s_waitcnt lgkmcnt(0)
	s_mul_hi_u32 s4, s14, s33
	s_mul_i32 s5, s14, s6
	s_add_i32 s4, s4, s5
	s_mul_i32 s5, s15, s33
	s_add_i32 s5, s4, s5
	s_mul_i32 s4, s14, s33
	s_add_u32 s4, s20, s4
	v_mul_lo_u32 v0, v2, s7
	v_lshlrev_b32_e32 v48, 2, v49
	s_addc_u32 s5, s21, s5
	v_ashrrev_i32_e32 v1, 31, v0
	s_lshl_b32 s48, s3, 5
	s_sub_i32 s51, s42, 32
	v_lshl_add_u64 v[52:53], s[4:5], 0, v[0:1]
	s_cmp_ge_i32 s48, s51
	v_lshl_add_u32 v99, v55, 5, v49
	v_lshrrev_b32_e32 v98, 1, v49
	v_lshrrev_b32_e32 v61, 2, v49
	v_lshlrev_b32_e32 v97, 7, v49
	v_and_b32_e32 v56, 4, v48
	v_and_b32_e32 v60, 12, v48
	v_lshrrev_b32_e32 v95, 3, v49
	v_and_b32_e32 v54, 28, v48
	v_mbcnt_lo_u32_b32 v96, -1, 0
	s_cbranch_scc1 .LBB59_42
; %bb.11:
	s_movk_i32 s10, 0x1c0
	v_mov_b32_e32 v4, 0x1040
	v_mad_u32_u24 v103, v55, s10, v4
	v_mul_hi_u32 v4, s36, v89
	v_add_u32_e32 v4, v89, v4
	v_lshrrev_b32_e32 v4, s37, v4
	v_mul_lo_u32 v4, v4, s38
	v_sub_u32_e32 v4, v89, v4
	v_mul_lo_u32 v104, v4, s49
	v_or_b32_e32 v4, 1, v89
	v_mul_hi_u32 v5, s36, v4
	v_add_u32_e32 v5, v4, v5
	v_lshrrev_b32_e32 v5, s37, v5
	v_mul_lo_u32 v5, v5, s38
	v_lshl_add_u32 v0, v55, 4, v98
	v_sub_u32_e32 v4, v4, v5
	v_lshl_add_u32 v1, v55, 3, v61
	v_lshlrev_b32_e32 v2, 7, v0
	v_lshlrev_b32_e32 v3, 2, v56
	v_mul_lo_u32 v105, v4, s49
	v_mov_b32_e32 v4, 0x1e40
	v_cmp_gt_u32_e64 s[6:7], 32, v0
	v_or3_b32 v101, v2, v3, 64
	v_mul_lo_u32 v66, s50, v0
	v_lshlrev_b32_e32 v2, 2, v60
	s_cmp_lg_u64 s[40:41], 0
	v_lshl_add_u32 v106, v55, 7, v4
	v_cmp_gt_u32_e64 s[10:11], 16, v0
	v_lshl_add_u32 v4, v55, 2, v95
	v_mul_u32_u24_e32 v5, 0xe0, v0
	v_mul_lo_u32 v72, s2, v0
	v_mul_u32_u24_e32 v0, 0xe0, v1
	s_movk_i32 s17, 0x80
	v_mul_lo_u32 v64, s50, v99
	v_mov_b32_e32 v69, 0
	v_mul_lo_u32 v70, s50, v1
	s_cselect_b64 s[26:27], -1, 0
	s_movk_i32 s16, 0xe0
	v_or_b32_e32 v3, v5, v3
	v_add3_u32 v108, v0, v2, s17
	v_mul_lo_u32 v74, s2, v1
	v_lshlrev_b32_e32 v0, 2, v54
	v_mul_lo_u32 v76, s2, v4
	s_add_u32 s44, s0, 0xd0
	v_cmp_gt_u32_e64 s[4:5], 32, v99
	v_cmp_gt_u32_e64 s[8:9], 32, v1
	v_or_b32_e32 v100, 0x60, v97
	v_ashrrev_i32_e32 v65, 31, v64
	v_ashrrev_i32_e32 v67, 31, v66
	v_lshl_or_b32 v102, v1, 7, v2
	v_ashrrev_i32_e32 v71, 31, v70
	v_cmp_gt_u32_e64 s[12:13], 16, v1
	v_cmp_gt_u32_e64 s[14:15], 16, v4
	v_add_u32_e32 v107, 0xc0, v3
	v_ashrrev_i32_e32 v73, 31, v72
	v_ashrrev_i32_e32 v75, 31, v74
	v_mad_u32_u24 v109, v4, s16, v0
	v_ashrrev_i32_e32 v77, 31, v76
	s_addc_u32 s45, s1, 0
	v_mov_b32_e32 v6, 0xfeffffff
	s_mov_b32 s52, 0x3fb8aa3b
	s_mov_b32 s53, 0xc2ce8ed0
	;; [unrolled: 1-line block ×4, first 2 shown]
	v_lshlrev_b32_e32 v68, 2, v56
	v_lshlrev_b32_e32 v78, 2, v60
	v_mbcnt_hi_u32_b32 v110, -1, v96
	v_mov_b32_e32 v111, 0x7f800000
	v_mov_b32_e32 v92, v69
	;; [unrolled: 1-line block ×8, first 2 shown]
.LBB59_12:                              ; =>This Inner Loop Header: Depth=1
	s_mul_hi_i32 s17, s48, s50
	s_mul_i32 s16, s48, s50
	s_lshl_b64 s[16:17], s[16:17], 2
	v_lshl_add_u64 v[2:3], v[62:63], 0, s[16:17]
	v_lshl_add_u64 v[4:5], v[64:65], 2, v[2:3]
	s_and_saveexec_b64 s[16:17], s[4:5]
	s_cbranch_execnz .LBB59_34
; %bb.13:                               ;   in Loop: Header=BB59_12 Depth=1
	s_or_b64 exec, exec, s[16:17]
	v_lshl_add_u64 v[0:1], v[66:67], 2, v[2:3]
	s_and_saveexec_b64 s[16:17], s[6:7]
	s_cbranch_execnz .LBB59_35
.LBB59_14:                              ;   in Loop: Header=BB59_12 Depth=1
	s_or_b64 exec, exec, s[16:17]
	v_lshl_add_u64 v[2:3], v[70:71], 2, v[2:3]
	s_and_saveexec_b64 s[16:17], s[8:9]
	s_cbranch_execz .LBB59_16
.LBB59_15:                              ;   in Loop: Header=BB59_12 Depth=1
	v_mov_b32_e32 v79, v69
	v_lshl_add_u64 v[8:9], v[2:3], 0, v[78:79]
	global_load_dwordx4 v[8:11], v[8:9], off
	s_waitcnt vmcnt(0)
	ds_write_b128 v102, v[8:11]
.LBB59_16:                              ;   in Loop: Header=BB59_12 Depth=1
	s_or_b64 exec, exec, s[16:17]
	s_waitcnt lgkmcnt(0)
	s_barrier
	ds_read_b128 v[10:13], v97
	ds_read_b128 v[14:17], v103
	ds_read_b128 v[18:21], v103 offset:224
	v_mov_b32_e32 v9, 0
	s_waitcnt lgkmcnt(1)
	;;#ASMSTART
	v_dot2_f32_f16 v9, v10, v14, v9
	;;#ASMEND
	s_nop 0
	;;#ASMSTART
	v_dot2_f32_f16 v9, v11, v15, v9
	;;#ASMEND
	v_mov_b32_e32 v8, 0
	;;#ASMSTART
	v_dot2_f32_f16 v9, v12, v16, v9
	;;#ASMEND
	s_nop 0
	;;#ASMSTART
	v_dot2_f32_f16 v9, v13, v17, v9
	;;#ASMEND
	s_waitcnt lgkmcnt(0)
	;;#ASMSTART
	v_dot2_f32_f16 v8, v10, v18, v8
	;;#ASMEND
	s_nop 0
	;;#ASMSTART
	v_dot2_f32_f16 v8, v11, v19, v8
	;;#ASMEND
	s_nop 0
	;;#ASMSTART
	v_dot2_f32_f16 v8, v12, v20, v8
	;;#ASMEND
	s_nop 0
	;;#ASMSTART
	v_dot2_f32_f16 v8, v13, v21, v8
	;;#ASMEND
	ds_read_b128 v[10:13], v97 offset:16
	ds_read_b128 v[14:17], v103 offset:16
	ds_read_b128 v[18:21], v103 offset:240
	s_waitcnt lgkmcnt(1)
	;;#ASMSTART
	v_dot2_f32_f16 v9, v10, v14, v9
	;;#ASMEND
	s_nop 0
	;;#ASMSTART
	v_dot2_f32_f16 v9, v11, v15, v9
	;;#ASMEND
	s_nop 0
	;;#ASMSTART
	v_dot2_f32_f16 v9, v12, v16, v9
	;;#ASMEND
	s_nop 0
	;;#ASMSTART
	v_dot2_f32_f16 v9, v13, v17, v9
	;;#ASMEND
	s_waitcnt lgkmcnt(0)
	;;#ASMSTART
	v_dot2_f32_f16 v8, v10, v18, v8
	;;#ASMEND
	s_nop 0
	;;#ASMSTART
	v_dot2_f32_f16 v8, v11, v19, v8
	;;#ASMEND
	s_nop 0
	;;#ASMSTART
	v_dot2_f32_f16 v8, v12, v20, v8
	;;#ASMEND
	s_nop 0
	;;#ASMSTART
	v_dot2_f32_f16 v8, v13, v21, v8
	;;#ASMEND
	ds_read_b128 v[10:13], v97 offset:32
	ds_read_b128 v[14:17], v103 offset:32
	ds_read_b128 v[18:21], v103 offset:256
	s_waitcnt lgkmcnt(1)
	;;#ASMSTART
	v_dot2_f32_f16 v9, v10, v14, v9
	;;#ASMEND
	s_nop 0
	;;#ASMSTART
	v_dot2_f32_f16 v9, v11, v15, v9
	;;#ASMEND
	s_nop 0
	;;#ASMSTART
	v_dot2_f32_f16 v9, v12, v16, v9
	;;#ASMEND
	s_nop 0
	;;#ASMSTART
	v_dot2_f32_f16 v9, v13, v17, v9
	;;#ASMEND
	s_waitcnt lgkmcnt(0)
	;;#ASMSTART
	v_dot2_f32_f16 v8, v10, v18, v8
	;;#ASMEND
	s_nop 0
	;;#ASMSTART
	v_dot2_f32_f16 v8, v11, v19, v8
	;;#ASMEND
	s_nop 0
	;;#ASMSTART
	v_dot2_f32_f16 v8, v12, v20, v8
	;;#ASMEND
	s_nop 0
	;;#ASMSTART
	v_dot2_f32_f16 v8, v13, v21, v8
	;;#ASMEND
	ds_read_b128 v[10:13], v97 offset:48
	ds_read_b128 v[14:17], v103 offset:48
	ds_read_b128 v[18:21], v103 offset:272
	s_waitcnt lgkmcnt(1)
	;;#ASMSTART
	v_dot2_f32_f16 v9, v10, v14, v9
	;;#ASMEND
	s_nop 0
	;;#ASMSTART
	v_dot2_f32_f16 v9, v11, v15, v9
	;;#ASMEND
	s_nop 0
	;;#ASMSTART
	v_dot2_f32_f16 v9, v12, v16, v9
	;;#ASMEND
	s_nop 0
	;;#ASMSTART
	v_dot2_f32_f16 v9, v13, v17, v9
	;;#ASMEND
	s_waitcnt lgkmcnt(0)
	;;#ASMSTART
	v_dot2_f32_f16 v8, v10, v18, v8
	;;#ASMEND
	s_nop 0
	;;#ASMSTART
	v_dot2_f32_f16 v8, v11, v19, v8
	;;#ASMEND
	s_nop 0
	;;#ASMSTART
	v_dot2_f32_f16 v8, v12, v20, v8
	;;#ASMEND
	s_nop 0
	;;#ASMSTART
	v_dot2_f32_f16 v8, v13, v21, v8
	;;#ASMEND
	ds_read_b128 v[10:13], v97 offset:64
	ds_read_b128 v[14:17], v103 offset:64
	ds_read_b128 v[18:21], v103 offset:288
	s_waitcnt lgkmcnt(1)
	;;#ASMSTART
	v_dot2_f32_f16 v9, v10, v14, v9
	;;#ASMEND
	s_nop 0
	;;#ASMSTART
	v_dot2_f32_f16 v9, v11, v15, v9
	;;#ASMEND
	s_nop 0
	;;#ASMSTART
	v_dot2_f32_f16 v9, v12, v16, v9
	;;#ASMEND
	s_nop 0
	;;#ASMSTART
	v_dot2_f32_f16 v9, v13, v17, v9
	;;#ASMEND
	s_waitcnt lgkmcnt(0)
	;;#ASMSTART
	v_dot2_f32_f16 v8, v10, v18, v8
	;;#ASMEND
	s_nop 0
	;;#ASMSTART
	v_dot2_f32_f16 v8, v11, v19, v8
	;;#ASMEND
	s_nop 0
	;;#ASMSTART
	v_dot2_f32_f16 v8, v12, v20, v8
	;;#ASMEND
	s_nop 0
	;;#ASMSTART
	v_dot2_f32_f16 v8, v13, v21, v8
	;;#ASMEND
	ds_read_b128 v[10:13], v97 offset:80
	ds_read_b128 v[14:17], v103 offset:80
	ds_read_b128 v[18:21], v103 offset:304
	s_waitcnt lgkmcnt(1)
	;;#ASMSTART
	v_dot2_f32_f16 v9, v10, v14, v9
	;;#ASMEND
	s_nop 0
	;;#ASMSTART
	v_dot2_f32_f16 v9, v11, v15, v9
	;;#ASMEND
	s_nop 0
	;;#ASMSTART
	v_dot2_f32_f16 v9, v12, v16, v9
	;;#ASMEND
	s_nop 0
	;;#ASMSTART
	v_dot2_f32_f16 v9, v13, v17, v9
	;;#ASMEND
	s_waitcnt lgkmcnt(0)
	;;#ASMSTART
	v_dot2_f32_f16 v8, v10, v18, v8
	;;#ASMEND
	s_nop 0
	;;#ASMSTART
	v_dot2_f32_f16 v8, v11, v19, v8
	;;#ASMEND
	s_nop 0
	;;#ASMSTART
	v_dot2_f32_f16 v8, v12, v20, v8
	;;#ASMEND
	s_nop 0
	;;#ASMSTART
	v_dot2_f32_f16 v8, v13, v21, v8
	;;#ASMEND
	ds_read_b128 v[10:13], v97 offset:96
	ds_read_b128 v[14:17], v103 offset:96
	ds_read_b128 v[18:21], v103 offset:320
	s_waitcnt lgkmcnt(1)
	;;#ASMSTART
	v_dot2_f32_f16 v9, v10, v14, v9
	;;#ASMEND
	s_nop 0
	;;#ASMSTART
	v_dot2_f32_f16 v9, v11, v15, v9
	;;#ASMEND
	s_nop 0
	;;#ASMSTART
	v_dot2_f32_f16 v9, v12, v16, v9
	;;#ASMEND
	s_nop 0
	;;#ASMSTART
	v_dot2_f32_f16 v9, v13, v17, v9
	;;#ASMEND
	s_waitcnt lgkmcnt(0)
	;;#ASMSTART
	v_dot2_f32_f16 v8, v10, v18, v8
	;;#ASMEND
	s_nop 0
	;;#ASMSTART
	v_dot2_f32_f16 v8, v11, v19, v8
	;;#ASMEND
	s_nop 0
	;; [unrolled: 4-line block ×3, first 2 shown]
	;;#ASMSTART
	v_dot2_f32_f16 v8, v13, v21, v8
	;;#ASMEND
	s_barrier
	s_and_saveexec_b64 s[16:17], s[4:5]
	s_cbranch_execnz .LBB59_36
; %bb.17:                               ;   in Loop: Header=BB59_12 Depth=1
	s_or_b64 exec, exec, s[16:17]
	s_and_saveexec_b64 s[16:17], s[6:7]
	s_cbranch_execnz .LBB59_37
.LBB59_18:                              ;   in Loop: Header=BB59_12 Depth=1
	s_or_b64 exec, exec, s[16:17]
	s_and_saveexec_b64 s[16:17], s[8:9]
	s_cbranch_execz .LBB59_20
.LBB59_19:                              ;   in Loop: Header=BB59_12 Depth=1
	v_mov_b32_e32 v79, v69
	v_lshl_add_u64 v[0:1], v[2:3], 0, v[78:79]
	global_load_dwordx4 v[0:3], v[0:1], off offset:112
	s_waitcnt vmcnt(0)
	ds_write_b128 v102, v[0:3]
.LBB59_20:                              ;   in Loop: Header=BB59_12 Depth=1
	s_or_b64 exec, exec, s[16:17]
	s_waitcnt lgkmcnt(0)
	s_barrier
	ds_read_b128 v[0:3], v97
	ds_read_b128 v[10:13], v103 offset:112
	ds_read_b128 v[14:17], v103 offset:336
	s_waitcnt lgkmcnt(1)
	;;#ASMSTART
	v_dot2_f32_f16 v9, v0, v10, v9
	;;#ASMEND
	s_nop 0
	;;#ASMSTART
	v_dot2_f32_f16 v9, v1, v11, v9
	;;#ASMEND
	s_andn2_b64 vcc, exec, s[26:27]
	;;#ASMSTART
	v_dot2_f32_f16 v9, v2, v12, v9
	;;#ASMEND
	s_nop 0
	;;#ASMSTART
	v_dot2_f32_f16 v9, v3, v13, v9
	;;#ASMEND
	s_waitcnt lgkmcnt(0)
	;;#ASMSTART
	v_dot2_f32_f16 v8, v0, v14, v8
	;;#ASMEND
	s_nop 0
	;;#ASMSTART
	v_dot2_f32_f16 v8, v1, v15, v8
	;;#ASMEND
	s_nop 0
	;;#ASMSTART
	v_dot2_f32_f16 v8, v2, v16, v8
	;;#ASMEND
	s_nop 0
	;;#ASMSTART
	v_dot2_f32_f16 v8, v3, v17, v8
	;;#ASMEND
	ds_read_b128 v[0:3], v97 offset:16
	ds_read_b128 v[10:13], v103 offset:128
	ds_read_b128 v[14:17], v103 offset:352
	s_waitcnt lgkmcnt(1)
	;;#ASMSTART
	v_dot2_f32_f16 v9, v0, v10, v9
	;;#ASMEND
	s_nop 0
	;;#ASMSTART
	v_dot2_f32_f16 v9, v1, v11, v9
	;;#ASMEND
	s_nop 0
	;;#ASMSTART
	v_dot2_f32_f16 v9, v2, v12, v9
	;;#ASMEND
	s_nop 0
	;;#ASMSTART
	v_dot2_f32_f16 v9, v3, v13, v9
	;;#ASMEND
	s_waitcnt lgkmcnt(0)
	;;#ASMSTART
	v_dot2_f32_f16 v8, v0, v14, v8
	;;#ASMEND
	s_nop 0
	;;#ASMSTART
	v_dot2_f32_f16 v8, v1, v15, v8
	;;#ASMEND
	s_nop 0
	;;#ASMSTART
	v_dot2_f32_f16 v8, v2, v16, v8
	;;#ASMEND
	s_nop 0
	;;#ASMSTART
	v_dot2_f32_f16 v8, v3, v17, v8
	;;#ASMEND
	ds_read_b128 v[0:3], v97 offset:32
	ds_read_b128 v[10:13], v103 offset:144
	ds_read_b128 v[14:17], v103 offset:368
	s_waitcnt lgkmcnt(1)
	;;#ASMSTART
	v_dot2_f32_f16 v9, v0, v10, v9
	;;#ASMEND
	s_nop 0
	;;#ASMSTART
	v_dot2_f32_f16 v9, v1, v11, v9
	;;#ASMEND
	s_nop 0
	;; [unrolled: 35-line block ×6, first 2 shown]
	;;#ASMSTART
	v_dot2_f32_f16 v9, v2, v12, v9
	;;#ASMEND
	s_nop 0
	;;#ASMSTART
	v_dot2_f32_f16 v9, v3, v13, v9
	;;#ASMEND
	s_waitcnt lgkmcnt(0)
	;;#ASMSTART
	v_dot2_f32_f16 v8, v0, v14, v8
	;;#ASMEND
	v_mov_b32_e32 v0, 0
	;;#ASMSTART
	v_dot2_f32_f16 v8, v1, v15, v8
	;;#ASMEND
	v_add_u32_e32 v1, s48, v49
	;;#ASMSTART
	v_dot2_f32_f16 v8, v2, v16, v8
	;;#ASMEND
	v_cndmask_b32_e64 v2, 0, 1, s[26:27]
	v_cmp_ne_u32_e64 s[16:17], 1, v2
	v_mov_b32_e32 v2, 0
	;;#ASMSTART
	v_dot2_f32_f16 v8, v3, v17, v8
	;;#ASMEND
	s_cbranch_vccnz .LBB59_22
; %bb.21:                               ;   in Loop: Header=BB59_12 Depth=1
	v_add_u32_e32 v2, v1, v104
	v_ashrrev_i32_e32 v3, 31, v2
	v_lshl_add_u64 v[2:3], v[2:3], 1, s[40:41]
	global_load_ushort v2, v[2:3], off
	s_waitcnt vmcnt(0)
	v_cvt_f32_f16_e32 v2, v2
	v_mul_f32_e32 v2, v57, v2
.LBB59_22:                              ;   in Loop: Header=BB59_12 Depth=1
	v_and_b32_e32 v3, 0x60, v110
	v_add_u32_e32 v4, 32, v3
	v_xor_b32_e32 v3, 16, v110
	v_cmp_lt_i32_e32 vcc, v3, v4
	v_add_f32_e32 v2, v9, v2
	v_add_f32_e32 v5, 0x40051340, v2
	v_cndmask_b32_e32 v3, v110, v3, vcc
	v_max_f32_e32 v9, v6, v6
	v_lshlrev_b32_e32 v3, 2, v3
	v_max_f32_e32 v5, v9, v5
	ds_bpermute_b32 v9, v3, v5
	v_xor_b32_e32 v10, 8, v110
	v_cmp_lt_i32_e32 vcc, v10, v4
	v_xor_b32_e32 v13, 1, v110
	s_waitcnt lgkmcnt(0)
	v_max_f32_e32 v9, v9, v9
	v_cndmask_b32_e32 v10, v110, v10, vcc
	v_lshlrev_b32_e32 v10, 2, v10
	v_max_f32_e32 v5, v5, v9
	ds_bpermute_b32 v11, v10, v5
	v_xor_b32_e32 v9, 4, v110
	v_cmp_lt_i32_e32 vcc, v9, v4
	s_waitcnt lgkmcnt(0)
	v_max_f32_e32 v11, v11, v11
	v_cndmask_b32_e32 v9, v110, v9, vcc
	v_lshlrev_b32_e32 v9, 2, v9
	v_max_f32_e32 v11, v5, v11
	ds_bpermute_b32 v12, v9, v11
	v_xor_b32_e32 v5, 2, v110
	v_cmp_lt_i32_e32 vcc, v5, v4
	s_waitcnt lgkmcnt(0)
	v_max_f32_e32 v12, v12, v12
	v_cndmask_b32_e32 v5, v110, v5, vcc
	v_lshlrev_b32_e32 v5, 2, v5
	v_max_f32_e32 v11, v11, v12
	ds_bpermute_b32 v12, v5, v11
	v_cmp_lt_i32_e32 vcc, v13, v4
	s_waitcnt lgkmcnt(0)
	v_max_f32_e32 v12, v12, v12
	v_cndmask_b32_e32 v4, v110, v13, vcc
	v_lshlrev_b32_e32 v4, 2, v4
	v_max_f32_e32 v11, v11, v12
	ds_bpermute_b32 v12, v4, v11
	s_and_b64 vcc, exec, s[16:17]
	s_cbranch_vccnz .LBB59_24
; %bb.23:                               ;   in Loop: Header=BB59_12 Depth=1
	v_add_u32_e32 v0, v1, v105
	v_ashrrev_i32_e32 v1, 31, v0
	v_lshl_add_u64 v[0:1], v[0:1], 1, s[40:41]
	global_load_ushort v0, v[0:1], off
	s_waitcnt vmcnt(0)
	v_cvt_f32_f16_e32 v0, v0
	v_mul_f32_e32 v0, v57, v0
.LBB59_24:                              ;   in Loop: Header=BB59_12 Depth=1
	v_add_f32_e32 v0, v8, v0
	v_add_f32_e32 v1, 0x40051340, v0
	v_max_f32_e32 v8, v7, v7
	v_max_f32_e32 v1, v8, v1
	ds_bpermute_b32 v3, v3, v1
	s_waitcnt lgkmcnt(1)
	v_max_f32_e32 v8, v12, v12
	s_mul_hi_i32 s17, s48, s2
	s_mul_i32 s16, s48, s2
	s_lshl_b64 s[16:17], s[16:17], 2
	s_waitcnt lgkmcnt(0)
	v_max_f32_e32 v3, v3, v3
	v_max_f32_e32 v1, v1, v3
	ds_bpermute_b32 v3, v10, v1
	v_max_f32_e32 v10, v11, v11
	v_max_f32_e32 v58, v10, v8
	v_sub_f32_e32 v2, v2, v58
	v_mul_f32_e32 v8, 0x3fb8aa3b, v2
	s_waitcnt lgkmcnt(0)
	v_max_f32_e32 v3, v3, v3
	v_max_f32_e32 v1, v1, v3
	ds_bpermute_b32 v3, v9, v1
	v_fma_f32 v9, v2, s52, -v8
	v_rndne_f32_e32 v10, v8
	v_fmac_f32_e32 v9, 0x32a5705f, v2
	v_cmp_ngt_f32_e32 vcc, s53, v2
	s_waitcnt lgkmcnt(0)
	v_max_f32_e32 v3, v3, v3
	v_max_f32_e32 v1, v1, v3
	ds_bpermute_b32 v3, v5, v1
	v_sub_f32_e32 v5, v8, v10
	v_add_f32_e32 v5, v5, v9
	v_cvt_i32_f32_e32 v8, v10
	v_exp_f32_e32 v5, v5
	s_waitcnt lgkmcnt(0)
	v_max_f32_e32 v3, v3, v3
	v_max_f32_e32 v1, v1, v3
	ds_bpermute_b32 v3, v4, v1
	v_ldexp_f32 v4, v5, v8
	s_waitcnt lgkmcnt(0)
	s_barrier
	v_max_f32_e32 v3, v3, v3
	v_max_f32_e32 v59, v1, v3
	v_sub_f32_e32 v0, v0, v59
	v_mul_f32_e32 v1, 0x3fb8aa3b, v0
	v_fma_f32 v3, v0, s52, -v1
	v_rndne_f32_e32 v5, v1
	v_fmac_f32_e32 v3, 0x32a5705f, v0
	v_sub_f32_e32 v1, v1, v5
	v_add_f32_e32 v1, v1, v3
	v_cvt_i32_f32_e32 v5, v5
	v_exp_f32_e32 v1, v1
	v_cndmask_b32_e32 v3, 0, v4, vcc
	v_cmp_nlt_f32_e32 vcc, s54, v2
	v_ldexp_f32 v1, v1, v5
	s_nop 0
	v_cndmask_b32_e32 v80, v111, v3, vcc
	v_cmp_ngt_f32_e32 vcc, s53, v0
	s_nop 1
	v_cndmask_b32_e32 v1, 0, v1, vcc
	v_cmp_nlt_f32_e32 vcc, s54, v0
	v_add_u32_e32 v0, v106, v48
	s_nop 0
	v_cndmask_b32_e32 v81, v111, v1, vcc
	v_cvt_pk_f16_f32 v1, v80, v81
	ds_write_b32 v0, v1
	v_lshl_add_u64 v[0:1], v[52:53], 0, s[16:17]
	s_and_saveexec_b64 s[16:17], s[10:11]
	s_cbranch_execnz .LBB59_38
; %bb.25:                               ;   in Loop: Header=BB59_12 Depth=1
	s_or_b64 exec, exec, s[16:17]
	s_and_saveexec_b64 s[16:17], s[12:13]
	s_cbranch_execnz .LBB59_39
.LBB59_26:                              ;   in Loop: Header=BB59_12 Depth=1
	s_or_b64 exec, exec, s[16:17]
	v_lshlrev_b32_e32 v82, 2, v54
	s_and_saveexec_b64 s[16:17], s[14:15]
	s_cbranch_execz .LBB59_28
.LBB59_27:                              ;   in Loop: Header=BB59_12 Depth=1
	v_lshl_add_u64 v[0:1], v[76:77], 2, v[0:1]
	v_mov_b32_e32 v83, v69
	v_lshl_add_u64 v[0:1], v[0:1], 0, v[82:83]
	global_load_dwordx4 v[0:3], v[0:1], off
	s_waitcnt vmcnt(0)
	ds_write_b128 v109, v[0:3]
.LBB59_28:                              ;   in Loop: Header=BB59_12 Depth=1
	s_or_b64 exec, exec, s[16:17]
	s_waitcnt lgkmcnt(0)
	s_barrier
	ds_read2_b64 v[28:31], v90 offset1:28
	ds_read_b128 v[44:47], v106
	ds_read_b128 v[40:43], v106 offset:16
	ds_read_b128 v[36:39], v106 offset:32
	;; [unrolled: 1-line block ×3, first 2 shown]
	ds_read2_b64 v[24:27], v90 offset0:56 offset1:84
	ds_read2_b64 v[20:23], v90 offset0:112 offset1:140
	ds_read2_b64 v[16:19], v90 offset0:168 offset1:196
	ds_read2_b64 v[12:15], v90 offset0:224 offset1:252
	v_add_u32_e32 v112, 0x800, v90
	v_sub_f32_e32 v114, v6, v58
	v_sub_f32_e32 v113, v7, v59
	ds_read2_b64 v[8:11], v112 offset0:24 offset1:52
	ds_read2_b64 v[4:7], v112 offset0:80 offset1:108
	;; [unrolled: 1-line block ×3, first 2 shown]
	s_or_b32 s46, s48, 16
	s_mul_hi_i32 s47, s46, s2
	s_mul_i32 s46, s46, s2
	s_lshl_b64 s[46:47], s[46:47], 2
	v_cmp_ngt_f32_e64 s[18:19], s53, v114
	v_cmp_nlt_f32_e64 s[20:21], s54, v114
	v_cmp_ngt_f32_e32 vcc, s53, v113
	v_cmp_nlt_f32_e64 s[16:17], s54, v113
	v_lshl_add_u64 v[84:85], v[52:53], 0, s[46:47]
	s_waitcnt lgkmcnt(0)
	s_barrier
	s_and_saveexec_b64 s[46:47], s[10:11]
	s_cbranch_execnz .LBB59_40
; %bb.29:                               ;   in Loop: Header=BB59_12 Depth=1
	s_or_b64 exec, exec, s[46:47]
	s_and_saveexec_b64 s[46:47], s[12:13]
	s_cbranch_execnz .LBB59_41
.LBB59_30:                              ;   in Loop: Header=BB59_12 Depth=1
	s_or_b64 exec, exec, s[46:47]
	s_and_saveexec_b64 s[46:47], s[14:15]
	s_cbranch_execz .LBB59_32
.LBB59_31:                              ;   in Loop: Header=BB59_12 Depth=1
	v_lshl_add_u64 v[84:85], v[76:77], 2, v[84:85]
	v_mov_b32_e32 v83, v69
	v_lshl_add_u64 v[82:83], v[84:85], 0, v[82:83]
	global_load_dwordx4 v[82:85], v[82:83], off
	s_waitcnt vmcnt(0)
	ds_write_b128 v109, v[82:85]
.LBB59_32:                              ;   in Loop: Header=BB59_12 Depth=1
	s_or_b64 exec, exec, s[46:47]
	v_mul_f32_e32 v79, 0x3fb8aa3b, v114
	v_fma_f32 v82, v114, s52, -v79
	v_rndne_f32_e32 v83, v79
	v_fmac_f32_e32 v82, 0x32a5705f, v114
	v_sub_f32_e32 v79, v79, v83
	v_add_f32_e32 v79, v79, v82
	v_cvt_i32_f32_e32 v82, v83
	v_exp_f32_e32 v79, v79
	v_mul_u32_u24_sdwa v85, v44, s55 dst_sel:DWORD dst_unused:UNUSED_PAD src0_sel:WORD_0 src1_sel:DWORD
	v_mul_u32_u24_sdwa v44, v44, s55 dst_sel:DWORD dst_unused:UNUSED_PAD src0_sel:WORD_1 src1_sel:DWORD
	v_pk_mul_f16 v128, v28, v85
	v_ldexp_f32 v79, v79, v82
	v_mul_f32_e32 v82, 0x3fb8aa3b, v113
	v_fma_f32 v83, v113, s52, -v82
	v_rndne_f32_e32 v84, v82
	v_fmac_f32_e32 v83, 0x32a5705f, v113
	v_sub_f32_e32 v82, v82, v84
	v_add_f32_e32 v82, v82, v83
	v_exp_f32_e32 v83, v82
	v_cvt_i32_f32_e32 v84, v84
	v_cndmask_b32_e64 v79, 0, v79, s[18:19]
	v_cndmask_b32_e64 v82, v111, v79, s[20:21]
	v_cvt_f16_f32_e32 v79, v82
	v_ldexp_f32 v83, v83, v84
	v_cndmask_b32_e32 v83, 0, v83, vcc
	v_cndmask_b32_e64 v83, v111, v83, s[16:17]
	v_cvt_f16_f32_e32 v84, v83
	v_mul_u32_u24_e32 v79, 0x10001, v79
	v_pk_mul_f16 v94, v94, v79
	v_pk_mul_f16 v28, v28, v44
	v_mul_u32_u24_e32 v84, 0x10001, v84
	v_pk_mul_f16 v92, v92, v84
	v_mul_u32_u24_sdwa v113, v45, s55 dst_sel:DWORD dst_unused:UNUSED_PAD src0_sel:WORD_0 src1_sel:DWORD
	v_mul_u32_u24_sdwa v45, v45, s55 dst_sel:DWORD dst_unused:UNUSED_PAD src0_sel:WORD_1 src1_sel:DWORD
	v_pk_fma_f16 v79, v93, v79, v128
	v_pk_fma_f16 v28, v91, v84, v28
	v_pk_fma_f16 v84, v29, v85, v94
	v_pk_fma_f16 v29, v29, v44, v92
	v_mul_u32_u24_sdwa v114, v46, s55 dst_sel:DWORD dst_unused:UNUSED_PAD src0_sel:WORD_0 src1_sel:DWORD
	v_mul_u32_u24_sdwa v46, v46, s55 dst_sel:DWORD dst_unused:UNUSED_PAD src0_sel:WORD_1 src1_sel:DWORD
	v_pk_fma_f16 v44, v30, v113, v79
	v_pk_fma_f16 v28, v30, v45, v28
	v_pk_fma_f16 v30, v31, v113, v84
	v_pk_fma_f16 v29, v31, v45, v29
	;; [unrolled: 6-line block ×15, first 2 shown]
	v_pk_fma_f16 v20, v2, v127, v7
	v_pk_fma_f16 v21, v2, v35, v0
	v_pk_fma_f16 v22, v3, v127, v4
	v_pk_fma_f16 v23, v3, v35, v1
	s_waitcnt lgkmcnt(0)
	s_barrier
	ds_read_b128 v[0:3], v106 offset:64
	ds_read2_b64 v[4:7], v90 offset1:28
	ds_read_b128 v[8:11], v106 offset:80
	ds_read_b128 v[12:15], v106 offset:96
	;; [unrolled: 1-line block ×3, first 2 shown]
	s_waitcnt lgkmcnt(4)
	v_mul_u32_u24_sdwa v24, v0, s55 dst_sel:DWORD dst_unused:UNUSED_PAD src0_sel:WORD_0 src1_sel:DWORD
	v_mul_u32_u24_sdwa v0, v0, s55 dst_sel:DWORD dst_unused:UNUSED_PAD src0_sel:WORD_1 src1_sel:DWORD
	s_waitcnt lgkmcnt(3)
	v_pk_fma_f16 v20, v4, v24, v20
	v_pk_fma_f16 v4, v4, v0, v21
	;; [unrolled: 1-line block ×4, first 2 shown]
	v_mul_u32_u24_sdwa v5, v1, s55 dst_sel:DWORD dst_unused:UNUSED_PAD src0_sel:WORD_0 src1_sel:DWORD
	v_pk_fma_f16 v25, v6, v5, v20
	ds_read2_b64 v[20:23], v90 offset0:56 offset1:84
	v_mul_u32_u24_sdwa v1, v1, s55 dst_sel:DWORD dst_unused:UNUSED_PAD src0_sel:WORD_1 src1_sel:DWORD
	v_pk_fma_f16 v4, v6, v1, v4
	v_pk_fma_f16 v5, v7, v5, v24
	;; [unrolled: 1-line block ×3, first 2 shown]
	v_mul_u32_u24_sdwa v1, v2, s55 dst_sel:DWORD dst_unused:UNUSED_PAD src0_sel:WORD_0 src1_sel:DWORD
	v_mul_u32_u24_sdwa v2, v2, s55 dst_sel:DWORD dst_unused:UNUSED_PAD src0_sel:WORD_1 src1_sel:DWORD
	s_waitcnt lgkmcnt(0)
	v_pk_fma_f16 v6, v20, v1, v25
	v_pk_fma_f16 v4, v20, v2, v4
	v_pk_fma_f16 v5, v21, v1, v5
	v_pk_fma_f16 v7, v21, v2, v0
	v_mul_u32_u24_sdwa v20, v3, s55 dst_sel:DWORD dst_unused:UNUSED_PAD src0_sel:WORD_0 src1_sel:DWORD
	v_mul_u32_u24_sdwa v21, v3, s55 dst_sel:DWORD dst_unused:UNUSED_PAD src0_sel:WORD_1 src1_sel:DWORD
	ds_read2_b64 v[0:3], v90 offset0:112 offset1:140
	v_pk_fma_f16 v6, v22, v20, v6
	v_pk_fma_f16 v4, v22, v21, v4
	;; [unrolled: 1-line block ×4, first 2 shown]
	v_mul_u32_u24_sdwa v20, v8, s55 dst_sel:DWORD dst_unused:UNUSED_PAD src0_sel:WORD_0 src1_sel:DWORD
	v_mul_u32_u24_sdwa v8, v8, s55 dst_sel:DWORD dst_unused:UNUSED_PAD src0_sel:WORD_1 src1_sel:DWORD
	s_waitcnt lgkmcnt(0)
	v_pk_fma_f16 v6, v0, v20, v6
	v_pk_fma_f16 v0, v0, v8, v4
	;; [unrolled: 1-line block ×4, first 2 shown]
	v_mul_u32_u24_sdwa v8, v9, s55 dst_sel:DWORD dst_unused:UNUSED_PAD src0_sel:WORD_0 src1_sel:DWORD
	v_pk_fma_f16 v21, v2, v8, v6
	ds_read2_b64 v[4:7], v90 offset0:168 offset1:196
	v_mul_u32_u24_sdwa v9, v9, s55 dst_sel:DWORD dst_unused:UNUSED_PAD src0_sel:WORD_1 src1_sel:DWORD
	v_pk_fma_f16 v0, v2, v9, v0
	v_pk_fma_f16 v2, v3, v8, v20
	;; [unrolled: 1-line block ×3, first 2 shown]
	v_mul_u32_u24_sdwa v3, v10, s55 dst_sel:DWORD dst_unused:UNUSED_PAD src0_sel:WORD_0 src1_sel:DWORD
	v_mul_u32_u24_sdwa v8, v10, s55 dst_sel:DWORD dst_unused:UNUSED_PAD src0_sel:WORD_1 src1_sel:DWORD
	s_waitcnt lgkmcnt(0)
	v_pk_fma_f16 v9, v4, v3, v21
	v_pk_fma_f16 v0, v4, v8, v0
	;; [unrolled: 1-line block ×4, first 2 shown]
	v_mul_u32_u24_sdwa v8, v11, s55 dst_sel:DWORD dst_unused:UNUSED_PAD src0_sel:WORD_0 src1_sel:DWORD
	v_mul_u32_u24_sdwa v10, v11, s55 dst_sel:DWORD dst_unused:UNUSED_PAD src0_sel:WORD_1 src1_sel:DWORD
	v_pk_fma_f16 v9, v6, v8, v9
	v_pk_fma_f16 v6, v6, v10, v0
	ds_read2_b64 v[0:3], v90 offset0:224 offset1:252
	v_pk_fma_f16 v4, v7, v8, v4
	v_pk_fma_f16 v5, v7, v10, v5
	v_mul_u32_u24_sdwa v7, v12, s55 dst_sel:DWORD dst_unused:UNUSED_PAD src0_sel:WORD_0 src1_sel:DWORD
	v_mul_u32_u24_sdwa v8, v12, s55 dst_sel:DWORD dst_unused:UNUSED_PAD src0_sel:WORD_1 src1_sel:DWORD
	s_waitcnt lgkmcnt(0)
	v_pk_fma_f16 v9, v0, v7, v9
	v_pk_fma_f16 v0, v0, v8, v6
	;; [unrolled: 1-line block ×4, first 2 shown]
	ds_read2_b64 v[4:7], v112 offset0:24 offset1:52
	v_mul_u32_u24_sdwa v8, v13, s55 dst_sel:DWORD dst_unused:UNUSED_PAD src0_sel:WORD_0 src1_sel:DWORD
	v_mul_u32_u24_sdwa v11, v13, s55 dst_sel:DWORD dst_unused:UNUSED_PAD src0_sel:WORD_1 src1_sel:DWORD
	v_pk_fma_f16 v9, v2, v8, v9
	v_pk_fma_f16 v0, v2, v11, v0
	;; [unrolled: 1-line block ×4, first 2 shown]
	v_mul_u32_u24_sdwa v3, v14, s55 dst_sel:DWORD dst_unused:UNUSED_PAD src0_sel:WORD_0 src1_sel:DWORD
	v_mul_u32_u24_sdwa v8, v14, s55 dst_sel:DWORD dst_unused:UNUSED_PAD src0_sel:WORD_1 src1_sel:DWORD
	s_waitcnt lgkmcnt(0)
	v_pk_fma_f16 v9, v4, v3, v9
	v_pk_fma_f16 v0, v4, v8, v0
	;; [unrolled: 1-line block ×4, first 2 shown]
	v_mul_u32_u24_sdwa v8, v15, s55 dst_sel:DWORD dst_unused:UNUSED_PAD src0_sel:WORD_0 src1_sel:DWORD
	v_mul_u32_u24_sdwa v10, v15, s55 dst_sel:DWORD dst_unused:UNUSED_PAD src0_sel:WORD_1 src1_sel:DWORD
	v_pk_fma_f16 v9, v6, v8, v9
	v_pk_fma_f16 v6, v6, v10, v0
	ds_read2_b64 v[0:3], v112 offset0:80 offset1:108
	v_pk_fma_f16 v4, v7, v8, v4
	v_pk_fma_f16 v5, v7, v10, v5
	v_mul_u32_u24_sdwa v7, v16, s55 dst_sel:DWORD dst_unused:UNUSED_PAD src0_sel:WORD_0 src1_sel:DWORD
	v_mul_u32_u24_sdwa v8, v16, s55 dst_sel:DWORD dst_unused:UNUSED_PAD src0_sel:WORD_1 src1_sel:DWORD
	s_waitcnt lgkmcnt(0)
	v_pk_fma_f16 v9, v0, v7, v9
	v_pk_fma_f16 v0, v0, v8, v6
	;; [unrolled: 1-line block ×4, first 2 shown]
	ds_read2_b64 v[4:7], v112 offset0:136 offset1:164
	s_waitcnt lgkmcnt(0)
	s_barrier
	s_load_dword s16, s[44:45], 0x4
	v_mul_u32_u24_sdwa v8, v17, s55 dst_sel:DWORD dst_unused:UNUSED_PAD src0_sel:WORD_0 src1_sel:DWORD
	v_mul_u32_u24_sdwa v11, v17, s55 dst_sel:DWORD dst_unused:UNUSED_PAD src0_sel:WORD_1 src1_sel:DWORD
	v_pk_fma_f16 v9, v2, v8, v9
	v_pk_fma_f16 v0, v2, v11, v0
	;; [unrolled: 1-line block ×4, first 2 shown]
	v_mul_u32_u24_sdwa v3, v18, s55 dst_sel:DWORD dst_unused:UNUSED_PAD src0_sel:WORD_0 src1_sel:DWORD
	v_mul_u32_u24_sdwa v8, v18, s55 dst_sel:DWORD dst_unused:UNUSED_PAD src0_sel:WORD_1 src1_sel:DWORD
	s_waitcnt lgkmcnt(0)
	s_lshl_b32 s16, s16, 5
	v_pk_fma_f16 v9, v4, v3, v9
	v_pk_fma_f16 v0, v4, v8, v0
	;; [unrolled: 1-line block ×4, first 2 shown]
	v_mul_u32_u24_sdwa v3, v19, s55 dst_sel:DWORD dst_unused:UNUSED_PAD src0_sel:WORD_0 src1_sel:DWORD
	v_mul_u32_u24_sdwa v4, v19, s55 dst_sel:DWORD dst_unused:UNUSED_PAD src0_sel:WORD_1 src1_sel:DWORD
	s_add_i32 s48, s16, s48
	v_pk_fma_f32 v[50:51], v[50:51], v[82:83], v[80:81]
	v_pk_fma_f16 v93, v6, v3, v9
	v_pk_fma_f16 v91, v6, v4, v0
	v_pk_fma_f16 v94, v7, v3, v2
	s_cmp_lt_i32 s48, s51
	v_pk_fma_f16 v92, v7, v4, v1
	s_cbranch_scc0 .LBB59_43
; %bb.33:                               ;   in Loop: Header=BB59_12 Depth=1
	v_mov_b32_e32 v6, v58
	v_mov_b32_e32 v7, v59
	s_branch .LBB59_12
.LBB59_34:                              ;   in Loop: Header=BB59_12 Depth=1
	global_load_dwordx4 v[8:11], v[4:5], off offset:96
	s_waitcnt vmcnt(0)
	ds_write_b128 v100, v[8:11]
	s_or_b64 exec, exec, s[16:17]
	v_lshl_add_u64 v[0:1], v[66:67], 2, v[2:3]
	s_and_saveexec_b64 s[16:17], s[6:7]
	s_cbranch_execz .LBB59_14
.LBB59_35:                              ;   in Loop: Header=BB59_12 Depth=1
	v_lshl_add_u64 v[8:9], v[0:1], 0, v[68:69]
	global_load_dwordx4 v[8:11], v[8:9], off offset:64
	s_waitcnt vmcnt(0)
	ds_write_b128 v101, v[8:11]
	s_or_b64 exec, exec, s[16:17]
	v_lshl_add_u64 v[2:3], v[70:71], 2, v[2:3]
	s_and_saveexec_b64 s[16:17], s[8:9]
	s_cbranch_execnz .LBB59_15
	s_branch .LBB59_16
.LBB59_36:                              ;   in Loop: Header=BB59_12 Depth=1
	global_load_dwordx4 v[10:13], v[4:5], off offset:208
	s_waitcnt vmcnt(0)
	ds_write_b128 v100, v[10:13]
	s_or_b64 exec, exec, s[16:17]
	s_and_saveexec_b64 s[16:17], s[6:7]
	s_cbranch_execz .LBB59_18
.LBB59_37:                              ;   in Loop: Header=BB59_12 Depth=1
	v_lshl_add_u64 v[0:1], v[0:1], 0, v[68:69]
	global_load_dwordx4 v[10:13], v[0:1], off offset:176
	s_waitcnt vmcnt(0)
	ds_write_b128 v101, v[10:13]
	s_or_b64 exec, exec, s[16:17]
	s_and_saveexec_b64 s[16:17], s[8:9]
	s_cbranch_execnz .LBB59_19
	s_branch .LBB59_20
.LBB59_38:                              ;   in Loop: Header=BB59_12 Depth=1
	v_lshl_add_u64 v[2:3], v[72:73], 2, v[0:1]
	v_lshl_add_u64 v[2:3], v[2:3], 0, v[68:69]
	global_load_dwordx4 v[2:5], v[2:3], off offset:192
	s_waitcnt vmcnt(0)
	ds_write_b128 v107, v[2:5]
	s_or_b64 exec, exec, s[16:17]
	s_and_saveexec_b64 s[16:17], s[12:13]
	s_cbranch_execz .LBB59_26
.LBB59_39:                              ;   in Loop: Header=BB59_12 Depth=1
	v_lshl_add_u64 v[2:3], v[74:75], 2, v[0:1]
	v_mov_b32_e32 v79, v69
	v_lshl_add_u64 v[2:3], v[2:3], 0, v[78:79]
	global_load_dwordx4 v[2:5], v[2:3], off offset:128
	s_waitcnt vmcnt(0)
	ds_write_b128 v108, v[2:5]
	s_or_b64 exec, exec, s[16:17]
	v_lshlrev_b32_e32 v82, 2, v54
	s_and_saveexec_b64 s[16:17], s[14:15]
	s_cbranch_execnz .LBB59_27
	s_branch .LBB59_28
.LBB59_40:                              ;   in Loop: Header=BB59_12 Depth=1
	v_lshl_add_u64 v[116:117], v[72:73], 2, v[84:85]
	v_lshl_add_u64 v[116:117], v[116:117], 0, v[68:69]
	global_load_dwordx4 v[116:119], v[116:117], off offset:192
	s_waitcnt vmcnt(0)
	ds_write_b128 v107, v[116:119]
	s_or_b64 exec, exec, s[46:47]
	s_and_saveexec_b64 s[46:47], s[12:13]
	s_cbranch_execz .LBB59_30
.LBB59_41:                              ;   in Loop: Header=BB59_12 Depth=1
	v_lshl_add_u64 v[116:117], v[74:75], 2, v[84:85]
	v_mov_b32_e32 v79, v69
	v_lshl_add_u64 v[116:117], v[116:117], 0, v[78:79]
	global_load_dwordx4 v[116:119], v[116:117], off offset:128
	s_waitcnt vmcnt(0)
	ds_write_b128 v108, v[116:119]
	s_or_b64 exec, exec, s[46:47]
	s_and_saveexec_b64 s[46:47], s[14:15]
	s_cbranch_execnz .LBB59_31
	s_branch .LBB59_32
.LBB59_42:
	v_mov_b32_e32 v58, 0xfeffffff
	v_mov_b32_e32 v51, 0
	;; [unrolled: 1-line block ×8, first 2 shown]
.LBB59_43:
	s_cmp_gt_i32 s42, s48
	s_cbranch_scc1 .LBB59_45
; %bb.44:
	v_mbcnt_hi_u32_b32 v74, -1, v96
	v_and_b32_e32 v0, 0x60, v74
	v_add_u32_e32 v75, 32, v0
	v_xor_b32_e32 v76, 16, v74
	v_xor_b32_e32 v77, 8, v74
	v_xor_b32_e32 v78, 4, v74
	v_xor_b32_e32 v79, 2, v74
	v_xor_b32_e32 v80, 1, v74
	v_mov_b64_e32 v[66:67], v[50:51]
	s_cbranch_execz .LBB59_46
	s_branch .LBB59_81
.LBB59_45:
                                        ; implicit-def: $vgpr74
                                        ; implicit-def: $vgpr75
                                        ; implicit-def: $vgpr76
                                        ; implicit-def: $vgpr77
                                        ; implicit-def: $vgpr78
                                        ; implicit-def: $vgpr79
                                        ; implicit-def: $vgpr80
                                        ; implicit-def: $vgpr66_vgpr67
.LBB59_46:
	s_mul_hi_i32 s5, s48, s50
	s_mul_i32 s4, s48, s50
	s_lshl_b64 s[4:5], s[4:5], 2
	v_mul_lo_u32 v0, s50, v99
	s_sub_i32 s26, s42, s48
	v_lshl_add_u64 v[2:3], v[62:63], 0, s[4:5]
	v_ashrrev_i32_e32 v1, 31, v0
	s_mov_b64 s[14:15], src_private_base
	v_cmp_gt_u32_e64 s[8:9], 32, v99
	v_or_b32_e32 v10, 0x60, v97
	v_cmp_gt_i32_e32 vcc, s26, v99
	v_lshl_add_u64 v[4:5], v[0:1], 2, v[2:3]
	s_and_saveexec_b64 s[4:5], s[8:9]
	s_cbranch_execz .LBB59_48
; %bb.47:
	v_mov_b32_e32 v6, 0
	v_mov_b32_e32 v7, v6
	v_mov_b32_e32 v8, v6
	s_mov_b64 s[6:7], 0x60
	scratch_store_dword off, v6, off
	scratch_store_dwordx3 off, v[6:8], off offset:4
	v_lshl_add_u64 v[0:1], v[4:5], 0, s[6:7]
	s_nop 0
	v_mov_b32_e32 v6, s15
	v_cndmask_b32_e32 v1, v6, v1, vcc
	v_mov_b32_e32 v6, 0
	v_cndmask_b32_e32 v0, v6, v0, vcc
	flat_load_dwordx4 v[6:9], v[0:1]
	s_waitcnt vmcnt(0) lgkmcnt(0)
	ds_write_b128 v10, v[6:9]
.LBB59_48:
	s_or_b64 exec, exec, s[4:5]
	v_lshl_add_u32 v72, v55, 4, v98
	v_lshlrev_b32_e32 v0, 7, v72
	v_lshlrev_b32_e32 v62, 2, v56
	v_or3_b32 v11, v0, v62, 64
	v_mul_lo_u32 v0, s50, v72
	v_ashrrev_i32_e32 v1, 31, v0
	s_mov_b64 s[16:17], src_private_base
	v_cmp_gt_u32_e64 s[10:11], 32, v72
	v_cmp_gt_i32_e64 s[4:5], s26, v72
	v_lshl_add_u64 v[6:7], v[0:1], 2, v[2:3]
	s_and_saveexec_b64 s[6:7], s[10:11]
	s_cbranch_execz .LBB59_50
; %bb.49:
	v_mov_b32_e32 v12, 0
	v_mov_b32_e32 v63, v12
	v_lshl_add_u64 v[0:1], v[6:7], 0, v[62:63]
	v_lshl_add_u64 v[0:1], v[0:1], 0, 64
	v_mov_b32_e32 v8, s17
	v_mov_b32_e32 v13, v12
	;; [unrolled: 1-line block ×3, first 2 shown]
	v_cndmask_b32_e64 v1, v8, v1, s[4:5]
	v_mov_b32_e32 v8, 0
	scratch_store_dword off, v12, off
	scratch_store_dwordx3 off, v[12:14], off offset:4
	v_cndmask_b32_e64 v0, v8, v0, s[4:5]
	flat_load_dwordx4 v[12:15], v[0:1]
	s_waitcnt vmcnt(0) lgkmcnt(0)
	ds_write_b128 v11, v[12:15]
.LBB59_50:
	s_or_b64 exec, exec, s[6:7]
	v_lshl_add_u32 v73, v55, 3, v61
	v_mul_lo_u32 v8, s50, v73
	v_lshlrev_b32_e32 v60, 2, v60
	v_ashrrev_i32_e32 v9, 31, v8
	s_mov_b64 s[18:19], src_private_base
	v_cmp_gt_u32_e64 s[12:13], 32, v73
	v_mov_b32_e32 v1, 0
	v_lshl_or_b32 v12, v73, 7, v60
	v_cmp_gt_i32_e64 s[6:7], s26, v73
	v_lshl_add_u64 v[8:9], v[8:9], 2, v[2:3]
	s_and_saveexec_b64 s[20:21], s[12:13]
	s_cbranch_execz .LBB59_52
; %bb.51:
	v_mov_b32_e32 v0, v1
	v_mov_b32_e32 v2, v1
	;; [unrolled: 1-line block ×3, first 2 shown]
	scratch_store_dwordx3 off, v[0:2], off offset:4
	scratch_store_dword off, v1, off
	s_nop 0
	v_lshl_add_u64 v[2:3], v[8:9], 0, v[60:61]
	v_mov_b32_e32 v0, s19
	v_cndmask_b32_e64 v3, v0, v3, s[6:7]
	v_mov_b32_e32 v0, 0
	v_cndmask_b32_e64 v2, v0, v2, s[6:7]
	flat_load_dwordx4 v[14:17], v[2:3]
	s_waitcnt vmcnt(0) lgkmcnt(0)
	ds_write_b128 v12, v[14:17]
.LBB59_52:
	s_or_b64 exec, exec, s[20:21]
	v_mul_u32_u24_e32 v2, 0x1c0, v55
	s_waitcnt lgkmcnt(0)
	s_barrier
	ds_read_b128 v[14:17], v97
	ds_read_b128 v[18:21], v2 offset:4160
	ds_read_b128 v[22:25], v2 offset:4384
	v_mov_b32_e32 v0, 0
	s_waitcnt lgkmcnt(1)
	;;#ASMSTART
	v_dot2_f32_f16 v0, v14, v18, v0
	;;#ASMEND
	s_nop 0
	;;#ASMSTART
	v_dot2_f32_f16 v0, v15, v19, v0
	;;#ASMEND
	s_movk_i32 s14, 0x1c0
	;;#ASMSTART
	v_dot2_f32_f16 v0, v16, v20, v0
	;;#ASMEND
	s_nop 0
	;;#ASMSTART
	v_dot2_f32_f16 v0, v17, v21, v0
	;;#ASMEND
	s_waitcnt lgkmcnt(0)
	;;#ASMSTART
	v_dot2_f32_f16 v1, v14, v22, v1
	;;#ASMEND
	s_nop 0
	;;#ASMSTART
	v_dot2_f32_f16 v1, v15, v23, v1
	;;#ASMEND
	s_nop 0
	;;#ASMSTART
	v_dot2_f32_f16 v1, v16, v24, v1
	;;#ASMEND
	s_nop 0
	;;#ASMSTART
	v_dot2_f32_f16 v1, v17, v25, v1
	;;#ASMEND
	ds_read_b128 v[14:17], v97 offset:16
	ds_read_b128 v[18:21], v2 offset:4176
	ds_read_b128 v[22:25], v2 offset:4400
	s_waitcnt lgkmcnt(1)
	;;#ASMSTART
	v_dot2_f32_f16 v0, v14, v18, v0
	;;#ASMEND
	s_nop 0
	;;#ASMSTART
	v_dot2_f32_f16 v0, v15, v19, v0
	;;#ASMEND
	s_nop 0
	;;#ASMSTART
	v_dot2_f32_f16 v0, v16, v20, v0
	;;#ASMEND
	s_nop 0
	;;#ASMSTART
	v_dot2_f32_f16 v0, v17, v21, v0
	;;#ASMEND
	s_waitcnt lgkmcnt(0)
	;;#ASMSTART
	v_dot2_f32_f16 v1, v14, v22, v1
	;;#ASMEND
	s_nop 0
	;;#ASMSTART
	v_dot2_f32_f16 v1, v15, v23, v1
	;;#ASMEND
	s_nop 0
	;;#ASMSTART
	v_dot2_f32_f16 v1, v16, v24, v1
	;;#ASMEND
	s_nop 0
	;;#ASMSTART
	v_dot2_f32_f16 v1, v17, v25, v1
	;;#ASMEND
	ds_read_b128 v[14:17], v97 offset:32
	ds_read_b128 v[18:21], v2 offset:4192
	ds_read_b128 v[22:25], v2 offset:4416
	s_waitcnt lgkmcnt(1)
	;;#ASMSTART
	v_dot2_f32_f16 v0, v14, v18, v0
	;;#ASMEND
	s_nop 0
	;;#ASMSTART
	v_dot2_f32_f16 v0, v15, v19, v0
	;;#ASMEND
	s_nop 0
	;; [unrolled: 35-line block ×6, first 2 shown]
	;;#ASMSTART
	v_dot2_f32_f16 v0, v16, v20, v0
	;;#ASMEND
	s_nop 0
	;;#ASMSTART
	v_dot2_f32_f16 v0, v17, v21, v0
	;;#ASMEND
	s_waitcnt lgkmcnt(0)
	;;#ASMSTART
	v_dot2_f32_f16 v1, v14, v22, v1
	;;#ASMEND
	s_nop 0
	;;#ASMSTART
	v_dot2_f32_f16 v1, v15, v23, v1
	;;#ASMEND
	s_nop 0
	;;#ASMSTART
	v_dot2_f32_f16 v1, v16, v24, v1
	;;#ASMEND
	s_nop 0
	;;#ASMSTART
	v_dot2_f32_f16 v1, v17, v25, v1
	;;#ASMEND
	s_barrier
	s_and_saveexec_b64 s[20:21], s[8:9]
	s_cbranch_execnz .LBB59_59
; %bb.53:
	s_or_b64 exec, exec, s[20:21]
	v_mov_b32_e32 v2, 0x1040
	s_and_saveexec_b64 s[8:9], s[10:11]
	s_cbranch_execnz .LBB59_60
.LBB59_54:
	s_or_b64 exec, exec, s[8:9]
	v_mad_u32_u24 v2, v55, s14, v2
	s_and_saveexec_b64 s[8:9], s[12:13]
	s_cbranch_execz .LBB59_56
.LBB59_55:
	v_mov_b32_e32 v4, 0
	v_mov_b32_e32 v5, v4
	;; [unrolled: 1-line block ×4, first 2 shown]
	scratch_store_dword off, v4, off
	scratch_store_dwordx3 off, v[4:6], off offset:4
	s_mov_b64 s[10:11], 0x70
	v_mov_b32_e32 v3, s19
	v_lshl_add_u64 v[4:5], v[8:9], 0, v[60:61]
	v_lshl_add_u64 v[4:5], v[4:5], 0, s[10:11]
	v_cndmask_b32_e64 v5, v3, v5, s[6:7]
	v_mov_b32_e32 v3, 0
	v_cndmask_b32_e64 v4, v3, v4, s[6:7]
	flat_load_dwordx4 v[4:7], v[4:5]
	s_waitcnt vmcnt(0) lgkmcnt(0)
	ds_write_b128 v12, v[4:7]
.LBB59_56:
	s_or_b64 exec, exec, s[8:9]
	s_waitcnt lgkmcnt(0)
	s_barrier
	ds_read_b128 v[4:7], v97
	ds_read_b128 v[8:11], v2 offset:112
	ds_read_b128 v[12:15], v2 offset:336
	s_waitcnt lgkmcnt(1)
	;;#ASMSTART
	v_dot2_f32_f16 v0, v4, v8, v0
	;;#ASMEND
	s_nop 0
	;;#ASMSTART
	v_dot2_f32_f16 v0, v5, v9, v0
	;;#ASMEND
	s_cmp_lg_u64 s[40:41], 0
	;;#ASMSTART
	v_dot2_f32_f16 v0, v6, v10, v0
	;;#ASMEND
	s_cselect_b64 s[10:11], -1, 0
	;;#ASMSTART
	v_dot2_f32_f16 v0, v7, v11, v0
	;;#ASMEND
	s_waitcnt lgkmcnt(0)
	;;#ASMSTART
	v_dot2_f32_f16 v1, v4, v12, v1
	;;#ASMEND
	v_cndmask_b32_e64 v3, 0, 1, s[10:11]
	;;#ASMSTART
	v_dot2_f32_f16 v1, v5, v13, v1
	;;#ASMEND
	v_cmp_gt_i32_e64 s[8:9], s26, v49
	;;#ASMSTART
	v_dot2_f32_f16 v1, v6, v14, v1
	;;#ASMEND
	v_cmp_ne_u32_e64 s[10:11], 1, v3
	;;#ASMSTART
	v_dot2_f32_f16 v1, v7, v15, v1
	;;#ASMEND
	ds_read_b128 v[4:7], v97 offset:16
	ds_read_b128 v[8:11], v2 offset:128
	;; [unrolled: 1-line block ×3, first 2 shown]
	s_waitcnt lgkmcnt(1)
	;;#ASMSTART
	v_dot2_f32_f16 v0, v4, v8, v0
	;;#ASMEND
	s_nop 0
	;;#ASMSTART
	v_dot2_f32_f16 v0, v5, v9, v0
	;;#ASMEND
	v_mov_b32_e32 v3, v58
	;;#ASMSTART
	v_dot2_f32_f16 v0, v6, v10, v0
	;;#ASMEND
	s_nop 0
	;;#ASMSTART
	v_dot2_f32_f16 v0, v7, v11, v0
	;;#ASMEND
	s_waitcnt lgkmcnt(0)
	;;#ASMSTART
	v_dot2_f32_f16 v1, v4, v12, v1
	;;#ASMEND
	s_nop 0
	;;#ASMSTART
	v_dot2_f32_f16 v1, v5, v13, v1
	;;#ASMEND
	s_nop 0
	;;#ASMSTART
	v_dot2_f32_f16 v1, v6, v14, v1
	;;#ASMEND
	s_nop 0
	;;#ASMSTART
	v_dot2_f32_f16 v1, v7, v15, v1
	;;#ASMEND
	ds_read_b128 v[4:7], v97 offset:32
	ds_read_b128 v[8:11], v2 offset:144
	ds_read_b128 v[12:15], v2 offset:368
	s_waitcnt lgkmcnt(1)
	;;#ASMSTART
	v_dot2_f32_f16 v0, v4, v8, v0
	;;#ASMEND
	s_nop 0
	;;#ASMSTART
	v_dot2_f32_f16 v0, v5, v9, v0
	;;#ASMEND
	s_nop 0
	;;#ASMSTART
	v_dot2_f32_f16 v0, v6, v10, v0
	;;#ASMEND
	s_nop 0
	;;#ASMSTART
	v_dot2_f32_f16 v0, v7, v11, v0
	;;#ASMEND
	s_waitcnt lgkmcnt(0)
	;;#ASMSTART
	v_dot2_f32_f16 v1, v4, v12, v1
	;;#ASMEND
	s_nop 0
	;;#ASMSTART
	v_dot2_f32_f16 v1, v5, v13, v1
	;;#ASMEND
	s_nop 0
	;;#ASMSTART
	v_dot2_f32_f16 v1, v6, v14, v1
	;;#ASMEND
	s_nop 0
	;;#ASMSTART
	v_dot2_f32_f16 v1, v7, v15, v1
	;;#ASMEND
	ds_read_b128 v[4:7], v97 offset:48
	ds_read_b128 v[8:11], v2 offset:160
	ds_read_b128 v[12:15], v2 offset:384
	s_waitcnt lgkmcnt(1)
	;;#ASMSTART
	v_dot2_f32_f16 v0, v4, v8, v0
	;;#ASMEND
	s_nop 0
	;;#ASMSTART
	v_dot2_f32_f16 v0, v5, v9, v0
	;;#ASMEND
	s_nop 0
	;; [unrolled: 35-line block ×4, first 2 shown]
	;;#ASMSTART
	v_dot2_f32_f16 v0, v6, v10, v0
	;;#ASMEND
	s_nop 0
	;;#ASMSTART
	v_dot2_f32_f16 v0, v7, v11, v0
	;;#ASMEND
	s_waitcnt lgkmcnt(0)
	;;#ASMSTART
	v_dot2_f32_f16 v1, v4, v12, v1
	;;#ASMEND
	s_nop 0
	;;#ASMSTART
	v_dot2_f32_f16 v1, v5, v13, v1
	;;#ASMEND
	s_nop 0
	;; [unrolled: 4-line block ×3, first 2 shown]
	;;#ASMSTART
	v_dot2_f32_f16 v1, v7, v15, v1
	;;#ASMEND
	ds_read_b128 v[4:7], v97 offset:96
	ds_read_b128 v[8:11], v2 offset:208
	ds_read_b128 v[12:15], v2 offset:432
	s_waitcnt lgkmcnt(1)
	;;#ASMSTART
	v_dot2_f32_f16 v0, v4, v8, v0
	;;#ASMEND
	s_nop 0
	;;#ASMSTART
	v_dot2_f32_f16 v0, v5, v9, v0
	;;#ASMEND
	v_add_u32_e32 v2, s48, v49
	;;#ASMSTART
	v_dot2_f32_f16 v0, v6, v10, v0
	;;#ASMEND
	s_nop 0
	;;#ASMSTART
	v_dot2_f32_f16 v0, v7, v11, v0
	;;#ASMEND
	s_waitcnt lgkmcnt(0)
	;;#ASMSTART
	v_dot2_f32_f16 v1, v4, v12, v1
	;;#ASMEND
	s_nop 0
	;;#ASMSTART
	v_dot2_f32_f16 v1, v5, v13, v1
	;;#ASMEND
	s_nop 0
	;; [unrolled: 4-line block ×3, first 2 shown]
	;;#ASMSTART
	v_dot2_f32_f16 v1, v7, v15, v1
	;;#ASMEND
	s_and_saveexec_b64 s[12:13], s[8:9]
	s_cbranch_execz .LBB59_63
; %bb.57:
	s_and_b64 vcc, exec, s[10:11]
	s_cbranch_vccnz .LBB59_61
; %bb.58:
	v_mul_hi_u32 v3, s36, v89
	v_add_u32_e32 v3, v89, v3
	v_lshrrev_b32_e32 v3, s37, v3
	v_mul_lo_u32 v3, v3, s38
	v_sub_u32_e32 v3, v89, v3
	v_mad_u64_u32 v[4:5], s[14:15], v3, s49, v[2:3]
	v_ashrrev_i32_e32 v5, 31, v4
	v_lshl_add_u64 v[4:5], v[4:5], 1, s[40:41]
	global_load_ushort v3, v[4:5], off
	s_waitcnt vmcnt(0)
	v_cvt_f32_f16_e32 v3, v3
	v_mul_f32_e32 v3, v57, v3
	s_branch .LBB59_62
.LBB59_59:
	s_mov_b64 s[8:9], 0xd0
	v_mov_b32_e32 v14, 0
	v_lshl_add_u64 v[2:3], v[4:5], 0, s[8:9]
	v_mov_b32_e32 v4, s15
	v_mov_b32_e32 v15, v14
	;; [unrolled: 1-line block ×3, first 2 shown]
	v_cndmask_b32_e32 v3, v4, v3, vcc
	v_mov_b32_e32 v4, 0
	scratch_store_dword off, v14, off
	scratch_store_dwordx3 off, v[14:16], off offset:4
	v_cndmask_b32_e32 v2, v4, v2, vcc
	flat_load_dwordx4 v[2:5], v[2:3]
	s_waitcnt vmcnt(0) lgkmcnt(0)
	ds_write_b128 v10, v[2:5]
	s_or_b64 exec, exec, s[20:21]
	v_mov_b32_e32 v2, 0x1040
	s_and_saveexec_b64 s[8:9], s[10:11]
	s_cbranch_execz .LBB59_54
.LBB59_60:
	v_mov_b32_e32 v14, 0
	v_mov_b32_e32 v63, v14
	v_lshl_add_u64 v[4:5], v[6:7], 0, v[62:63]
	s_mov_b64 s[10:11], 0xb0
	v_lshl_add_u64 v[4:5], v[4:5], 0, s[10:11]
	v_mov_b32_e32 v3, s17
	v_mov_b32_e32 v15, v14
	;; [unrolled: 1-line block ×3, first 2 shown]
	v_cndmask_b32_e64 v5, v3, v5, s[4:5]
	v_mov_b32_e32 v3, 0
	scratch_store_dword off, v14, off
	scratch_store_dwordx3 off, v[14:16], off offset:4
	v_cndmask_b32_e64 v4, v3, v4, s[4:5]
	flat_load_dwordx4 v[4:7], v[4:5]
	s_waitcnt vmcnt(0) lgkmcnt(0)
	ds_write_b128 v11, v[4:7]
	s_or_b64 exec, exec, s[8:9]
	v_mad_u32_u24 v2, v55, s14, v2
	s_and_saveexec_b64 s[8:9], s[12:13]
	s_cbranch_execnz .LBB59_55
	s_branch .LBB59_56
.LBB59_61:
	v_mov_b32_e32 v3, 0
.LBB59_62:
	v_add_f32_e32 v0, v0, v3
	v_add_f32_e32 v3, 0x40051340, v0
	v_max_f32_e32 v4, v58, v58
	v_max_f32_e32 v3, v4, v3
.LBB59_63:
	s_or_b64 exec, exec, s[12:13]
	v_mbcnt_hi_u32_b32 v74, -1, v96
	v_and_b32_e32 v4, 0x60, v74
	v_add_u32_e32 v75, 32, v4
	v_xor_b32_e32 v76, 16, v74
	v_cmp_lt_i32_e32 vcc, v76, v75
	v_xor_b32_e32 v77, 8, v74
	v_xor_b32_e32 v78, 4, v74
	v_cndmask_b32_e32 v4, v74, v76, vcc
	v_lshlrev_b32_e32 v7, 2, v4
	ds_bpermute_b32 v4, v7, v3
	v_cmp_lt_i32_e32 vcc, v77, v75
	v_max_f32_e32 v3, v3, v3
	v_xor_b32_e32 v79, 2, v74
	v_cndmask_b32_e32 v5, v74, v77, vcc
	s_waitcnt lgkmcnt(0)
	v_max_f32_e32 v4, v4, v4
	v_lshlrev_b32_e32 v8, 2, v5
	v_max_f32_e32 v3, v3, v4
	ds_bpermute_b32 v5, v8, v3
	v_cmp_lt_i32_e32 vcc, v78, v75
	v_xor_b32_e32 v80, 1, v74
	s_waitcnt lgkmcnt(0)
	v_max_f32_e32 v5, v5, v5
	v_cndmask_b32_e32 v4, v74, v78, vcc
	v_lshlrev_b32_e32 v4, 2, v4
	v_max_f32_e32 v3, v3, v5
	ds_bpermute_b32 v6, v4, v3
	v_cmp_lt_i32_e32 vcc, v79, v75
	s_waitcnt lgkmcnt(0)
	v_max_f32_e32 v6, v6, v6
	v_cndmask_b32_e32 v5, v74, v79, vcc
	v_lshlrev_b32_e32 v5, 2, v5
	v_max_f32_e32 v3, v3, v6
	ds_bpermute_b32 v9, v5, v3
	v_cmp_lt_i32_e32 vcc, v80, v75
	s_waitcnt lgkmcnt(0)
	v_max_f32_e32 v9, v9, v9
	v_cndmask_b32_e32 v6, v74, v80, vcc
	v_lshlrev_b32_e32 v6, 2, v6
	v_max_f32_e32 v3, v3, v9
	ds_bpermute_b32 v9, v6, v3
	s_waitcnt lgkmcnt(0)
	v_max_f32_e32 v9, v9, v9
	v_max_f32_e32 v64, v3, v9
	v_mov_b32_e32 v3, v59
	s_and_saveexec_b64 s[12:13], s[8:9]
	s_cbranch_execz .LBB59_68
; %bb.64:
	s_and_b64 vcc, exec, s[10:11]
	s_cbranch_vccnz .LBB59_66
; %bb.65:
	v_or_b32_e32 v3, 1, v89
	v_mul_hi_u32 v9, s36, v3
	v_add_u32_e32 v9, v3, v9
	v_lshrrev_b32_e32 v9, s37, v9
	v_mul_lo_u32 v9, v9, s38
	v_sub_u32_e32 v3, v3, v9
	v_mad_u64_u32 v[2:3], s[8:9], v3, s49, v[2:3]
	v_ashrrev_i32_e32 v3, 31, v2
	v_lshl_add_u64 v[2:3], v[2:3], 1, s[40:41]
	global_load_ushort v2, v[2:3], off
	s_waitcnt vmcnt(0)
	v_cvt_f32_f16_e32 v2, v2
	v_mul_f32_e32 v2, v57, v2
	s_branch .LBB59_67
.LBB59_66:
	v_mov_b32_e32 v2, 0
.LBB59_67:
	v_add_f32_e32 v1, v1, v2
	v_add_f32_e32 v2, 0x40051340, v1
	v_max_f32_e32 v3, v59, v59
	v_max_f32_e32 v3, v3, v2
.LBB59_68:
	s_or_b64 exec, exec, s[12:13]
	ds_bpermute_b32 v2, v7, v3
	v_max_f32_e32 v3, v3, v3
	v_sub_f32_e32 v0, v0, v64
	s_mov_b32 s8, 0x3fb8aa3b
	s_mov_b64 s[10:11], src_private_base
	s_waitcnt lgkmcnt(0)
	v_max_f32_e32 v2, v2, v2
	v_max_f32_e32 v2, v3, v2
	ds_bpermute_b32 v3, v8, v2
	s_mov_b32 s9, 0xc2ce8ed0
	s_mov_b32 s10, 0x42b17218
	v_cmp_ngt_f32_e32 vcc, s9, v0
	s_waitcnt lgkmcnt(0)
	v_max_f32_e32 v3, v3, v3
	v_max_f32_e32 v2, v2, v3
	ds_bpermute_b32 v3, v4, v2
	v_mul_f32_e32 v4, 0x3fb8aa3b, v0
	v_fma_f32 v7, v0, s8, -v4
	v_rndne_f32_e32 v8, v4
	v_fmac_f32_e32 v7, 0x32a5705f, v0
	s_waitcnt lgkmcnt(0)
	v_max_f32_e32 v3, v3, v3
	v_max_f32_e32 v2, v2, v3
	ds_bpermute_b32 v3, v5, v2
	v_sub_f32_e32 v4, v4, v8
	v_add_f32_e32 v4, v4, v7
	v_cvt_i32_f32_e32 v5, v8
	v_exp_f32_e32 v4, v4
	s_waitcnt lgkmcnt(0)
	v_max_f32_e32 v3, v3, v3
	v_max_f32_e32 v2, v2, v3
	ds_bpermute_b32 v3, v6, v2
	v_ldexp_f32 v4, v4, v5
	v_cndmask_b32_e32 v4, 0, v4, vcc
	v_cmp_nlt_f32_e32 vcc, s10, v0
	s_barrier
	s_waitcnt lgkmcnt(0)
	v_max_f32_e32 v3, v3, v3
	v_max_f32_e32 v65, v2, v3
	v_sub_f32_e32 v1, v1, v65
	v_mul_f32_e32 v3, 0x3fb8aa3b, v1
	v_fma_f32 v5, v1, s8, -v3
	v_rndne_f32_e32 v6, v3
	v_fmac_f32_e32 v5, 0x32a5705f, v1
	v_sub_f32_e32 v3, v3, v6
	v_add_f32_e32 v3, v3, v5
	v_exp_f32_e32 v3, v3
	v_cvt_i32_f32_e32 v5, v6
	v_mov_b32_e32 v2, 0x7f800000
	v_cndmask_b32_e32 v0, v2, v4, vcc
	v_cmp_gt_u32_e32 vcc, s26, v49
	v_cmp_ngt_f32_e64 s[8:9], s9, v1
	s_nop 0
	v_cndmask_b32_e32 v66, 0, v0, vcc
	v_ldexp_f32 v0, v3, v5
	v_cndmask_b32_e64 v0, 0, v0, s[8:9]
	v_cmp_nlt_f32_e64 s[8:9], s10, v1
	s_mul_hi_i32 s13, s48, s2
	s_mul_i32 s12, s48, s2
	v_cndmask_b32_e64 v0, v2, v0, s[8:9]
	v_cndmask_b32_e32 v67, 0, v0, vcc
	v_mov_b32_e32 v0, 0x1e40
	v_lshl_add_u32 v81, v55, 7, v0
	v_add_u32_e32 v0, v81, v48
	v_cvt_pk_f16_f32 v1, v66, v67
	ds_write_b32 v0, v1
	v_mul_u32_u24_e32 v0, 0xe0, v72
	v_lshl_or_b32 v0, v56, 2, v0
	v_mul_lo_u32 v68, s2, v72
	s_lshl_b64 s[12:13], s[12:13], 2
	v_cmp_gt_u32_e64 s[8:9], 16, v72
	v_add_u32_e32 v84, 0xc0, v0
	v_ashrrev_i32_e32 v69, 31, v68
	v_lshl_add_u64 v[4:5], v[52:53], 0, s[12:13]
	s_and_saveexec_b64 s[12:13], s[8:9]
	s_cbranch_execz .LBB59_70
; %bb.69:
	v_mov_b32_e32 v0, 0
	v_mov_b32_e32 v1, v0
	;; [unrolled: 1-line block ×3, first 2 shown]
	scratch_store_dwordx3 off, v[0:2], off offset:4
	v_mov_b32_e32 v63, v0
	scratch_store_dword off, v0, off
	v_lshl_add_u64 v[2:3], v[68:69], 2, v[4:5]
	v_lshl_add_u64 v[0:1], v[2:3], 0, v[62:63]
	s_mov_b64 s[14:15], 0xc0
	v_lshl_add_u64 v[0:1], v[0:1], 0, s[14:15]
	v_mov_b32_e32 v2, s11
	v_cndmask_b32_e64 v1, v2, v1, s[4:5]
	v_mov_b32_e32 v2, 0
	v_cndmask_b32_e64 v0, v2, v0, s[4:5]
	flat_load_dwordx4 v[0:3], v[0:1]
	s_waitcnt vmcnt(0) lgkmcnt(0)
	ds_write_b128 v84, v[0:3]
.LBB59_70:
	s_or_b64 exec, exec, s[12:13]
	v_mul_u32_u24_e32 v0, 0xe0, v73
	s_movk_i32 s10, 0x80
	v_mul_lo_u32 v70, s2, v73
	s_mov_b64 s[14:15], src_private_base
	v_cmp_gt_u32_e64 s[4:5], 16, v73
	v_add3_u32 v85, v0, v60, s10
	v_ashrrev_i32_e32 v71, 31, v70
	s_and_saveexec_b64 s[12:13], s[4:5]
	s_cbranch_execz .LBB59_72
; %bb.71:
	v_mov_b32_e32 v0, 0
	v_mov_b32_e32 v1, v0
	;; [unrolled: 1-line block ×3, first 2 shown]
	scratch_store_dwordx3 off, v[0:2], off offset:4
	v_mov_b32_e32 v61, v0
	scratch_store_dword off, v0, off
	v_lshl_add_u64 v[2:3], v[70:71], 2, v[4:5]
	v_lshl_add_u64 v[0:1], v[2:3], 0, v[60:61]
	s_mov_b64 s[16:17], 0x80
	v_lshl_add_u64 v[0:1], v[0:1], 0, s[16:17]
	v_mov_b32_e32 v2, s15
	v_cndmask_b32_e64 v1, v2, v1, s[6:7]
	v_mov_b32_e32 v2, 0
	v_cndmask_b32_e64 v0, v2, v0, s[6:7]
	flat_load_dwordx4 v[0:3], v[0:1]
	s_waitcnt vmcnt(0) lgkmcnt(0)
	ds_write_b128 v85, v[0:3]
.LBB59_72:
	s_or_b64 exec, exec, s[12:13]
	v_lshl_add_u32 v83, v55, 2, v95
	v_lshlrev_b32_e32 v54, 2, v54
	s_movk_i32 s6, 0xe0
	v_mul_lo_u32 v56, s2, v83
	s_mov_b64 s[12:13], src_private_base
	v_cmp_gt_u32_e32 vcc, 16, v83
	v_mov_b32_e32 v0, 0
	v_mad_u32_u24 v82, v83, s6, v54
	v_ashrrev_i32_e32 v57, 31, v56
	s_and_saveexec_b64 s[16:17], vcc
	s_cbranch_execz .LBB59_74
; %bb.73:
	v_mov_b32_e32 v1, v0
	v_mov_b32_e32 v2, v0
	scratch_store_dwordx3 off, v[0:2], off offset:4
	v_mov_b32_e32 v55, v0
	scratch_store_dword off, v0, off
	v_lshl_add_u64 v[2:3], v[56:57], 2, v[4:5]
	v_lshl_add_u64 v[0:1], v[2:3], 0, v[54:55]
	v_mov_b32_e32 v2, s13
	v_cmp_gt_i32_e64 s[6:7], s26, v83
	s_nop 1
	v_cndmask_b32_e64 v1, v2, v1, s[6:7]
	v_mov_b32_e32 v2, 0
	v_cndmask_b32_e64 v0, v2, v0, s[6:7]
	flat_load_dwordx4 v[0:3], v[0:1]
	s_waitcnt vmcnt(0) lgkmcnt(0)
	ds_write_b128 v82, v[0:3]
.LBB59_74:
	s_or_b64 exec, exec, s[16:17]
	v_sub_f32_e32 v0, v58, v64
	s_mov_b32 s10, 0x3fb8aa3b
	v_mul_f32_e32 v1, 0x3fb8aa3b, v0
	v_fma_f32 v2, v0, s10, -v1
	v_rndne_f32_e32 v3, v1
	v_fmac_f32_e32 v2, 0x32a5705f, v0
	v_sub_f32_e32 v1, v1, v3
	v_add_f32_e32 v1, v1, v2
	v_cvt_i32_f32_e32 v2, v3
	v_sub_f32_e32 v3, v59, v65
	v_mul_f32_e32 v4, 0x3fb8aa3b, v3
	v_fma_f32 v5, v3, s10, -v4
	v_rndne_f32_e32 v6, v4
	v_exp_f32_e32 v1, v1
	v_fmac_f32_e32 v5, 0x32a5705f, v3
	v_sub_f32_e32 v4, v4, v6
	v_add_f32_e32 v4, v4, v5
	v_exp_f32_e32 v4, v4
	v_cvt_i32_f32_e32 v5, v6
	s_mov_b32 s12, 0xc2ce8ed0
	s_waitcnt lgkmcnt(0)
	s_barrier
	ds_read2_b64 v[28:31], v90 offset1:28
	ds_read_b128 v[44:47], v81
	ds_read_b128 v[40:43], v81 offset:16
	ds_read_b128 v[36:39], v81 offset:32
	ds_read_b128 v[32:35], v81 offset:48
	ds_read2_b64 v[24:27], v90 offset0:56 offset1:84
	ds_read2_b64 v[20:23], v90 offset0:112 offset1:140
	;; [unrolled: 1-line block ×4, first 2 shown]
	v_ldexp_f32 v1, v1, v2
	v_cmp_ngt_f32_e64 s[6:7], s12, v0
	s_mov_b32 s14, 0x42b17218
	v_mov_b32_e32 v2, 0x7f800000
	v_cndmask_b32_e64 v1, 0, v1, s[6:7]
	v_cmp_nlt_f32_e64 s[6:7], s14, v0
	v_ldexp_f32 v0, v4, v5
	s_add_i32 s26, s26, -16
	v_cndmask_b32_e64 v58, v2, v1, s[6:7]
	v_cmp_ngt_f32_e64 s[6:7], s12, v3
	v_cvt_f16_f32_e32 v55, v58
	s_nop 0
	v_cndmask_b32_e64 v0, 0, v0, s[6:7]
	v_cmp_nlt_f32_e64 s[6:7], s14, v3
	s_nop 1
	v_cndmask_b32_e64 v59, v2, v0, s[6:7]
	v_add_u32_e32 v0, 0x800, v90
	ds_read2_b64 v[8:11], v0 offset0:24 offset1:52
	ds_read2_b64 v[4:7], v0 offset0:80 offset1:108
	;; [unrolled: 1-line block ×3, first 2 shown]
	v_cvt_f16_f32_e32 v95, v59
	s_or_b32 s6, s48, 16
	s_mul_hi_i32 s7, s6, s2
	s_mul_i32 s6, s6, s2
	s_lshl_b64 s[6:7], s[6:7], 2
	v_lshl_add_u64 v[52:53], v[52:53], 0, s[6:7]
	s_waitcnt lgkmcnt(0)
	s_barrier
	s_and_saveexec_b64 s[16:17], s[8:9]
	s_cbranch_execz .LBB59_76
; %bb.75:
	v_mov_b32_e32 v96, 0
	v_lshl_add_u64 v[68:69], v[68:69], 2, v[52:53]
	v_mov_b32_e32 v63, v96
	v_lshl_add_u64 v[62:63], v[68:69], 0, v[62:63]
	s_mov_b64 s[6:7], 0xc0
	v_lshl_add_u64 v[62:63], v[62:63], 0, s[6:7]
	v_mov_b32_e32 v61, s11
	v_cmp_gt_i32_e64 s[6:7], s26, v72
	v_mov_b32_e32 v97, v96
	v_mov_b32_e32 v98, v96
	v_cndmask_b32_e64 v63, v61, v63, s[6:7]
	v_mov_b32_e32 v61, 0
	scratch_store_dword off, v96, off
	scratch_store_dwordx3 off, v[96:98], off offset:4
	v_cndmask_b32_e64 v62, v61, v62, s[6:7]
	flat_load_dwordx4 v[96:99], v[62:63]
	s_waitcnt vmcnt(0) lgkmcnt(0)
	ds_write_b128 v84, v[96:99]
.LBB59_76:
	s_or_b64 exec, exec, s[16:17]
	s_mov_b32 s2, 0x10001
	s_and_saveexec_b64 s[6:7], s[4:5]
	s_cbranch_execz .LBB59_78
; %bb.77:
	v_mov_b32_e32 v96, 0
	v_lshl_add_u64 v[62:63], v[70:71], 2, v[52:53]
	v_mov_b32_e32 v61, v96
	v_lshl_add_u64 v[60:61], v[62:63], 0, v[60:61]
	s_mov_b64 s[4:5], 0x80
	v_lshl_add_u64 v[60:61], v[60:61], 0, s[4:5]
	v_mov_b32_e32 v62, s15
	v_cmp_gt_i32_e64 s[4:5], s26, v73
	v_mov_b32_e32 v97, v96
	v_mov_b32_e32 v98, v96
	v_cndmask_b32_e64 v61, v62, v61, s[4:5]
	v_mov_b32_e32 v62, 0
	scratch_store_dword off, v96, off
	scratch_store_dwordx3 off, v[96:98], off offset:4
	v_cndmask_b32_e64 v60, v62, v60, s[4:5]
	flat_load_dwordx4 v[60:63], v[60:61]
	s_waitcnt vmcnt(0) lgkmcnt(0)
	ds_write_b128 v85, v[60:63]
.LBB59_78:
	s_or_b64 exec, exec, s[6:7]
	v_mul_u32_u24_e32 v101, 0x10001, v55
	v_mul_u32_u24_e32 v98, 0x10001, v95
	v_mul_u32_u24_sdwa v99, v44, s2 dst_sel:DWORD dst_unused:UNUSED_PAD src0_sel:WORD_0 src1_sel:DWORD
	v_mul_u32_u24_sdwa v100, v44, s2 dst_sel:DWORD dst_unused:UNUSED_PAD src0_sel:WORD_1 src1_sel:DWORD
	v_mul_u32_u24_sdwa v96, v45, s2 dst_sel:DWORD dst_unused:UNUSED_PAD src0_sel:WORD_0 src1_sel:DWORD
	v_mul_u32_u24_sdwa v97, v45, s2 dst_sel:DWORD dst_unused:UNUSED_PAD src0_sel:WORD_1 src1_sel:DWORD
	;; [unrolled: 2-line block ×16, first 2 shown]
	s_and_saveexec_b64 s[4:5], vcc
	s_cbranch_execz .LBB59_80
; %bb.79:
	v_mov_b32_e32 v102, 0
	v_lshl_add_u64 v[52:53], v[56:57], 2, v[52:53]
	v_mov_b32_e32 v55, v102
	v_lshl_add_u64 v[52:53], v[52:53], 0, v[54:55]
	v_mov_b32_e32 v35, s13
	v_cmp_gt_i32_e32 vcc, s26, v83
	v_mov_b32_e32 v103, v102
	v_mov_b32_e32 v104, v102
	v_cndmask_b32_e32 v53, v35, v53, vcc
	v_mov_b32_e32 v35, 0
	scratch_store_dword off, v102, off
	scratch_store_dwordx3 off, v[102:104], off offset:4
	v_cndmask_b32_e32 v52, v35, v52, vcc
	flat_load_dwordx4 v[52:55], v[52:53]
	s_waitcnt vmcnt(0) lgkmcnt(0)
	ds_write_b128 v82, v[52:55]
.LBB59_80:
	s_or_b64 exec, exec, s[4:5]
	v_pk_mul_f16 v35, v94, v101
	v_pk_mul_f16 v52, v92, v98
	;; [unrolled: 1-line block ×4, first 2 shown]
	v_pk_fma_f16 v53, v93, v101, v53
	v_pk_fma_f16 v28, v91, v98, v28
	;; [unrolled: 1-line block ×64, first 2 shown]
	s_waitcnt lgkmcnt(0)
	s_barrier
	ds_read2_b64 v[0:3], v90 offset1:28
	ds_read_b128 v[4:7], v81 offset:64
	ds_read_b128 v[8:11], v81 offset:80
	;; [unrolled: 1-line block ×4, first 2 shown]
	v_fmac_f32_e32 v66, v50, v58
	s_waitcnt lgkmcnt(3)
	v_mul_u32_u24_sdwa v24, v4, s2 dst_sel:DWORD dst_unused:UNUSED_PAD src0_sel:WORD_0 src1_sel:DWORD
	v_mul_u32_u24_sdwa v4, v4, s2 dst_sel:DWORD dst_unused:UNUSED_PAD src0_sel:WORD_1 src1_sel:DWORD
	v_pk_fma_f16 v20, v0, v24, v20
	v_pk_fma_f16 v0, v0, v4, v21
	v_pk_fma_f16 v24, v1, v24, v22
	v_pk_fma_f16 v1, v1, v4, v23
	v_mul_u32_u24_sdwa v4, v5, s2 dst_sel:DWORD dst_unused:UNUSED_PAD src0_sel:WORD_0 src1_sel:DWORD
	v_pk_fma_f16 v25, v2, v4, v20
	ds_read2_b64 v[20:23], v90 offset0:56 offset1:84
	v_mul_u32_u24_sdwa v5, v5, s2 dst_sel:DWORD dst_unused:UNUSED_PAD src0_sel:WORD_1 src1_sel:DWORD
	v_pk_fma_f16 v0, v2, v5, v0
	v_pk_fma_f16 v2, v3, v4, v24
	v_pk_fma_f16 v1, v3, v5, v1
	v_mul_u32_u24_sdwa v3, v6, s2 dst_sel:DWORD dst_unused:UNUSED_PAD src0_sel:WORD_0 src1_sel:DWORD
	v_mul_u32_u24_sdwa v4, v6, s2 dst_sel:DWORD dst_unused:UNUSED_PAD src0_sel:WORD_1 src1_sel:DWORD
	s_waitcnt lgkmcnt(0)
	v_pk_fma_f16 v5, v20, v3, v25
	v_pk_fma_f16 v0, v20, v4, v0
	v_mul_u32_u24_sdwa v20, v7, s2 dst_sel:DWORD dst_unused:UNUSED_PAD src0_sel:WORD_0 src1_sel:DWORD
	v_mul_u32_u24_sdwa v7, v7, s2 dst_sel:DWORD dst_unused:UNUSED_PAD src0_sel:WORD_1 src1_sel:DWORD
	v_pk_fma_f16 v6, v21, v3, v2
	v_pk_fma_f16 v4, v21, v4, v1
	v_pk_fma_f16 v21, v22, v7, v0
	ds_read2_b64 v[0:3], v90 offset0:112 offset1:140
	v_pk_fma_f16 v5, v22, v20, v5
	v_pk_fma_f16 v6, v23, v20, v6
	;; [unrolled: 1-line block ×3, first 2 shown]
	v_mul_u32_u24_sdwa v7, v8, s2 dst_sel:DWORD dst_unused:UNUSED_PAD src0_sel:WORD_0 src1_sel:DWORD
	v_mul_u32_u24_sdwa v8, v8, s2 dst_sel:DWORD dst_unused:UNUSED_PAD src0_sel:WORD_1 src1_sel:DWORD
	s_waitcnt lgkmcnt(0)
	v_pk_fma_f16 v5, v0, v7, v5
	v_pk_fma_f16 v0, v0, v8, v21
	;; [unrolled: 1-line block ×4, first 2 shown]
	v_mul_u32_u24_sdwa v8, v9, s2 dst_sel:DWORD dst_unused:UNUSED_PAD src0_sel:WORD_0 src1_sel:DWORD
	v_pk_fma_f16 v21, v2, v8, v5
	ds_read2_b64 v[4:7], v90 offset0:168 offset1:196
	v_mul_u32_u24_sdwa v9, v9, s2 dst_sel:DWORD dst_unused:UNUSED_PAD src0_sel:WORD_1 src1_sel:DWORD
	v_pk_fma_f16 v0, v2, v9, v0
	v_pk_fma_f16 v2, v3, v8, v20
	;; [unrolled: 1-line block ×3, first 2 shown]
	v_mul_u32_u24_sdwa v3, v10, s2 dst_sel:DWORD dst_unused:UNUSED_PAD src0_sel:WORD_0 src1_sel:DWORD
	v_mul_u32_u24_sdwa v8, v10, s2 dst_sel:DWORD dst_unused:UNUSED_PAD src0_sel:WORD_1 src1_sel:DWORD
	s_waitcnt lgkmcnt(0)
	v_pk_fma_f16 v9, v4, v3, v21
	v_pk_fma_f16 v0, v4, v8, v0
	;; [unrolled: 1-line block ×4, first 2 shown]
	v_mul_u32_u24_sdwa v8, v11, s2 dst_sel:DWORD dst_unused:UNUSED_PAD src0_sel:WORD_0 src1_sel:DWORD
	v_mul_u32_u24_sdwa v10, v11, s2 dst_sel:DWORD dst_unused:UNUSED_PAD src0_sel:WORD_1 src1_sel:DWORD
	v_pk_fma_f16 v9, v6, v8, v9
	v_pk_fma_f16 v6, v6, v10, v0
	ds_read2_b64 v[0:3], v90 offset0:224 offset1:252
	v_pk_fma_f16 v4, v7, v8, v4
	v_pk_fma_f16 v5, v7, v10, v5
	v_mul_u32_u24_sdwa v7, v12, s2 dst_sel:DWORD dst_unused:UNUSED_PAD src0_sel:WORD_0 src1_sel:DWORD
	v_mul_u32_u24_sdwa v8, v12, s2 dst_sel:DWORD dst_unused:UNUSED_PAD src0_sel:WORD_1 src1_sel:DWORD
	v_add_u32_e32 v12, 0x800, v90
	s_waitcnt lgkmcnt(0)
	v_pk_fma_f16 v9, v0, v7, v9
	v_pk_fma_f16 v0, v0, v8, v6
	;; [unrolled: 1-line block ×4, first 2 shown]
	ds_read2_b64 v[4:7], v12 offset0:24 offset1:52
	v_mul_u32_u24_sdwa v8, v13, s2 dst_sel:DWORD dst_unused:UNUSED_PAD src0_sel:WORD_0 src1_sel:DWORD
	v_mul_u32_u24_sdwa v11, v13, s2 dst_sel:DWORD dst_unused:UNUSED_PAD src0_sel:WORD_1 src1_sel:DWORD
	v_pk_fma_f16 v9, v2, v8, v9
	v_pk_fma_f16 v0, v2, v11, v0
	v_pk_fma_f16 v2, v3, v8, v10
	v_pk_fma_f16 v1, v3, v11, v1
	v_mul_u32_u24_sdwa v3, v14, s2 dst_sel:DWORD dst_unused:UNUSED_PAD src0_sel:WORD_0 src1_sel:DWORD
	v_mul_u32_u24_sdwa v8, v14, s2 dst_sel:DWORD dst_unused:UNUSED_PAD src0_sel:WORD_1 src1_sel:DWORD
	s_waitcnt lgkmcnt(0)
	v_pk_fma_f16 v9, v4, v3, v9
	v_pk_fma_f16 v0, v4, v8, v0
	v_pk_fma_f16 v4, v5, v3, v2
	v_pk_fma_f16 v5, v5, v8, v1
	v_mul_u32_u24_sdwa v8, v15, s2 dst_sel:DWORD dst_unused:UNUSED_PAD src0_sel:WORD_0 src1_sel:DWORD
	v_mul_u32_u24_sdwa v10, v15, s2 dst_sel:DWORD dst_unused:UNUSED_PAD src0_sel:WORD_1 src1_sel:DWORD
	v_pk_fma_f16 v9, v6, v8, v9
	v_pk_fma_f16 v6, v6, v10, v0
	ds_read2_b64 v[0:3], v12 offset0:80 offset1:108
	v_pk_fma_f16 v4, v7, v8, v4
	v_pk_fma_f16 v5, v7, v10, v5
	v_mul_u32_u24_sdwa v7, v16, s2 dst_sel:DWORD dst_unused:UNUSED_PAD src0_sel:WORD_0 src1_sel:DWORD
	v_mul_u32_u24_sdwa v8, v16, s2 dst_sel:DWORD dst_unused:UNUSED_PAD src0_sel:WORD_1 src1_sel:DWORD
	s_waitcnt lgkmcnt(0)
	v_pk_fma_f16 v9, v0, v7, v9
	v_pk_fma_f16 v0, v0, v8, v6
	;; [unrolled: 1-line block ×4, first 2 shown]
	ds_read2_b64 v[4:7], v12 offset0:136 offset1:164
	v_mul_u32_u24_sdwa v8, v17, s2 dst_sel:DWORD dst_unused:UNUSED_PAD src0_sel:WORD_0 src1_sel:DWORD
	v_mul_u32_u24_sdwa v11, v17, s2 dst_sel:DWORD dst_unused:UNUSED_PAD src0_sel:WORD_1 src1_sel:DWORD
	v_pk_fma_f16 v9, v2, v8, v9
	v_pk_fma_f16 v0, v2, v11, v0
	;; [unrolled: 1-line block ×4, first 2 shown]
	v_mul_u32_u24_sdwa v3, v18, s2 dst_sel:DWORD dst_unused:UNUSED_PAD src0_sel:WORD_0 src1_sel:DWORD
	v_mul_u32_u24_sdwa v8, v18, s2 dst_sel:DWORD dst_unused:UNUSED_PAD src0_sel:WORD_1 src1_sel:DWORD
	s_waitcnt lgkmcnt(0)
	v_pk_fma_f16 v9, v4, v3, v9
	v_pk_fma_f16 v0, v4, v8, v0
	;; [unrolled: 1-line block ×4, first 2 shown]
	v_mul_u32_u24_sdwa v3, v19, s2 dst_sel:DWORD dst_unused:UNUSED_PAD src0_sel:WORD_0 src1_sel:DWORD
	v_mul_u32_u24_sdwa v4, v19, s2 dst_sel:DWORD dst_unused:UNUSED_PAD src0_sel:WORD_1 src1_sel:DWORD
	v_fmac_f32_e32 v67, v51, v59
	v_pk_fma_f16 v93, v6, v3, v9
	v_pk_fma_f16 v91, v6, v4, v0
	;; [unrolled: 1-line block ×4, first 2 shown]
	v_mov_b64_e32 v[58:59], v[64:65]
	s_barrier
.LBB59_81:
	v_cmp_lt_i32_e32 vcc, v76, v75
	s_cmp_eq_u64 s[24:25], 0
	s_cselect_b64 s[4:5], -1, 0
	v_cndmask_b32_e32 v0, v74, v76, vcc
	v_lshlrev_b32_e32 v1, 2, v0
	ds_bpermute_b32 v0, v1, v66
	ds_bpermute_b32 v1, v1, v67
	v_cmp_lt_i32_e32 vcc, v77, v75
	s_cmp_lg_u32 s3, 0
	s_cselect_b64 s[6:7], -1, 0
	v_cndmask_b32_e32 v2, v74, v77, vcc
	v_lshlrev_b32_e32 v3, 2, v2
	s_waitcnt lgkmcnt(0)
	v_pk_add_f32 v[0:1], v[66:67], v[0:1]
	ds_bpermute_b32 v2, v3, v0
	ds_bpermute_b32 v3, v3, v1
	v_cmp_lt_i32_e32 vcc, v78, v75
	s_or_b64 s[4:5], s[6:7], s[4:5]
	s_waitcnt lgkmcnt(0)
	v_pk_add_f32 v[0:1], v[0:1], v[2:3]
	v_cndmask_b32_e32 v4, v74, v78, vcc
	v_lshlrev_b32_e32 v4, 2, v4
	ds_bpermute_b32 v2, v4, v0
	ds_bpermute_b32 v3, v4, v1
	v_cmp_lt_i32_e32 vcc, v79, v75
	s_waitcnt lgkmcnt(0)
	v_pk_add_f32 v[0:1], v[0:1], v[2:3]
	v_cndmask_b32_e32 v4, v74, v79, vcc
	v_lshlrev_b32_e32 v4, 2, v4
	ds_bpermute_b32 v2, v4, v0
	ds_bpermute_b32 v3, v4, v1
	v_cmp_lt_i32_e32 vcc, v80, v75
	s_waitcnt lgkmcnt(0)
	v_pk_add_f32 v[0:1], v[0:1], v[2:3]
	v_cndmask_b32_e32 v4, v74, v80, vcc
	v_lshlrev_b32_e32 v4, 2, v4
	ds_bpermute_b32 v2, v4, v0
	ds_bpermute_b32 v3, v4, v1
	s_and_b64 vcc, exec, s[4:5]
	s_waitcnt lgkmcnt(0)
	v_pk_add_f32 v[0:1], v[0:1], v[2:3]
	s_cbranch_vccnz .LBB59_83
; %bb.82:
	s_lshl_b64 s[4:5], s[34:35], 2
	s_add_u32 s4, s24, s4
	s_addc_u32 s5, s25, s5
	v_mov_b32_e32 v2, 0
	global_load_dword v4, v2, s[4:5]
	v_max_f32_e32 v2, v58, v58
	v_max_f32_e32 v3, v59, v59
	s_mov_b32 s2, 0x3fb8aa3b
	s_mov_b32 s4, 0xc2ce8ed0
	;; [unrolled: 1-line block ×3, first 2 shown]
	v_mov_b32_e32 v7, 0x7f800000
	s_waitcnt vmcnt(0)
	v_max_f32_e32 v5, v4, v4
	v_max_f32_e32 v2, v2, v5
	v_max_f32_e32 v3, v3, v5
	v_sub_f32_e32 v5, v58, v2
	v_sub_f32_e32 v6, v4, v2
	;; [unrolled: 1-line block ×3, first 2 shown]
	v_mul_f32_e32 v4, 0x3fb8aa3b, v5
	v_sub_f32_e32 v8, v59, v3
	v_mul_f32_e32 v10, 0x3fb8aa3b, v6
	v_fma_f32 v13, v5, s2, -v4
	v_rndne_f32_e32 v14, v4
	v_mul_f32_e32 v11, 0x3fb8aa3b, v8
	v_fma_f32 v15, v6, s2, -v10
	v_rndne_f32_e32 v16, v10
	v_fmac_f32_e32 v13, 0x32a5705f, v5
	v_sub_f32_e32 v4, v4, v14
	v_mul_f32_e32 v12, 0x3fb8aa3b, v9
	v_fma_f32 v17, v8, s2, -v11
	v_rndne_f32_e32 v18, v11
	v_fmac_f32_e32 v15, 0x32a5705f, v6
	v_sub_f32_e32 v10, v10, v16
	v_add_f32_e32 v4, v4, v13
	v_fma_f32 v19, v9, s2, -v12
	v_rndne_f32_e32 v20, v12
	v_cvt_i32_f32_e32 v14, v14
	v_fmac_f32_e32 v17, 0x32a5705f, v8
	v_sub_f32_e32 v11, v11, v18
	v_add_f32_e32 v10, v10, v15
	v_exp_f32_e32 v4, v4
	v_cvt_i32_f32_e32 v16, v16
	v_fmac_f32_e32 v19, 0x32a5705f, v9
	v_sub_f32_e32 v12, v12, v20
	v_add_f32_e32 v11, v11, v17
	v_exp_f32_e32 v10, v10
	v_cvt_i32_f32_e32 v18, v18
	v_add_f32_e32 v12, v12, v19
	v_exp_f32_e32 v11, v11
	v_cvt_i32_f32_e32 v20, v20
	v_exp_f32_e32 v12, v12
	v_ldexp_f32 v4, v4, v14
	v_cmp_ngt_f32_e32 vcc, s4, v5
	v_ldexp_f32 v10, v10, v16
	v_ldexp_f32 v11, v11, v18
	v_cndmask_b32_e32 v4, 0, v4, vcc
	v_cmp_ngt_f32_e32 vcc, s4, v6
	v_ldexp_f32 v12, v12, v20
	v_mov_b64_e32 v[58:59], v[2:3]
	v_cndmask_b32_e32 v10, 0, v10, vcc
	v_cmp_ngt_f32_e32 vcc, s4, v8
	s_nop 1
	v_cndmask_b32_e32 v11, 0, v11, vcc
	v_cmp_ngt_f32_e32 vcc, s4, v9
	s_nop 1
	v_cndmask_b32_e32 v12, 0, v12, vcc
	v_cmp_nlt_f32_e32 vcc, s5, v5
	s_nop 1
	v_cndmask_b32_e32 v4, v7, v4, vcc
	v_cmp_nlt_f32_e32 vcc, s5, v6
	;; [unrolled: 3-line block ×3, first 2 shown]
	v_cvt_f16_f32_e32 v8, v4
	s_nop 0
	v_cndmask_b32_e32 v5, v7, v11, vcc
	v_cvt_f16_f32_e32 v10, v5
	v_cmp_nlt_f32_e32 vcc, s5, v9
	s_nop 1
	v_cndmask_b32_e32 v7, v7, v12, vcc
	v_pk_fma_f32 v[0:1], v[0:1], v[4:5], v[6:7]
	v_mul_u32_u24_e32 v4, 0x10001, v8
	v_mul_u32_u24_e32 v5, 0x10001, v10
	v_pk_mul_f16 v93, v93, v4
	v_pk_mul_f16 v94, v94, v4
	;; [unrolled: 1-line block ×4, first 2 shown]
.LBB59_83:
	v_cmp_gt_i32_e32 vcc, s38, v89
	s_and_saveexec_b64 s[4:5], vcc
	s_cbranch_execz .LBB59_97
; %bb.84:
	s_load_dword s2, s[0:1], 0xd4
	v_mov_b32_e32 v2, 1.0
	s_waitcnt lgkmcnt(0)
	s_cmp_lg_u32 s2, 1
	s_cselect_b64 s[4:5], -1, 0
	s_cmp_eq_u32 s2, 1
	s_cselect_b64 s[0:1], -1, 0
	s_and_b64 vcc, exec, s[4:5]
	s_cbranch_vccnz .LBB59_86
; %bb.85:
	v_div_scale_f32 v2, s[6:7], v0, v0, 1.0
	v_rcp_f32_e32 v3, v2
	v_div_scale_f32 v4, vcc, 1.0, v0, 1.0
	v_fma_f32 v5, -v2, v3, 1.0
	v_fmac_f32_e32 v3, v5, v3
	v_mul_f32_e32 v5, v4, v3
	v_fma_f32 v6, -v2, v5, v4
	v_fmac_f32_e32 v5, v6, v3
	v_fma_f32 v2, -v2, v5, v4
	v_div_fmas_f32 v2, v2, v3, v5
	v_div_fixup_f32 v2, v2, v0, 1.0
.LBB59_86:
	s_mul_i32 s8, s33, s38
	s_add_i32 s8, s8, s43
	v_add_u32_e32 v3, s8, v87
	v_mul_lo_u32 v3, v3, s39
	v_add_u32_e32 v3, s34, v3
	v_mul_lo_u32 v3, s2, v3
	v_add_u32_e32 v4, s3, v3
	s_and_saveexec_b64 s[6:7], s[22:23]
	s_cbranch_execz .LBB59_88
; %bb.87:
	v_cvt_f32_f16_sdwa v9, v93 dst_sel:DWORD dst_unused:UNUSED_PAD src0_sel:WORD_1
	v_cvt_f32_f16_e32 v8, v93
	v_cvt_f32_f16_sdwa v11, v94 dst_sel:DWORD dst_unused:UNUSED_PAD src0_sel:WORD_1
	v_cvt_f32_f16_e32 v10, v94
	s_movk_i32 s9, 0x70
	v_mad_u64_u32 v[6:7], s[10:11], v4, s9, v[48:49]
	v_mov_b32_e32 v7, 0
	v_lshl_add_u64 v[12:13], v[6:7], 2, s[28:29]
	v_pk_mul_f32 v[6:7], v[2:3], v[8:9] op_sel_hi:[0,1]
	v_pk_mul_f32 v[8:9], v[2:3], v[10:11] op_sel_hi:[0,1]
	global_store_dwordx4 v[12:13], v[6:9], off
.LBB59_88:
	s_or_b64 exec, exec, s[6:7]
	v_cmp_eq_u32_e32 vcc, 0, v49
	s_and_b64 s[4:5], vcc, s[4:5]
	s_and_saveexec_b64 s[6:7], s[4:5]
	s_cbranch_execz .LBB59_90
; %bb.89:
	v_ashrrev_i32_e32 v5, 31, v4
	v_lshl_add_u64 v[2:3], v[4:5], 3, s[30:31]
	v_mov_b32_e32 v4, v58
	v_mov_b32_e32 v5, v0
	global_store_dwordx2 v[2:3], v[4:5], off
.LBB59_90:
	s_or_b64 exec, exec, s[6:7]
	v_cmp_gt_i32_e32 vcc, s38, v88
	s_and_b64 exec, exec, vcc
	s_cbranch_execz .LBB59_97
; %bb.91:
	s_andn2_b64 vcc, exec, s[0:1]
	v_mov_b32_e32 v0, 1.0
	s_cbranch_vccnz .LBB59_93
; %bb.92:
	v_div_scale_f32 v0, s[0:1], v1, v1, 1.0
	v_rcp_f32_e32 v2, v0
	v_div_scale_f32 v3, vcc, 1.0, v1, 1.0
	v_fma_f32 v4, -v0, v2, 1.0
	v_fmac_f32_e32 v2, v4, v2
	v_mul_f32_e32 v4, v3, v2
	v_fma_f32 v5, -v0, v4, v3
	v_fmac_f32_e32 v4, v5, v2
	v_fma_f32 v0, -v0, v4, v3
	v_div_fmas_f32 v0, v0, v2, v4
	v_div_fixup_f32 v0, v0, v1, 1.0
.LBB59_93:
	v_add_u32_e32 v2, s8, v86
	v_mul_lo_u32 v2, v2, s39
	v_add_u32_e32 v2, s34, v2
	v_mul_lo_u32 v2, s2, v2
	v_add_u32_e32 v2, s3, v2
	s_and_saveexec_b64 s[0:1], s[22:23]
	s_cbranch_execz .LBB59_95
; %bb.94:
	v_cvt_f32_f16_sdwa v7, v91 dst_sel:DWORD dst_unused:UNUSED_PAD src0_sel:WORD_1
	v_cvt_f32_f16_e32 v6, v91
	v_cvt_f32_f16_sdwa v9, v92 dst_sel:DWORD dst_unused:UNUSED_PAD src0_sel:WORD_1
	v_cvt_f32_f16_e32 v8, v92
	s_movk_i32 s2, 0x70
	v_mad_u64_u32 v[4:5], s[2:3], v2, s2, v[48:49]
	v_mov_b32_e32 v5, 0
	v_lshl_add_u64 v[10:11], v[4:5], 2, s[28:29]
	v_pk_mul_f32 v[4:5], v[0:1], v[6:7] op_sel_hi:[0,1]
	v_pk_mul_f32 v[6:7], v[0:1], v[8:9] op_sel_hi:[0,1]
	global_store_dwordx4 v[10:11], v[4:7], off
.LBB59_95:
	s_or_b64 exec, exec, s[0:1]
	s_and_b64 exec, exec, s[4:5]
	s_cbranch_execz .LBB59_97
; %bb.96:
	v_ashrrev_i32_e32 v3, 31, v2
	v_lshl_add_u64 v[2:3], v[2:3], 3, s[30:31]
	v_mov_b32_e32 v0, v59
	global_store_dwordx2 v[2:3], v[0:1], off
.LBB59_97:
	s_endpgm
	.section	.rodata,"a",@progbits
	.p2align	6, 0x0
	.amdhsa_kernel _ZL15flash_attn_tileILi112ELi112ELi16ELi1ELb0EEvPKcS1_S1_S1_S1_PKiPfP15HIP_vector_typeIfLj2EEffffjfiS5_IjLj3EEiiiiiiiiiiiliiliiiiil
		.amdhsa_group_segment_fixed_size 8768
		.amdhsa_private_segment_fixed_size 32
		.amdhsa_kernarg_size 464
		.amdhsa_user_sgpr_count 2
		.amdhsa_user_sgpr_dispatch_ptr 0
		.amdhsa_user_sgpr_queue_ptr 0
		.amdhsa_user_sgpr_kernarg_segment_ptr 1
		.amdhsa_user_sgpr_dispatch_id 0
		.amdhsa_user_sgpr_kernarg_preload_length 0
		.amdhsa_user_sgpr_kernarg_preload_offset 0
		.amdhsa_user_sgpr_private_segment_size 0
		.amdhsa_uses_dynamic_stack 0
		.amdhsa_enable_private_segment 1
		.amdhsa_system_sgpr_workgroup_id_x 1
		.amdhsa_system_sgpr_workgroup_id_y 1
		.amdhsa_system_sgpr_workgroup_id_z 1
		.amdhsa_system_sgpr_workgroup_info 0
		.amdhsa_system_vgpr_workitem_id 1
		.amdhsa_next_free_vgpr 129
		.amdhsa_next_free_sgpr 56
		.amdhsa_accum_offset 132
		.amdhsa_reserve_vcc 1
		.amdhsa_float_round_mode_32 0
		.amdhsa_float_round_mode_16_64 0
		.amdhsa_float_denorm_mode_32 3
		.amdhsa_float_denorm_mode_16_64 3
		.amdhsa_dx10_clamp 1
		.amdhsa_ieee_mode 1
		.amdhsa_fp16_overflow 0
		.amdhsa_tg_split 0
		.amdhsa_exception_fp_ieee_invalid_op 0
		.amdhsa_exception_fp_denorm_src 0
		.amdhsa_exception_fp_ieee_div_zero 0
		.amdhsa_exception_fp_ieee_overflow 0
		.amdhsa_exception_fp_ieee_underflow 0
		.amdhsa_exception_fp_ieee_inexact 0
		.amdhsa_exception_int_div_zero 0
	.end_amdhsa_kernel
	.section	.text._ZL15flash_attn_tileILi112ELi112ELi16ELi1ELb0EEvPKcS1_S1_S1_S1_PKiPfP15HIP_vector_typeIfLj2EEffffjfiS5_IjLj3EEiiiiiiiiiiiliiliiiiil,"axG",@progbits,_ZL15flash_attn_tileILi112ELi112ELi16ELi1ELb0EEvPKcS1_S1_S1_S1_PKiPfP15HIP_vector_typeIfLj2EEffffjfiS5_IjLj3EEiiiiiiiiiiiliiliiiiil,comdat
.Lfunc_end59:
	.size	_ZL15flash_attn_tileILi112ELi112ELi16ELi1ELb0EEvPKcS1_S1_S1_S1_PKiPfP15HIP_vector_typeIfLj2EEffffjfiS5_IjLj3EEiiiiiiiiiiiliiliiiiil, .Lfunc_end59-_ZL15flash_attn_tileILi112ELi112ELi16ELi1ELb0EEvPKcS1_S1_S1_S1_PKiPfP15HIP_vector_typeIfLj2EEffffjfiS5_IjLj3EEiiiiiiiiiiiliiliiiiil
                                        ; -- End function
	.set _ZL15flash_attn_tileILi112ELi112ELi16ELi1ELb0EEvPKcS1_S1_S1_S1_PKiPfP15HIP_vector_typeIfLj2EEffffjfiS5_IjLj3EEiiiiiiiiiiiliiliiiiil.num_vgpr, 129
	.set _ZL15flash_attn_tileILi112ELi112ELi16ELi1ELb0EEvPKcS1_S1_S1_S1_PKiPfP15HIP_vector_typeIfLj2EEffffjfiS5_IjLj3EEiiiiiiiiiiiliiliiiiil.num_agpr, 0
	.set _ZL15flash_attn_tileILi112ELi112ELi16ELi1ELb0EEvPKcS1_S1_S1_S1_PKiPfP15HIP_vector_typeIfLj2EEffffjfiS5_IjLj3EEiiiiiiiiiiiliiliiiiil.numbered_sgpr, 56
	.set _ZL15flash_attn_tileILi112ELi112ELi16ELi1ELb0EEvPKcS1_S1_S1_S1_PKiPfP15HIP_vector_typeIfLj2EEffffjfiS5_IjLj3EEiiiiiiiiiiiliiliiiiil.num_named_barrier, 0
	.set _ZL15flash_attn_tileILi112ELi112ELi16ELi1ELb0EEvPKcS1_S1_S1_S1_PKiPfP15HIP_vector_typeIfLj2EEffffjfiS5_IjLj3EEiiiiiiiiiiiliiliiiiil.private_seg_size, 32
	.set _ZL15flash_attn_tileILi112ELi112ELi16ELi1ELb0EEvPKcS1_S1_S1_S1_PKiPfP15HIP_vector_typeIfLj2EEffffjfiS5_IjLj3EEiiiiiiiiiiiliiliiiiil.uses_vcc, 1
	.set _ZL15flash_attn_tileILi112ELi112ELi16ELi1ELb0EEvPKcS1_S1_S1_S1_PKiPfP15HIP_vector_typeIfLj2EEffffjfiS5_IjLj3EEiiiiiiiiiiiliiliiiiil.uses_flat_scratch, 0
	.set _ZL15flash_attn_tileILi112ELi112ELi16ELi1ELb0EEvPKcS1_S1_S1_S1_PKiPfP15HIP_vector_typeIfLj2EEffffjfiS5_IjLj3EEiiiiiiiiiiiliiliiiiil.has_dyn_sized_stack, 0
	.set _ZL15flash_attn_tileILi112ELi112ELi16ELi1ELb0EEvPKcS1_S1_S1_S1_PKiPfP15HIP_vector_typeIfLj2EEffffjfiS5_IjLj3EEiiiiiiiiiiiliiliiiiil.has_recursion, 0
	.set _ZL15flash_attn_tileILi112ELi112ELi16ELi1ELb0EEvPKcS1_S1_S1_S1_PKiPfP15HIP_vector_typeIfLj2EEffffjfiS5_IjLj3EEiiiiiiiiiiiliiliiiiil.has_indirect_call, 0
	.section	.AMDGPU.csdata,"",@progbits
; Kernel info:
; codeLenInByte = 17536
; TotalNumSgprs: 62
; NumVgprs: 129
; NumAgprs: 0
; TotalNumVgprs: 129
; ScratchSize: 32
; MemoryBound: 0
; FloatMode: 240
; IeeeMode: 1
; LDSByteSize: 8768 bytes/workgroup (compile time only)
; SGPRBlocks: 7
; VGPRBlocks: 16
; NumSGPRsForWavesPerEU: 62
; NumVGPRsForWavesPerEU: 129
; AccumOffset: 132
; Occupancy: 3
; WaveLimiterHint : 1
; COMPUTE_PGM_RSRC2:SCRATCH_EN: 1
; COMPUTE_PGM_RSRC2:USER_SGPR: 2
; COMPUTE_PGM_RSRC2:TRAP_HANDLER: 0
; COMPUTE_PGM_RSRC2:TGID_X_EN: 1
; COMPUTE_PGM_RSRC2:TGID_Y_EN: 1
; COMPUTE_PGM_RSRC2:TGID_Z_EN: 1
; COMPUTE_PGM_RSRC2:TIDIG_COMP_CNT: 1
; COMPUTE_PGM_RSRC3_GFX90A:ACCUM_OFFSET: 32
; COMPUTE_PGM_RSRC3_GFX90A:TG_SPLIT: 0
	.section	.text._ZL33flash_attn_stream_k_fixup_uniformILi112ELi16ELi1EEvPfPK15HIP_vector_typeIfLj2EEiiiiiiS1_IjLj3EES5_S5_,"axG",@progbits,_ZL33flash_attn_stream_k_fixup_uniformILi112ELi16ELi1EEvPfPK15HIP_vector_typeIfLj2EEiiiiiiS1_IjLj3EES5_S5_,comdat
	.globl	_ZL33flash_attn_stream_k_fixup_uniformILi112ELi16ELi1EEvPfPK15HIP_vector_typeIfLj2EEiiiiiiS1_IjLj3EES5_S5_ ; -- Begin function _ZL33flash_attn_stream_k_fixup_uniformILi112ELi16ELi1EEvPfPK15HIP_vector_typeIfLj2EEiiiiiiS1_IjLj3EES5_S5_
	.p2align	8
	.type	_ZL33flash_attn_stream_k_fixup_uniformILi112ELi16ELi1EEvPfPK15HIP_vector_typeIfLj2EEiiiiiiS1_IjLj3EES5_S5_,@function
_ZL33flash_attn_stream_k_fixup_uniformILi112ELi16ELi1EEvPfPK15HIP_vector_typeIfLj2EEiiiiiiS1_IjLj3EES5_S5_: ; @_ZL33flash_attn_stream_k_fixup_uniformILi112ELi16ELi1EEvPfPK15HIP_vector_typeIfLj2EEiiiiiiS1_IjLj3EES5_S5_
; %bb.0:
	s_load_dwordx8 s[8:15], s[0:1], 0x1c
	s_load_dwordx2 s[6:7], s[0:1], 0x10
	s_load_dwordx4 s[16:19], s[0:1], 0x3c
	s_waitcnt lgkmcnt(0)
	s_mul_hi_u32 s5, s11, s2
	s_add_i32 s5, s2, s5
	s_lshr_b32 s5, s5, s12
	s_mul_i32 s11, s5, s13
	s_sub_i32 s12, s2, s11
	s_mul_hi_u32 s11, s12, s14
	s_add_i32 s11, s12, s11
	s_lshr_b32 s11, s11, s15
	s_mul_i32 s13, s11, s16
	s_sub_i32 s12, s12, s13
	;; [unrolled: 5-line block ×3, first 2 shown]
	s_lshl_b32 s12, s17, 4
	s_add_i32 s12, s12, s3
	s_cmp_lt_i32 s12, s6
	s_cselect_b64 s[12:13], -1, 0
	s_add_i32 s16, s16, s4
	s_cmp_lt_i32 s16, s9
	s_cselect_b64 s[14:15], -1, 0
	s_and_b64 s[12:13], s[12:13], s[14:15]
	s_andn2_b64 vcc, exec, s[12:13]
	s_cbranch_vccnz .LBB60_6
; %bb.1:
	s_load_dwordx4 s[12:15], s[0:1], 0x0
	s_mul_i32 s0, s5, s6
	s_mul_i32 s11, s11, s9
	s_add_i32 s0, s0, s3
	s_mul_i32 s0, s0, s7
	s_add_i32 s5, s16, s11
	;; [unrolled: 2-line block ×3, first 2 shown]
	s_mulk_i32 s1, 0x700
	s_mulk_i32 s0, 0x70
	s_add_i32 s0, s0, s1
	v_add_u32_e32 v4, s0, v0
	s_waitcnt lgkmcnt(0)
	v_mov_b32_e32 v2, s12
	v_mov_b32_e32 v3, s13
	v_ashrrev_i32_e32 v5, 31, v4
	v_lshl_add_u64 v[2:3], v[4:5], 2, v[2:3]
	global_load_dword v5, v[2:3], off
	s_mul_i32 s6, s10, s2
	s_add_i32 s7, s6, s10
	s_add_i32 s3, s3, s4
	s_lshl_b32 s0, s7, 4
	s_add_i32 s0, s3, s0
	s_add_i32 s0, s0, -16
	s_ashr_i32 s1, s0, 31
	s_lshl_b64 s[0:1], s[0:1], 3
	s_add_u32 s0, s14, s0
	s_addc_u32 s1, s15, s1
	s_load_dword s9, s[0:1], 0x4
	s_add_i32 s4, s7, -2
	s_cmp_lt_i32 s4, s6
	s_cbranch_scc1 .LBB60_4
; %bb.2:
	s_lshl_b32 s4, s8, 6
	s_ashr_i32 s5, s4, 31
	s_lshl_b64 s[4:5], s[4:5], 2
	s_add_u32 s4, s14, s4
	s_addc_u32 s5, s15, s5
	s_load_dword s0, s[0:1], 0x0
	s_add_i32 s2, s2, 1
	s_mul_i32 s10, s10, s2
	s_mul_i32 s1, s3, 0x70
	s_lshl_b32 s2, s10, 4
	s_mulk_i32 s10, 0x700
	s_add_i32 s2, s3, s2
	s_lshl_b32 s3, s8, 4
	s_add_i32 s1, s1, s10
	s_add_i32 s2, s2, s3
	v_add_u32_e32 v0, s1, v0
	s_add_i32 s7, s7, -1
	s_sub_i32 s2, s2, 32
	v_add_u32_e32 v0, 0xfffff200, v0
	s_waitcnt lgkmcnt(0)
	v_mov_b32_e32 v7, s0
	v_mov_b32_e32 v4, s9
	s_mov_b32 s8, 0x3fb8aa3b
	s_mov_b32 s9, 0xc2ce8ed0
	;; [unrolled: 1-line block ×3, first 2 shown]
	v_mov_b32_e32 v6, 0x7f800000
	s_mov_b32 s11, 0xc1a00000
.LBB60_3:                               ; =>This Inner Loop Header: Depth=1
	v_ashrrev_i32_e32 v1, 31, v0
	v_lshl_add_u64 v[8:9], v[0:1], 2, s[4:5]
	global_load_dword v9, v[8:9], off
	s_ashr_i32 s3, s2, 31
	s_lshl_b64 s[0:1], s[2:3], 3
	s_add_u32 s0, s14, s0
	s_addc_u32 s1, s15, s1
	s_load_dwordx2 s[0:1], s[0:1], 0x0
	v_max_f32_e32 v1, v7, v7
	s_add_i32 s7, s7, -1
	s_add_i32 s2, s2, -16
	v_add_u32_e32 v0, 0xfffff900, v0
	s_waitcnt lgkmcnt(0)
	v_max_f32_e64 v10, s0, s0
	v_max_f32_e32 v1, v1, v10
	v_sub_f32_e32 v11, s0, v1
	v_sub_f32_e32 v10, v7, v1
	v_mul_f32_e32 v12, 0x3fb8aa3b, v11
	v_mov_b32_e32 v7, v1
	v_mul_f32_e32 v1, 0x3fb8aa3b, v10
	v_fma_f32 v15, v11, s8, -v12
	v_rndne_f32_e32 v16, v12
	v_fma_f32 v13, v10, s8, -v1
	v_rndne_f32_e32 v14, v1
	v_fmac_f32_e32 v15, 0x32a5705f, v11
	v_sub_f32_e32 v12, v12, v16
	v_fmac_f32_e32 v13, 0x32a5705f, v10
	v_sub_f32_e32 v1, v1, v14
	v_add_f32_e32 v12, v12, v15
	v_cvt_i32_f32_e32 v16, v16
	v_add_f32_e32 v1, v1, v13
	v_exp_f32_e32 v12, v12
	v_cvt_i32_f32_e32 v14, v14
	v_exp_f32_e32 v1, v1
	v_cmp_ngt_f32_e32 vcc, s9, v11
	v_ldexp_f32 v12, v12, v16
	v_mov_b32_e32 v8, s1
	v_ldexp_f32 v1, v1, v14
	v_cmp_ngt_f32_e64 s[0:1], s9, v10
	v_cndmask_b32_e32 v12, 0, v12, vcc
	v_cmp_nlt_f32_e32 vcc, s10, v11
	v_cndmask_b32_e64 v1, 0, v1, s[0:1]
	v_cmp_nlt_f32_e64 s[0:1], s10, v10
	v_cndmask_b32_e32 v12, v6, v12, vcc
	v_cmp_le_f32_e32 vcc, s11, v11
	v_cndmask_b32_e64 v1, v6, v1, s[0:1]
	v_cmp_le_f32_e64 s[0:1], s11, v10
	v_cndmask_b32_e32 v12, 0, v12, vcc
	s_cmp_le_i32 s7, s6
	v_cndmask_b32_e64 v10, 0, v1, s[0:1]
	s_waitcnt vmcnt(0)
	v_pk_mul_f32 v[8:9], v[8:9], v[12:13] op_sel_hi:[1,0]
	s_nop 0
	v_pk_fma_f32 v[4:5], v[4:5], v[10:11], v[8:9] op_sel_hi:[1,0,1]
	s_cbranch_scc0 .LBB60_3
	s_branch .LBB60_5
.LBB60_4:
	s_waitcnt lgkmcnt(0)
	v_mov_b32_e32 v4, s9
.LBB60_5:
	s_waitcnt vmcnt(0)
	v_div_scale_f32 v0, s[0:1], v4, v4, v5
	v_rcp_f32_e32 v1, v0
	v_div_scale_f32 v6, vcc, v5, v4, v5
	v_fma_f32 v7, -v0, v1, 1.0
	v_fmac_f32_e32 v1, v7, v1
	v_mul_f32_e32 v7, v6, v1
	v_fma_f32 v8, -v0, v7, v6
	v_fmac_f32_e32 v7, v8, v1
	v_fma_f32 v0, -v0, v7, v6
	v_div_fmas_f32 v0, v0, v1, v7
	v_div_fixup_f32 v0, v0, v4, v5
	global_store_dword v[2:3], v0, off
.LBB60_6:
	s_endpgm
	.section	.rodata,"a",@progbits
	.p2align	6, 0x0
	.amdhsa_kernel _ZL33flash_attn_stream_k_fixup_uniformILi112ELi16ELi1EEvPfPK15HIP_vector_typeIfLj2EEiiiiiiS1_IjLj3EES5_S5_
		.amdhsa_group_segment_fixed_size 0
		.amdhsa_private_segment_fixed_size 0
		.amdhsa_kernarg_size 76
		.amdhsa_user_sgpr_count 2
		.amdhsa_user_sgpr_dispatch_ptr 0
		.amdhsa_user_sgpr_queue_ptr 0
		.amdhsa_user_sgpr_kernarg_segment_ptr 1
		.amdhsa_user_sgpr_dispatch_id 0
		.amdhsa_user_sgpr_kernarg_preload_length 0
		.amdhsa_user_sgpr_kernarg_preload_offset 0
		.amdhsa_user_sgpr_private_segment_size 0
		.amdhsa_uses_dynamic_stack 0
		.amdhsa_enable_private_segment 0
		.amdhsa_system_sgpr_workgroup_id_x 1
		.amdhsa_system_sgpr_workgroup_id_y 1
		.amdhsa_system_sgpr_workgroup_id_z 1
		.amdhsa_system_sgpr_workgroup_info 0
		.amdhsa_system_vgpr_workitem_id 0
		.amdhsa_next_free_vgpr 17
		.amdhsa_next_free_sgpr 20
		.amdhsa_accum_offset 20
		.amdhsa_reserve_vcc 1
		.amdhsa_float_round_mode_32 0
		.amdhsa_float_round_mode_16_64 0
		.amdhsa_float_denorm_mode_32 3
		.amdhsa_float_denorm_mode_16_64 3
		.amdhsa_dx10_clamp 1
		.amdhsa_ieee_mode 1
		.amdhsa_fp16_overflow 0
		.amdhsa_tg_split 0
		.amdhsa_exception_fp_ieee_invalid_op 0
		.amdhsa_exception_fp_denorm_src 0
		.amdhsa_exception_fp_ieee_div_zero 0
		.amdhsa_exception_fp_ieee_overflow 0
		.amdhsa_exception_fp_ieee_underflow 0
		.amdhsa_exception_fp_ieee_inexact 0
		.amdhsa_exception_int_div_zero 0
	.end_amdhsa_kernel
	.section	.text._ZL33flash_attn_stream_k_fixup_uniformILi112ELi16ELi1EEvPfPK15HIP_vector_typeIfLj2EEiiiiiiS1_IjLj3EES5_S5_,"axG",@progbits,_ZL33flash_attn_stream_k_fixup_uniformILi112ELi16ELi1EEvPfPK15HIP_vector_typeIfLj2EEiiiiiiS1_IjLj3EES5_S5_,comdat
.Lfunc_end60:
	.size	_ZL33flash_attn_stream_k_fixup_uniformILi112ELi16ELi1EEvPfPK15HIP_vector_typeIfLj2EEiiiiiiS1_IjLj3EES5_S5_, .Lfunc_end60-_ZL33flash_attn_stream_k_fixup_uniformILi112ELi16ELi1EEvPfPK15HIP_vector_typeIfLj2EEiiiiiiS1_IjLj3EES5_S5_
                                        ; -- End function
	.set _ZL33flash_attn_stream_k_fixup_uniformILi112ELi16ELi1EEvPfPK15HIP_vector_typeIfLj2EEiiiiiiS1_IjLj3EES5_S5_.num_vgpr, 17
	.set _ZL33flash_attn_stream_k_fixup_uniformILi112ELi16ELi1EEvPfPK15HIP_vector_typeIfLj2EEiiiiiiS1_IjLj3EES5_S5_.num_agpr, 0
	.set _ZL33flash_attn_stream_k_fixup_uniformILi112ELi16ELi1EEvPfPK15HIP_vector_typeIfLj2EEiiiiiiS1_IjLj3EES5_S5_.numbered_sgpr, 20
	.set _ZL33flash_attn_stream_k_fixup_uniformILi112ELi16ELi1EEvPfPK15HIP_vector_typeIfLj2EEiiiiiiS1_IjLj3EES5_S5_.num_named_barrier, 0
	.set _ZL33flash_attn_stream_k_fixup_uniformILi112ELi16ELi1EEvPfPK15HIP_vector_typeIfLj2EEiiiiiiS1_IjLj3EES5_S5_.private_seg_size, 0
	.set _ZL33flash_attn_stream_k_fixup_uniformILi112ELi16ELi1EEvPfPK15HIP_vector_typeIfLj2EEiiiiiiS1_IjLj3EES5_S5_.uses_vcc, 1
	.set _ZL33flash_attn_stream_k_fixup_uniformILi112ELi16ELi1EEvPfPK15HIP_vector_typeIfLj2EEiiiiiiS1_IjLj3EES5_S5_.uses_flat_scratch, 0
	.set _ZL33flash_attn_stream_k_fixup_uniformILi112ELi16ELi1EEvPfPK15HIP_vector_typeIfLj2EEiiiiiiS1_IjLj3EES5_S5_.has_dyn_sized_stack, 0
	.set _ZL33flash_attn_stream_k_fixup_uniformILi112ELi16ELi1EEvPfPK15HIP_vector_typeIfLj2EEiiiiiiS1_IjLj3EES5_S5_.has_recursion, 0
	.set _ZL33flash_attn_stream_k_fixup_uniformILi112ELi16ELi1EEvPfPK15HIP_vector_typeIfLj2EEiiiiiiS1_IjLj3EES5_S5_.has_indirect_call, 0
	.section	.AMDGPU.csdata,"",@progbits
; Kernel info:
; codeLenInByte = 816
; TotalNumSgprs: 26
; NumVgprs: 17
; NumAgprs: 0
; TotalNumVgprs: 17
; ScratchSize: 0
; MemoryBound: 0
; FloatMode: 240
; IeeeMode: 1
; LDSByteSize: 0 bytes/workgroup (compile time only)
; SGPRBlocks: 3
; VGPRBlocks: 2
; NumSGPRsForWavesPerEU: 26
; NumVGPRsForWavesPerEU: 17
; AccumOffset: 20
; Occupancy: 8
; WaveLimiterHint : 0
; COMPUTE_PGM_RSRC2:SCRATCH_EN: 0
; COMPUTE_PGM_RSRC2:USER_SGPR: 2
; COMPUTE_PGM_RSRC2:TRAP_HANDLER: 0
; COMPUTE_PGM_RSRC2:TGID_X_EN: 1
; COMPUTE_PGM_RSRC2:TGID_Y_EN: 1
; COMPUTE_PGM_RSRC2:TGID_Z_EN: 1
; COMPUTE_PGM_RSRC2:TIDIG_COMP_CNT: 0
; COMPUTE_PGM_RSRC3_GFX90A:ACCUM_OFFSET: 4
; COMPUTE_PGM_RSRC3_GFX90A:TG_SPLIT: 0
	.section	.text._ZL33flash_attn_stream_k_fixup_generalILi112ELi16ELi1EEvPfPK15HIP_vector_typeIfLj2EEiiiiS1_IjLj3EES5_S5_S5_,"axG",@progbits,_ZL33flash_attn_stream_k_fixup_generalILi112ELi16ELi1EEvPfPK15HIP_vector_typeIfLj2EEiiiiS1_IjLj3EES5_S5_S5_,comdat
	.globl	_ZL33flash_attn_stream_k_fixup_generalILi112ELi16ELi1EEvPfPK15HIP_vector_typeIfLj2EEiiiiS1_IjLj3EES5_S5_S5_ ; -- Begin function _ZL33flash_attn_stream_k_fixup_generalILi112ELi16ELi1EEvPfPK15HIP_vector_typeIfLj2EEiiiiS1_IjLj3EES5_S5_S5_
	.p2align	8
	.type	_ZL33flash_attn_stream_k_fixup_generalILi112ELi16ELi1EEvPfPK15HIP_vector_typeIfLj2EEiiiiS1_IjLj3EES5_S5_S5_,@function
_ZL33flash_attn_stream_k_fixup_generalILi112ELi16ELi1EEvPfPK15HIP_vector_typeIfLj2EEiiiiS1_IjLj3EES5_S5_S5_: ; @_ZL33flash_attn_stream_k_fixup_generalILi112ELi16ELi1EEvPfPK15HIP_vector_typeIfLj2EEiiiiS1_IjLj3EES5_S5_S5_
; %bb.0:
	s_load_dwordx4 s[8:11], s[0:1], 0x10
	s_load_dword s22, s[0:1], 0x50
	s_mov_b32 s12, 0
	s_waitcnt lgkmcnt(0)
	s_mul_hi_i32 s13, s11, s2
	s_cmp_lg_u64 s[12:13], 0
	s_mul_i32 s5, s11, s2
	s_cbranch_scc0 .LBB61_20
; %bb.1:
	s_add_u32 s6, s22, 0
	s_addc_u32 s7, 0, 0
	s_xor_b64 s[6:7], s[6:7], 0
	v_cvt_f32_u32_e32 v1, s6
	v_cvt_f32_u32_e32 v2, s7
	s_sub_u32 s12, 0, s6
	s_subb_u32 s18, 0, s7
	v_fmamk_f32 v1, v2, 0x4f800000, v1
	v_rcp_f32_e32 v1, v1
	s_nop 0
	v_mul_f32_e32 v1, 0x5f7ffffc, v1
	v_mul_f32_e32 v2, 0x2f800000, v1
	v_trunc_f32_e32 v2, v2
	v_fmamk_f32 v1, v2, 0xcf800000, v1
	v_cvt_u32_f32_e32 v2, v2
	v_cvt_u32_f32_e32 v1, v1
	v_readfirstlane_b32 s19, v2
	v_readfirstlane_b32 s14, v1
	s_mul_i32 s15, s12, s19
	s_mul_hi_u32 s21, s12, s14
	s_mul_i32 s20, s18, s14
	s_add_i32 s15, s21, s15
	s_add_i32 s15, s15, s20
	s_mul_i32 s23, s12, s14
	s_mul_i32 s21, s14, s15
	s_mul_hi_u32 s24, s14, s23
	s_mul_hi_u32 s20, s14, s15
	s_add_u32 s21, s24, s21
	s_addc_u32 s20, 0, s20
	s_mul_hi_u32 s25, s19, s23
	s_mul_i32 s23, s19, s23
	s_add_u32 s21, s21, s23
	s_mul_hi_u32 s24, s19, s15
	s_addc_u32 s20, s20, s25
	s_addc_u32 s21, s24, 0
	s_mul_i32 s15, s19, s15
	s_add_u32 s15, s20, s15
	s_addc_u32 s20, 0, s21
	s_add_u32 s21, s14, s15
	s_cselect_b64 s[14:15], -1, 0
	s_cmp_lg_u64 s[14:15], 0
	s_addc_u32 s19, s19, s20
	s_mul_i32 s14, s12, s19
	s_mul_hi_u32 s15, s12, s21
	s_add_i32 s14, s15, s14
	s_mul_i32 s18, s18, s21
	s_add_i32 s14, s14, s18
	s_mul_i32 s12, s12, s21
	s_mul_hi_u32 s18, s19, s12
	s_mul_i32 s20, s19, s12
	s_mul_i32 s24, s21, s14
	s_mul_hi_u32 s12, s21, s12
	s_mul_hi_u32 s23, s21, s14
	s_add_u32 s12, s12, s24
	s_addc_u32 s23, 0, s23
	s_add_u32 s12, s12, s20
	s_mul_hi_u32 s15, s19, s14
	s_addc_u32 s12, s23, s18
	s_addc_u32 s15, s15, 0
	s_mul_i32 s14, s19, s14
	s_add_u32 s12, s12, s14
	s_addc_u32 s18, 0, s15
	s_add_u32 s20, s21, s12
	s_cselect_b64 s[14:15], -1, 0
	s_cmp_lg_u64 s[14:15], 0
	s_addc_u32 s18, s19, s18
	s_ashr_i32 s14, s13, 31
	s_add_u32 s12, s5, s14
	s_mov_b32 s15, s14
	s_addc_u32 s13, s13, s14
	s_xor_b64 s[12:13], s[12:13], s[14:15]
	s_mul_i32 s21, s12, s18
	s_mul_hi_u32 s23, s12, s20
	s_mul_hi_u32 s19, s12, s18
	s_add_u32 s21, s23, s21
	s_addc_u32 s19, 0, s19
	s_mul_hi_u32 s24, s13, s20
	s_mul_i32 s20, s13, s20
	s_add_u32 s20, s21, s20
	s_mul_hi_u32 s23, s13, s18
	s_addc_u32 s19, s19, s24
	s_addc_u32 s20, s23, 0
	s_mul_i32 s18, s13, s18
	s_add_u32 s23, s19, s18
	s_addc_u32 s24, 0, s20
	s_mul_i32 s18, s6, s24
	s_mul_hi_u32 s19, s6, s23
	s_add_i32 s18, s19, s18
	s_mul_i32 s19, s7, s23
	s_add_i32 s25, s18, s19
	s_sub_i32 s20, s13, s25
	s_mul_i32 s18, s6, s23
	s_sub_u32 s12, s12, s18
	s_cselect_b64 s[18:19], -1, 0
	s_cmp_lg_u64 s[18:19], 0
	s_subb_u32 s26, s20, s7
	s_sub_u32 s27, s12, s6
	s_cselect_b64 s[20:21], -1, 0
	s_cmp_lg_u64 s[20:21], 0
	s_subb_u32 s20, s26, 0
	s_cmp_ge_u32 s20, s7
	s_cselect_b32 s21, -1, 0
	s_cmp_ge_u32 s27, s6
	s_cselect_b32 s26, -1, 0
	s_cmp_eq_u32 s20, s7
	s_cselect_b32 s20, s26, s21
	s_add_u32 s21, s23, 1
	s_addc_u32 s26, s24, 0
	s_add_u32 s27, s23, 2
	s_addc_u32 s28, s24, 0
	s_cmp_lg_u32 s20, 0
	s_cselect_b32 s20, s27, s21
	s_cselect_b32 s21, s28, s26
	s_cmp_lg_u64 s[18:19], 0
	s_subb_u32 s13, s13, s25
	s_cmp_ge_u32 s13, s7
	s_cselect_b32 s18, -1, 0
	s_cmp_ge_u32 s12, s6
	s_cselect_b32 s6, -1, 0
	s_cmp_eq_u32 s13, s7
	s_cselect_b32 s6, s6, s18
	s_cmp_lg_u32 s6, 0
	s_cselect_b32 s7, s21, s24
	s_cselect_b32 s6, s20, s23
	s_xor_b64 s[12:13], s[14:15], 0
	s_xor_b64 s[6:7], s[6:7], s[12:13]
	s_sub_u32 s6, s6, s12
	s_load_dwordx4 s[12:15], s[0:1], 0x44
	s_cbranch_execnz .LBB61_3
.LBB61_2:
	v_cvt_f32_u32_e32 v1, s22
	s_sub_i32 s6, 0, s22
	v_rcp_iflag_f32_e32 v1, v1
	s_nop 0
	v_mul_f32_e32 v1, 0x4f7ffffe, v1
	v_cvt_u32_f32_e32 v1, v1
	s_nop 0
	v_readfirstlane_b32 s7, v1
	s_mul_i32 s6, s6, s7
	s_mul_hi_u32 s6, s7, s6
	s_add_i32 s7, s7, s6
	s_mul_hi_u32 s6, s5, s7
	s_waitcnt lgkmcnt(0)
	s_mul_i32 s15, s6, s22
	s_sub_i32 s5, s5, s15
	s_add_i32 s7, s6, 1
	s_sub_i32 s15, s5, s22
	s_cmp_ge_u32 s5, s22
	s_cselect_b32 s6, s7, s6
	s_cselect_b32 s5, s15, s5
	s_add_i32 s7, s6, 1
	s_cmp_ge_u32 s5, s22
	s_cselect_b32 s6, s7, s6
.LBB61_3:
	s_add_i32 s5, s2, 1
	s_mul_hi_i32 s21, s11, s5
	s_mov_b32 s20, 0
	s_cmp_lg_u64 s[20:21], 0
	s_mul_i32 s5, s11, s5
	s_cbranch_scc0 .LBB61_21
; %bb.4:
	s_add_u32 s16, s22, 0
	s_addc_u32 s17, 0, 0
	s_xor_b64 s[18:19], s[16:17], 0
	v_cvt_f32_u32_e32 v1, s18
	v_cvt_f32_u32_e32 v2, s19
	s_sub_u32 s7, 0, s18
	s_waitcnt lgkmcnt(0)
	s_subb_u32 s15, 0, s19
	v_fmamk_f32 v1, v2, 0x4f800000, v1
	v_rcp_f32_e32 v1, v1
	s_nop 0
	v_mul_f32_e32 v1, 0x5f7ffffc, v1
	v_mul_f32_e32 v2, 0x2f800000, v1
	v_trunc_f32_e32 v2, v2
	v_fmamk_f32 v1, v2, 0xcf800000, v1
	v_cvt_u32_f32_e32 v2, v2
	v_cvt_u32_f32_e32 v1, v1
	v_readfirstlane_b32 s20, v2
	v_readfirstlane_b32 s23, v1
	s_mul_i32 s24, s7, s20
	s_mul_hi_u32 s26, s7, s23
	s_mul_i32 s25, s15, s23
	s_add_i32 s24, s26, s24
	s_add_i32 s24, s24, s25
	s_mul_i32 s27, s7, s23
	s_mul_i32 s26, s23, s24
	s_mul_hi_u32 s28, s23, s27
	s_mul_hi_u32 s25, s23, s24
	s_add_u32 s26, s28, s26
	s_addc_u32 s25, 0, s25
	s_mul_hi_u32 s29, s20, s27
	s_mul_i32 s27, s20, s27
	s_add_u32 s26, s26, s27
	s_mul_hi_u32 s28, s20, s24
	s_addc_u32 s25, s25, s29
	s_addc_u32 s26, s28, 0
	s_mul_i32 s24, s20, s24
	s_add_u32 s24, s25, s24
	s_addc_u32 s26, 0, s26
	s_add_u32 s23, s23, s24
	s_cselect_b64 s[24:25], -1, 0
	s_cmp_lg_u64 s[24:25], 0
	s_addc_u32 s20, s20, s26
	s_mul_i32 s24, s7, s20
	s_mul_hi_u32 s25, s7, s23
	s_add_i32 s24, s25, s24
	s_mul_i32 s15, s15, s23
	s_add_i32 s24, s24, s15
	s_mul_i32 s7, s7, s23
	s_mul_hi_u32 s25, s20, s7
	s_mul_i32 s26, s20, s7
	s_mul_i32 s28, s23, s24
	s_mul_hi_u32 s7, s23, s7
	s_mul_hi_u32 s27, s23, s24
	s_add_u32 s7, s7, s28
	s_addc_u32 s27, 0, s27
	s_add_u32 s7, s7, s26
	s_mul_hi_u32 s15, s20, s24
	s_addc_u32 s7, s27, s25
	s_addc_u32 s15, s15, 0
	s_mul_i32 s24, s20, s24
	s_add_u32 s7, s7, s24
	s_addc_u32 s15, 0, s15
	s_add_u32 s7, s23, s7
	s_cselect_b64 s[24:25], -1, 0
	s_cmp_lg_u64 s[24:25], 0
	s_addc_u32 s15, s20, s15
	s_ashr_i32 s24, s21, 31
	s_add_u32 s20, s5, s24
	s_mov_b32 s25, s24
	s_addc_u32 s21, s21, s24
	s_xor_b64 s[20:21], s[20:21], s[24:25]
	s_mul_i32 s26, s20, s15
	s_mul_hi_u32 s27, s20, s7
	s_mul_hi_u32 s23, s20, s15
	s_add_u32 s26, s27, s26
	s_addc_u32 s23, 0, s23
	s_mul_hi_u32 s28, s21, s7
	s_mul_i32 s7, s21, s7
	s_add_u32 s7, s26, s7
	s_mul_hi_u32 s27, s21, s15
	s_addc_u32 s7, s23, s28
	s_addc_u32 s23, s27, 0
	s_mul_i32 s15, s21, s15
	s_add_u32 s7, s7, s15
	s_addc_u32 s15, 0, s23
	s_mul_i32 s23, s18, s15
	s_mul_hi_u32 s26, s18, s7
	s_add_i32 s23, s26, s23
	s_mul_i32 s26, s19, s7
	s_add_i32 s23, s23, s26
	s_sub_i32 s28, s21, s23
	s_mul_i32 s26, s18, s7
	s_sub_u32 s20, s20, s26
	s_cselect_b64 s[26:27], -1, 0
	s_cmp_lg_u64 s[26:27], 0
	s_subb_u32 s30, s28, s19
	s_sub_u32 s31, s20, s18
	s_cselect_b64 s[28:29], -1, 0
	s_cmp_lg_u64 s[28:29], 0
	s_subb_u32 s28, s30, 0
	s_cmp_ge_u32 s28, s19
	s_cselect_b32 s29, -1, 0
	s_cmp_ge_u32 s31, s18
	s_cselect_b32 s30, -1, 0
	s_cmp_eq_u32 s28, s19
	s_cselect_b32 s28, s30, s29
	s_add_u32 s29, s7, 1
	s_addc_u32 s30, s15, 0
	s_add_u32 s31, s7, 2
	s_addc_u32 s33, s15, 0
	s_cmp_lg_u32 s28, 0
	s_cselect_b32 s28, s31, s29
	s_cselect_b32 s29, s33, s30
	s_cmp_lg_u64 s[26:27], 0
	s_subb_u32 s21, s21, s23
	s_cmp_ge_u32 s21, s19
	s_cselect_b32 s23, -1, 0
	s_cmp_ge_u32 s20, s18
	s_cselect_b32 s18, -1, 0
	s_cmp_eq_u32 s21, s19
	s_cselect_b32 s18, s18, s23
	s_cmp_lg_u32 s18, 0
	s_cselect_b32 s19, s29, s15
	s_cselect_b32 s18, s28, s7
	s_xor_b64 s[20:21], s[24:25], 0
	s_xor_b64 s[18:19], s[18:19], s[20:21]
	s_sub_u32 s18, s18, s20
	s_cbranch_execnz .LBB61_6
.LBB61_5:
	v_cvt_f32_u32_e32 v1, s22
	s_sub_i32 s7, 0, s22
	v_rcp_iflag_f32_e32 v1, v1
	s_nop 0
	v_mul_f32_e32 v1, 0x4f7ffffe, v1
	v_cvt_u32_f32_e32 v1, v1
	s_waitcnt lgkmcnt(0)
	v_readfirstlane_b32 s15, v1
	s_mul_i32 s7, s7, s15
	s_mul_hi_u32 s7, s15, s7
	s_add_i32 s15, s15, s7
	s_mul_hi_u32 s7, s5, s15
	s_mul_i32 s16, s7, s22
	s_sub_i32 s5, s5, s16
	s_add_i32 s15, s7, 1
	s_sub_i32 s16, s5, s22
	s_cmp_ge_u32 s5, s22
	s_cselect_b32 s7, s15, s7
	s_cselect_b32 s5, s16, s5
	s_add_i32 s15, s7, 1
	s_cmp_ge_u32 s5, s22
	s_cselect_b32 s18, s15, s7
.LBB61_6:
	s_cmp_eq_u32 s6, s18
	s_waitcnt lgkmcnt(0)
	s_mul_hi_u32 s5, s6, s12
	s_cselect_b64 s[16:17], -1, 0
	s_add_i32 s5, s5, s6
	s_lshr_b32 s7, s5, s13
	s_mul_i32 s5, s7, s14
	s_cmp_eq_u32 s5, s6
	s_mul_hi_u32 s5, s18, s12
	s_cselect_b64 s[20:21], -1, 0
	s_add_i32 s5, s5, s18
	s_lshr_b32 s5, s5, s13
	s_cmp_eq_u32 s7, s5
	s_mul_i32 s5, s5, s14
	s_cselect_b64 s[24:25], -1, 0
	s_cmp_lg_u32 s5, s18
	s_cselect_b64 s[18:19], -1, 0
	s_and_b64 s[18:19], s[24:25], s[18:19]
	s_or_b64 s[16:17], s[16:17], s[20:21]
	s_or_b64 s[16:17], s[16:17], s[18:19]
	s_and_b64 vcc, exec, s[16:17]
	s_cbranch_vccnz .LBB61_23
; %bb.7:
	s_load_dwordx8 s[24:31], s[0:1], 0x20
	s_load_dword s5, s[0:1], 0x40
	s_waitcnt lgkmcnt(0)
	s_mul_hi_u32 s15, s6, s24
	s_add_i32 s15, s15, s6
	s_lshr_b32 s20, s15, s25
	s_mul_i32 s15, s20, s26
	s_sub_i32 s15, s6, s15
	s_mul_hi_u32 s16, s15, s27
	s_add_i32 s16, s15, s16
	s_lshr_b32 s21, s16, s28
	s_mul_i32 s16, s21, s29
	s_sub_i32 s15, s15, s16
	;; [unrolled: 5-line block ×3, first 2 shown]
	s_mul_hi_u32 s15, s5, s12
	s_add_i32 s5, s5, s15
	s_lshr_b32 s23, s5, s13
	s_lshl_b32 s5, s23, 4
	s_add_i32 s5, s5, s3
	s_cmp_lt_i32 s5, s8
	s_cselect_b64 s[16:17], -1, 0
	s_add_i32 s24, s24, s4
	s_cmp_lt_i32 s24, s10
	s_cselect_b64 s[18:19], -1, 0
	s_and_b64 s[16:17], s[16:17], s[18:19]
	s_andn2_b64 vcc, exec, s[16:17]
	s_cbranch_vccnz .LBB61_23
; %bb.8:
	s_load_dwordx4 s[16:19], s[0:1], 0x0
	s_mov_b32 s0, 0
	s_add_i32 s15, s3, s4
	s_lshl_b32 s4, s22, 6
	s_mov_b32 s5, s0
	s_lshl_b64 s[4:5], s[4:5], 2
	s_waitcnt lgkmcnt(0)
	s_add_u32 s4, s18, s4
	s_mul_i32 s1, s20, s8
	s_addc_u32 s5, s19, s5
	s_mul_i32 s21, s21, s10
	s_add_i32 s1, s1, s3
	s_mul_i32 s1, s1, s9
	s_add_i32 s3, s24, s21
	;; [unrolled: 2-line block ×3, first 2 shown]
	s_mulk_i32 s8, 0x700
	s_mulk_i32 s1, 0x70
	s_add_i32 s8, s8, s1
	v_add_u32_e32 v4, s8, v0
	v_mov_b32_e32 v2, s16
	v_mov_b32_e32 v3, s17
	v_ashrrev_i32_e32 v5, 31, v4
	v_lshl_add_u64 v[2:3], v[4:5], 2, v[2:3]
	global_load_dword v1, v[2:3], off
	v_cvt_f32_u32_e32 v4, s22
	s_lshl_b32 s1, s2, 4
	s_add_i32 s8, s1, s15
	s_ashr_i32 s9, s8, 31
	s_lshl_b64 s[8:9], s[8:9], 3
	v_rcp_iflag_f32_e32 v4, v4
	s_add_u32 s8, s18, s8
	s_addc_u32 s9, s19, s9
	s_load_dwordx2 s[8:9], s[8:9], 0x0
	v_mul_f32_e32 v4, 0x4f7ffffe, v4
	v_cvt_u32_f32_e32 v7, v4
	s_mul_i32 s1, s15, 0x70
	s_add_i32 s21, s2, -1
	v_add_u32_e32 v6, s1, v0
	s_waitcnt lgkmcnt(0)
	v_mov_b32_e32 v0, s9
	v_mov_b32_e32 v9, s8
	s_mov_b32 s10, 0x3fb8aa3b
	s_mov_b32 s20, 0xc2ce8ed0
	;; [unrolled: 1-line block ×4, first 2 shown]
	v_mov_b32_e32 v8, 0x7f800000
	s_mul_hi_i32 s1, s21, s11
	s_cmp_lg_u64 s[0:1], 0
	s_mul_i32 s16, s21, s11
	s_cbranch_scc0 .LBB61_19
.LBB61_9:
	s_add_u32 s2, s22, 0
	s_addc_u32 s3, 0, 0
	s_xor_b64 s[2:3], s[2:3], 0
	v_cvt_f32_u32_e32 v4, s2
	v_cvt_f32_u32_e32 v5, s3
	s_sub_u32 s17, 0, s2
	s_subb_u32 s25, 0, s3
	v_fmac_f32_e32 v4, 0x4f800000, v5
	v_rcp_f32_e32 v4, v4
	s_nop 0
	v_mul_f32_e32 v4, 0x5f7ffffc, v4
	v_mul_f32_e32 v5, 0x2f800000, v4
	v_trunc_f32_e32 v5, v5
	v_fmac_f32_e32 v4, 0xcf800000, v5
	v_cvt_u32_f32_e32 v5, v5
	v_cvt_u32_f32_e32 v4, v4
	v_readfirstlane_b32 s26, v5
	v_readfirstlane_b32 s8, v4
	s_mul_i32 s9, s17, s26
	s_mul_hi_u32 s28, s17, s8
	s_mul_i32 s27, s25, s8
	s_add_i32 s9, s28, s9
	s_mul_i32 s29, s17, s8
	s_add_i32 s9, s9, s27
	s_mul_i32 s28, s8, s9
	s_mul_hi_u32 s30, s8, s29
	s_mul_hi_u32 s27, s8, s9
	s_add_u32 s28, s30, s28
	s_addc_u32 s27, 0, s27
	s_mul_hi_u32 s31, s26, s29
	s_mul_i32 s29, s26, s29
	s_add_u32 s28, s28, s29
	s_mul_hi_u32 s30, s26, s9
	s_addc_u32 s27, s27, s31
	s_addc_u32 s28, s30, 0
	s_mul_i32 s9, s26, s9
	s_add_u32 s9, s27, s9
	s_addc_u32 s27, 0, s28
	s_add_u32 s28, s8, s9
	s_cselect_b64 s[8:9], -1, 0
	s_cmp_lg_u64 s[8:9], 0
	s_addc_u32 s26, s26, s27
	s_mul_i32 s8, s17, s26
	s_mul_hi_u32 s9, s17, s28
	s_add_i32 s8, s9, s8
	s_mul_i32 s25, s25, s28
	s_add_i32 s8, s8, s25
	s_mul_i32 s17, s17, s28
	s_mul_hi_u32 s25, s26, s17
	s_mul_i32 s27, s26, s17
	s_mul_i32 s30, s28, s8
	s_mul_hi_u32 s17, s28, s17
	s_mul_hi_u32 s29, s28, s8
	s_add_u32 s17, s17, s30
	s_addc_u32 s29, 0, s29
	s_add_u32 s17, s17, s27
	s_mul_hi_u32 s9, s26, s8
	s_addc_u32 s17, s29, s25
	s_addc_u32 s9, s9, 0
	s_mul_i32 s8, s26, s8
	s_add_u32 s8, s17, s8
	s_addc_u32 s17, 0, s9
	s_add_u32 s25, s28, s8
	s_cselect_b64 s[8:9], -1, 0
	s_cmp_lg_u64 s[8:9], 0
	s_addc_u32 s17, s26, s17
	s_ashr_i32 s8, s1, 31
	s_add_u32 s26, s16, s8
	s_mov_b32 s9, s8
	s_addc_u32 s27, s1, s8
	s_xor_b64 s[26:27], s[26:27], s[8:9]
	s_mul_i32 s28, s26, s17
	s_mul_hi_u32 s29, s26, s25
	s_mul_hi_u32 s1, s26, s17
	s_add_u32 s28, s29, s28
	s_addc_u32 s1, 0, s1
	s_mul_hi_u32 s30, s27, s25
	s_mul_i32 s25, s27, s25
	s_add_u32 s25, s28, s25
	s_mul_hi_u32 s29, s27, s17
	s_addc_u32 s1, s1, s30
	s_addc_u32 s25, s29, 0
	s_mul_i32 s17, s27, s17
	s_add_u32 s1, s1, s17
	s_addc_u32 s17, 0, s25
	s_mul_i32 s25, s2, s17
	s_mul_hi_u32 s28, s2, s1
	s_add_i32 s25, s28, s25
	s_mul_i32 s28, s3, s1
	s_add_i32 s25, s25, s28
	s_sub_i32 s30, s27, s25
	s_mul_i32 s28, s2, s1
	s_sub_u32 s26, s26, s28
	s_cselect_b64 s[28:29], -1, 0
	s_cmp_lg_u64 s[28:29], 0
	s_subb_u32 s33, s30, s3
	s_sub_u32 s34, s26, s2
	s_cselect_b64 s[30:31], -1, 0
	s_cmp_lg_u64 s[30:31], 0
	s_subb_u32 s30, s33, 0
	s_cmp_ge_u32 s30, s3
	s_cselect_b32 s31, -1, 0
	s_cmp_ge_u32 s34, s2
	s_cselect_b32 s33, -1, 0
	s_cmp_eq_u32 s30, s3
	s_cselect_b32 s30, s33, s31
	s_add_u32 s31, s1, 1
	s_addc_u32 s33, s17, 0
	s_add_u32 s34, s1, 2
	s_addc_u32 s35, s17, 0
	s_cmp_lg_u32 s30, 0
	s_cselect_b32 s30, s34, s31
	s_cselect_b32 s31, s35, s33
	s_cmp_lg_u64 s[28:29], 0
	s_subb_u32 s25, s27, s25
	s_cmp_ge_u32 s25, s3
	s_cselect_b32 s27, -1, 0
	s_cmp_ge_u32 s26, s2
	s_cselect_b32 s2, -1, 0
	s_cmp_eq_u32 s25, s3
	s_cselect_b32 s2, s2, s27
	s_cmp_lg_u32 s2, 0
	s_cselect_b32 s3, s31, s17
	s_cselect_b32 s2, s30, s1
	s_xor_b64 s[8:9], s[8:9], 0
	s_xor_b64 s[2:3], s[2:3], s[8:9]
	s_sub_u32 s8, s2, s8
	s_cbranch_execnz .LBB61_11
.LBB61_10:
	s_sub_i32 s1, 0, s22
	v_readfirstlane_b32 s2, v7
	s_mul_i32 s1, s1, s2
	s_mul_hi_u32 s1, s2, s1
	s_add_i32 s2, s2, s1
	s_mul_hi_u32 s1, s16, s2
	s_mul_i32 s3, s1, s22
	s_sub_i32 s3, s16, s3
	s_add_i32 s2, s1, 1
	s_sub_i32 s8, s3, s22
	s_cmp_ge_u32 s3, s22
	s_cselect_b32 s1, s2, s1
	s_cselect_b32 s3, s8, s3
	s_add_i32 s2, s1, 1
	s_cmp_ge_u32 s3, s22
	s_cselect_b32 s8, s2, s1
.LBB61_11:
	s_cmp_lg_u32 s6, s8
	s_cbranch_scc0 .LBB61_15
; %bb.12:
	s_add_i32 s1, s21, s22
	s_lshl_b32 s1, s1, 4
	s_add_i32 s2, s1, s15
	s_mov_b32 s3, s0
	s_lshl_b64 s[2:3], s[2:3], 3
	s_add_u32 s16, s18, s2
	s_mul_hi_u32 s1, s8, s12
	s_addc_u32 s17, s19, s3
	s_add_i32 s1, s1, s8
	s_lshr_b32 s1, s1, s13
	s_mul_i32 s2, s1, s14
	s_cmp_eq_u32 s2, s8
	s_cselect_b64 s[2:3], -1, 0
	s_cmp_lt_u32 s1, s7
	s_cselect_b64 s[26:27], -1, 0
	s_or_b64 s[26:27], s[26:27], s[2:3]
	s_mov_b64 s[2:3], -1
	s_and_b64 vcc, exec, s[26:27]
	s_mov_b32 s1, s21
	s_mov_b32 s25, s6
	s_cbranch_vccnz .LBB61_14
; %bb.13:
	s_add_i32 s1, s21, -1
	s_mov_b64 s[2:3], 0
	s_mov_b32 s25, s8
.LBB61_14:
	s_mul_i32 s8, s21, 0x700
	v_add_u32_e32 v4, s8, v6
	v_ashrrev_i32_e32 v5, 31, v4
	v_lshl_add_u64 v[4:5], v[4:5], 2, s[4:5]
	global_load_dword v5, v[4:5], off
	s_load_dwordx2 s[8:9], s[16:17], 0x0
	v_max_f32_e32 v4, v9, v9
	s_waitcnt lgkmcnt(0)
	v_max_f32_e64 v10, s8, s8
	v_max_f32_e32 v10, v4, v10
	v_sub_f32_e32 v11, v9, v10
	v_sub_f32_e32 v13, s8, v10
	v_mul_f32_e32 v4, 0x3fb8aa3b, v11
	v_mul_f32_e32 v12, 0x3fb8aa3b, v13
	v_fma_f32 v14, v11, s10, -v4
	v_rndne_f32_e32 v15, v4
	v_fma_f32 v16, v13, s10, -v12
	v_rndne_f32_e32 v17, v12
	v_fmac_f32_e32 v14, 0x32a5705f, v11
	v_sub_f32_e32 v4, v4, v15
	v_fmac_f32_e32 v16, 0x32a5705f, v13
	v_sub_f32_e32 v12, v12, v17
	v_add_f32_e32 v4, v4, v14
	v_cvt_i32_f32_e32 v15, v15
	v_add_f32_e32 v12, v12, v16
	v_exp_f32_e32 v14, v4
	v_cvt_i32_f32_e32 v17, v17
	v_exp_f32_e32 v12, v12
	v_cmp_ngt_f32_e32 vcc, s20, v11
	v_ldexp_f32 v14, v14, v15
	v_mov_b32_e32 v4, s9
	v_ldexp_f32 v12, v12, v17
	v_cndmask_b32_e32 v14, 0, v14, vcc
	v_cmp_ngt_f32_e32 vcc, s20, v13
	s_nop 1
	v_cndmask_b32_e32 v12, 0, v12, vcc
	v_cmp_nlt_f32_e32 vcc, s23, v11
	s_nop 1
	v_cndmask_b32_e32 v14, v8, v14, vcc
	v_cmp_nlt_f32_e32 vcc, s23, v13
	s_nop 1
	v_cndmask_b32_e32 v15, v8, v12, vcc
	v_cmp_le_f32_e32 vcc, s24, v11
	s_nop 1
	v_cndmask_b32_e32 v12, 0, v14, vcc
	v_cmp_le_f32_e32 vcc, s24, v13
	s_nop 1
	v_cndmask_b32_e32 v14, 0, v15, vcc
	s_waitcnt vmcnt(0)
	v_pk_mul_f32 v[4:5], v[4:5], v[14:15] op_sel_hi:[1,0]
	s_nop 0
	v_pk_fma_f32 v[4:5], v[0:1], v[12:13], v[4:5] op_sel_hi:[1,0,1]
	s_cbranch_execz .LBB61_16
	s_branch .LBB61_17
.LBB61_15:
                                        ; implicit-def: $vgpr4_vgpr5
                                        ; implicit-def: $sgpr2_sgpr3
                                        ; implicit-def: $vgpr10
                                        ; implicit-def: $sgpr1
                                        ; implicit-def: $sgpr25
.LBB61_16:
	s_add_i32 s1, s21, -1
	s_mov_b64 s[2:3], 0
	s_mov_b32 s25, s6
	v_mov_b32_e32 v10, v9
	s_waitcnt vmcnt(0)
	v_mov_b64_e32 v[4:5], v[0:1]
.LBB61_17:
	s_andn2_b64 vcc, exec, s[2:3]
	s_cbranch_vccz .LBB61_22
; %bb.18:
	s_mov_b32 s6, s25
	s_mov_b32 s21, s1
	v_mov_b32_e32 v9, v10
	s_waitcnt vmcnt(0)
	v_mov_b64_e32 v[0:1], v[4:5]
	s_mul_hi_i32 s1, s21, s11
	s_cmp_lg_u64 s[0:1], 0
	s_mul_i32 s16, s21, s11
	s_cbranch_scc1 .LBB61_9
.LBB61_19:
                                        ; implicit-def: $sgpr8_sgpr9
	s_branch .LBB61_10
.LBB61_20:
                                        ; implicit-def: $sgpr6_sgpr7
	s_load_dwordx4 s[12:15], s[0:1], 0x44
	s_branch .LBB61_2
.LBB61_21:
                                        ; implicit-def: $sgpr18_sgpr19
	s_branch .LBB61_5
.LBB61_22:
	v_div_scale_f32 v0, s[0:1], v4, v4, v5
	s_waitcnt vmcnt(0)
	v_rcp_f32_e32 v1, v0
	v_div_scale_f32 v6, vcc, v5, v4, v5
	v_fma_f32 v7, -v0, v1, 1.0
	v_fmac_f32_e32 v1, v7, v1
	v_mul_f32_e32 v7, v6, v1
	v_fma_f32 v8, -v0, v7, v6
	v_fmac_f32_e32 v7, v8, v1
	v_fma_f32 v0, -v0, v7, v6
	v_div_fmas_f32 v0, v0, v1, v7
	v_div_fixup_f32 v0, v0, v4, v5
	global_store_dword v[2:3], v0, off
.LBB61_23:
	s_endpgm
	.section	.rodata,"a",@progbits
	.p2align	6, 0x0
	.amdhsa_kernel _ZL33flash_attn_stream_k_fixup_generalILi112ELi16ELi1EEvPfPK15HIP_vector_typeIfLj2EEiiiiS1_IjLj3EES5_S5_S5_
		.amdhsa_group_segment_fixed_size 0
		.amdhsa_private_segment_fixed_size 0
		.amdhsa_kernarg_size 336
		.amdhsa_user_sgpr_count 2
		.amdhsa_user_sgpr_dispatch_ptr 0
		.amdhsa_user_sgpr_queue_ptr 0
		.amdhsa_user_sgpr_kernarg_segment_ptr 1
		.amdhsa_user_sgpr_dispatch_id 0
		.amdhsa_user_sgpr_kernarg_preload_length 0
		.amdhsa_user_sgpr_kernarg_preload_offset 0
		.amdhsa_user_sgpr_private_segment_size 0
		.amdhsa_uses_dynamic_stack 0
		.amdhsa_enable_private_segment 0
		.amdhsa_system_sgpr_workgroup_id_x 1
		.amdhsa_system_sgpr_workgroup_id_y 1
		.amdhsa_system_sgpr_workgroup_id_z 1
		.amdhsa_system_sgpr_workgroup_info 0
		.amdhsa_system_vgpr_workitem_id 0
		.amdhsa_next_free_vgpr 18
		.amdhsa_next_free_sgpr 36
		.amdhsa_accum_offset 20
		.amdhsa_reserve_vcc 1
		.amdhsa_float_round_mode_32 0
		.amdhsa_float_round_mode_16_64 0
		.amdhsa_float_denorm_mode_32 3
		.amdhsa_float_denorm_mode_16_64 3
		.amdhsa_dx10_clamp 1
		.amdhsa_ieee_mode 1
		.amdhsa_fp16_overflow 0
		.amdhsa_tg_split 0
		.amdhsa_exception_fp_ieee_invalid_op 0
		.amdhsa_exception_fp_denorm_src 0
		.amdhsa_exception_fp_ieee_div_zero 0
		.amdhsa_exception_fp_ieee_overflow 0
		.amdhsa_exception_fp_ieee_underflow 0
		.amdhsa_exception_fp_ieee_inexact 0
		.amdhsa_exception_int_div_zero 0
	.end_amdhsa_kernel
	.section	.text._ZL33flash_attn_stream_k_fixup_generalILi112ELi16ELi1EEvPfPK15HIP_vector_typeIfLj2EEiiiiS1_IjLj3EES5_S5_S5_,"axG",@progbits,_ZL33flash_attn_stream_k_fixup_generalILi112ELi16ELi1EEvPfPK15HIP_vector_typeIfLj2EEiiiiS1_IjLj3EES5_S5_S5_,comdat
.Lfunc_end61:
	.size	_ZL33flash_attn_stream_k_fixup_generalILi112ELi16ELi1EEvPfPK15HIP_vector_typeIfLj2EEiiiiS1_IjLj3EES5_S5_S5_, .Lfunc_end61-_ZL33flash_attn_stream_k_fixup_generalILi112ELi16ELi1EEvPfPK15HIP_vector_typeIfLj2EEiiiiS1_IjLj3EES5_S5_S5_
                                        ; -- End function
	.set _ZL33flash_attn_stream_k_fixup_generalILi112ELi16ELi1EEvPfPK15HIP_vector_typeIfLj2EEiiiiS1_IjLj3EES5_S5_S5_.num_vgpr, 18
	.set _ZL33flash_attn_stream_k_fixup_generalILi112ELi16ELi1EEvPfPK15HIP_vector_typeIfLj2EEiiiiS1_IjLj3EES5_S5_S5_.num_agpr, 0
	.set _ZL33flash_attn_stream_k_fixup_generalILi112ELi16ELi1EEvPfPK15HIP_vector_typeIfLj2EEiiiiS1_IjLj3EES5_S5_S5_.numbered_sgpr, 36
	.set _ZL33flash_attn_stream_k_fixup_generalILi112ELi16ELi1EEvPfPK15HIP_vector_typeIfLj2EEiiiiS1_IjLj3EES5_S5_S5_.num_named_barrier, 0
	.set _ZL33flash_attn_stream_k_fixup_generalILi112ELi16ELi1EEvPfPK15HIP_vector_typeIfLj2EEiiiiS1_IjLj3EES5_S5_S5_.private_seg_size, 0
	.set _ZL33flash_attn_stream_k_fixup_generalILi112ELi16ELi1EEvPfPK15HIP_vector_typeIfLj2EEiiiiS1_IjLj3EES5_S5_S5_.uses_vcc, 1
	.set _ZL33flash_attn_stream_k_fixup_generalILi112ELi16ELi1EEvPfPK15HIP_vector_typeIfLj2EEiiiiS1_IjLj3EES5_S5_S5_.uses_flat_scratch, 0
	.set _ZL33flash_attn_stream_k_fixup_generalILi112ELi16ELi1EEvPfPK15HIP_vector_typeIfLj2EEiiiiS1_IjLj3EES5_S5_S5_.has_dyn_sized_stack, 0
	.set _ZL33flash_attn_stream_k_fixup_generalILi112ELi16ELi1EEvPfPK15HIP_vector_typeIfLj2EEiiiiS1_IjLj3EES5_S5_S5_.has_recursion, 0
	.set _ZL33flash_attn_stream_k_fixup_generalILi112ELi16ELi1EEvPfPK15HIP_vector_typeIfLj2EEiiiiS1_IjLj3EES5_S5_S5_.has_indirect_call, 0
	.section	.AMDGPU.csdata,"",@progbits
; Kernel info:
; codeLenInByte = 2936
; TotalNumSgprs: 42
; NumVgprs: 18
; NumAgprs: 0
; TotalNumVgprs: 18
; ScratchSize: 0
; MemoryBound: 0
; FloatMode: 240
; IeeeMode: 1
; LDSByteSize: 0 bytes/workgroup (compile time only)
; SGPRBlocks: 5
; VGPRBlocks: 2
; NumSGPRsForWavesPerEU: 42
; NumVGPRsForWavesPerEU: 18
; AccumOffset: 20
; Occupancy: 8
; WaveLimiterHint : 0
; COMPUTE_PGM_RSRC2:SCRATCH_EN: 0
; COMPUTE_PGM_RSRC2:USER_SGPR: 2
; COMPUTE_PGM_RSRC2:TRAP_HANDLER: 0
; COMPUTE_PGM_RSRC2:TGID_X_EN: 1
; COMPUTE_PGM_RSRC2:TGID_Y_EN: 1
; COMPUTE_PGM_RSRC2:TGID_Z_EN: 1
; COMPUTE_PGM_RSRC2:TIDIG_COMP_CNT: 0
; COMPUTE_PGM_RSRC3_GFX90A:ACCUM_OFFSET: 4
; COMPUTE_PGM_RSRC3_GFX90A:TG_SPLIT: 0
	.section	.text._ZL15flash_attn_tileILi112ELi112ELi8ELi1ELb0EEvPKcS1_S1_S1_S1_PKiPfP15HIP_vector_typeIfLj2EEffffjfiS5_IjLj3EEiiiiiiiiiiiliiliiiiil,"axG",@progbits,_ZL15flash_attn_tileILi112ELi112ELi8ELi1ELb0EEvPKcS1_S1_S1_S1_PKiPfP15HIP_vector_typeIfLj2EEffffjfiS5_IjLj3EEiiiiiiiiiiiliiliiiiil,comdat
	.globl	_ZL15flash_attn_tileILi112ELi112ELi8ELi1ELb0EEvPKcS1_S1_S1_S1_PKiPfP15HIP_vector_typeIfLj2EEffffjfiS5_IjLj3EEiiiiiiiiiiiliiliiiiil ; -- Begin function _ZL15flash_attn_tileILi112ELi112ELi8ELi1ELb0EEvPKcS1_S1_S1_S1_PKiPfP15HIP_vector_typeIfLj2EEffffjfiS5_IjLj3EEiiiiiiiiiiiliiliiiiil
	.p2align	8
	.type	_ZL15flash_attn_tileILi112ELi112ELi8ELi1ELb0EEvPKcS1_S1_S1_S1_PKiPfP15HIP_vector_typeIfLj2EEffffjfiS5_IjLj3EEiiiiiiiiiiiliiliiiiil,@function
_ZL15flash_attn_tileILi112ELi112ELi8ELi1ELb0EEvPKcS1_S1_S1_S1_PKiPfP15HIP_vector_typeIfLj2EEffffjfiS5_IjLj3EEiiiiiiiiiiiliiliiiiil: ; @_ZL15flash_attn_tileILi112ELi112ELi8ELi1ELb0EEvPKcS1_S1_S1_S1_PKiPfP15HIP_vector_typeIfLj2EEffffjfiS5_IjLj3EEiiiiiiiiiiiliiliiiiil
; %bb.0:
	s_load_dwordx4 s[28:31], s[0:1], 0x5c
	s_load_dwordx2 s[38:39], s[0:1], 0x80
	s_load_dwordx16 s[12:27], s[0:1], 0x0
	s_load_dwordx2 s[40:41], s[0:1], 0xb8
	s_mov_b64 s[36:37], 0
	s_waitcnt lgkmcnt(0)
	v_cvt_f32_u32_e32 v1, s31
	s_sub_i32 s5, 0, s31
	v_rcp_iflag_f32_e32 v1, v1
	s_nop 0
	v_mul_f32_e32 v1, 0x4f7ffffe, v1
	v_cvt_u32_f32_e32 v1, v1
	s_nop 0
	v_readfirstlane_b32 s6, v1
	s_mul_i32 s5, s5, s6
	s_mul_hi_u32 s5, s6, s5
	s_add_i32 s6, s6, s5
	s_mul_hi_u32 s5, s4, s6
	s_mul_i32 s6, s5, s31
	s_sub_i32 s6, s4, s6
	s_add_i32 s7, s5, 1
	s_sub_i32 s8, s6, s31
	s_cmp_ge_u32 s6, s31
	s_cselect_b32 s5, s7, s5
	s_cselect_b32 s6, s8, s6
	s_add_i32 s7, s5, 1
	s_cmp_ge_u32 s6, s31
	s_cselect_b32 s33, s7, s5
	s_abs_i32 s5, s39
	v_cvt_f32_u32_e32 v1, s5
	s_sub_i32 s8, 0, s5
	s_abs_i32 s7, s31
	s_xor_b32 s6, s31, s39
	v_rcp_iflag_f32_e32 v1, v1
	s_ashr_i32 s6, s6, 31
	v_mul_f32_e32 v1, 0x4f7ffffe, v1
	v_cvt_u32_f32_e32 v1, v1
	v_mul_lo_u32 v2, s8, v1
	v_mul_hi_u32 v2, v1, v2
	v_add_u32_e32 v1, v1, v2
	v_mul_hi_u32 v1, s7, v1
	v_mul_lo_u32 v2, v1, s5
	v_sub_u32_e32 v2, s7, v2
	v_add_u32_e32 v3, 1, v1
	v_subrev_u32_e32 v4, s5, v2
	v_cmp_le_u32_e32 vcc, s5, v2
	s_nop 1
	v_cndmask_b32_e32 v1, v1, v3, vcc
	v_cndmask_b32_e32 v2, v2, v4, vcc
	v_add_u32_e32 v3, 1, v1
	v_cmp_le_u32_e32 vcc, s5, v2
	s_mul_i32 s5, s33, s31
	s_sub_i32 s34, s4, s5
	v_cndmask_b32_e32 v1, v1, v3, vcc
	v_xor_b32_e32 v1, s6, v1
	v_subrev_u32_e32 v2, s6, v1
	v_sub_u32_e32 v1, 0, v2
	v_max_i32_e32 v1, v2, v1
	v_cvt_f32_u32_e32 v3, v1
	v_sub_u32_e32 v4, 0, v1
	s_cmp_eq_u64 s[18:19], 0
	v_rcp_iflag_f32_e32 v3, v3
	s_nop 0
	v_mul_f32_e32 v3, 0x4f7ffffe, v3
	v_cvt_u32_f32_e32 v3, v3
	v_mul_lo_u32 v4, v4, v3
	v_mul_hi_u32 v4, v3, v4
	s_cbranch_scc1 .LBB62_2
; %bb.1:
	s_abs_i32 s6, s40
	v_cvt_f32_u32_e32 v5, s6
	s_sub_i32 s9, 0, s6
	s_abs_i32 s8, s33
	s_ashr_i32 s7, s33, 31
	v_rcp_iflag_f32_e32 v5, v5
	s_load_dwordx2 s[4:5], s[0:1], 0xc8
	v_mul_f32_e32 v5, 0x4f7ffffe, v5
	v_cvt_u32_f32_e32 v5, v5
	s_nop 0
	v_readfirstlane_b32 s10, v5
	s_mul_i32 s9, s9, s10
	s_mul_hi_u32 s9, s10, s9
	s_add_i32 s10, s10, s9
	s_mul_hi_u32 s9, s8, s10
	s_mul_i32 s9, s9, s6
	s_sub_i32 s8, s8, s9
	s_sub_i32 s9, s8, s6
	s_cmp_ge_u32 s8, s6
	s_cselect_b32 s8, s9, s8
	s_sub_i32 s9, s8, s6
	s_cmp_ge_u32 s8, s6
	s_cselect_b32 s6, s9, s8
	s_xor_b32 s6, s6, s7
	s_sub_i32 s6, s6, s7
	s_ashr_i32 s7, s6, 31
	s_waitcnt lgkmcnt(0)
	s_mul_hi_u32 s8, s4, s6
	s_mul_i32 s7, s4, s7
	s_mul_i32 s5, s5, s6
	s_add_i32 s7, s8, s7
	s_add_i32 s7, s7, s5
	s_mul_i32 s4, s4, s6
	s_add_u32 s36, s18, s4
	s_addc_u32 s37, s19, s7
.LBB62_2:
	s_load_dwordx4 s[8:11], s[0:1], 0x40
	s_load_dword s4, s[0:1], 0x50
	s_abs_i32 s40, s34
	v_add_u32_e32 v3, v3, v4
	v_mov_b32_e32 v51, 1.0
	s_waitcnt lgkmcnt(0)
	v_cmp_le_f32_e64 s[6:7], s9, 0
	s_and_b64 vcc, exec, s[6:7]
	s_cbranch_vccnz .LBB62_4
; %bb.3:
	v_mov_b32_e32 v4, s4
	v_sub_co_u32_e32 v4, vcc, s34, v4
	v_mov_b32_e32 v5, s11
	v_mov_b32_e32 v6, s10
	s_add_i32 s4, s34, 1
	v_lshlrev_b32_e32 v4, 1, v4
	v_cndmask_b32_e32 v5, v5, v6, vcc
	v_or_b32_e32 v4, 1, v4
	v_mov_b32_e32 v6, s4
	v_cndmask_b32_e32 v4, v4, v6, vcc
	v_cvt_f32_i32_e32 v4, v4
	v_cmp_neq_f32_e32 vcc, 1.0, v5
	s_mov_b32 s4, 0x3f2aaaab
	s_movk_i32 s6, 0x204
	v_cndmask_b32_e32 v20, 1.0, v4, vcc
	v_cmp_neq_f32_e32 vcc, 0, v20
	s_mov_b32 s5, 0x42b17218
	s_mov_b32 s7, 0x3fb8aa3b
	v_cndmask_b32_e32 v21, 1.0, v5, vcc
	v_frexp_mant_f32_e64 v4, |v21|
	v_cmp_gt_f32_e32 vcc, s4, v4
	s_mov_b32 s4, 0x3f317218
	s_brev_b32 s18, -2
	v_cndmask_b32_e64 v5, 1.0, 2.0, vcc
	v_mul_f32_e32 v4, v4, v5
	v_add_f32_e32 v7, 1.0, v4
	v_rcp_f32_e32 v12, v7
	v_add_f32_e32 v5, -1.0, v7
	v_sub_f32_e32 v9, v4, v5
	v_add_f32_e32 v5, -1.0, v4
	v_mul_f32_e32 v13, v5, v12
	v_mul_f32_e32 v6, v7, v13
	v_fma_f32 v8, v13, v7, -v6
	v_fmac_f32_e32 v8, v13, v9
	v_add_f32_e32 v4, v6, v8
	v_sub_f32_e32 v7, v5, v4
	v_pk_add_f32 v[10:11], v[4:5], v[6:7] neg_lo:[0,1] neg_hi:[0,1]
	v_mov_b32_e32 v9, v4
	v_pk_add_f32 v[4:5], v[10:11], v[8:9] neg_lo:[0,1] neg_hi:[0,1]
	v_mov_b32_e32 v8, 0x3e91f4c4
	v_add_f32_e32 v4, v4, v5
	v_add_f32_e32 v4, v7, v4
	v_mul_f32_e32 v5, v12, v4
	v_add_f32_e32 v4, v13, v5
	v_sub_f32_e32 v6, v4, v13
	v_sub_f32_e32 v14, v5, v6
	v_mul_f32_e32 v5, v4, v4
	v_fma_f32 v7, v4, v4, -v5
	v_add_f32_e32 v6, v14, v14
	v_fmac_f32_e32 v7, v4, v6
	v_add_f32_e32 v6, v5, v7
	v_fmac_f32_e32 v8, 0x3e76c4e1, v6
	v_fmaak_f32 v8, v6, v8, 0x3ecccdef
	v_sub_f32_e32 v5, v6, v5
	v_sub_f32_e32 v15, v7, v5
	v_mul_f32_e32 v5, v6, v8
	v_fma_f32 v7, v6, v8, -v5
	v_fmac_f32_e32 v7, v15, v8
	v_add_f32_e32 v8, v5, v7
	v_add_f32_e32 v9, 0x3f2aaaaa, v8
	v_sub_f32_e32 v5, v8, v5
	v_sub_f32_e32 v5, v7, v5
	v_add_f32_e32 v7, 0xbf2aaaaa, v9
	v_add_f32_e32 v5, 0x31739010, v5
	v_sub_f32_e32 v7, v8, v7
	v_pk_mul_f32 v[10:11], v[4:5], v[6:7]
	v_pk_add_f32 v[12:13], v[4:5], v[6:7]
	v_fma_f32 v8, v6, v4, -v10
	v_fmac_f32_e32 v8, v6, v14
	v_mov_b32_e32 v11, v13
	v_fmac_f32_e32 v8, v15, v4
	v_pk_add_f32 v[6:7], v[10:11], v[8:9]
	v_ldexp_f32 v16, v14, 1
	v_sub_f32_e32 v5, v6, v10
	v_sub_f32_e32 v5, v8, v5
	;; [unrolled: 1-line block ×3, first 2 shown]
	v_add_f32_e32 v11, v13, v8
	v_pk_mul_f32 v[8:9], v[6:7], v[6:7] op_sel:[0,1] op_sel_hi:[1,0]
	v_cvt_f64_f32_e64 v[12:13], |v21|
	v_frexp_exp_i32_f64_e32 v9, v[12:13]
	v_subbrev_co_u32_e32 v9, vcc, 0, v9, vcc
	v_cvt_f32_i32_e32 v9, v9
	v_fma_f32 v10, v6, v7, -v8
	v_fmac_f32_e32 v10, v6, v11
	v_fmac_f32_e32 v10, v5, v7
	v_mul_f32_e32 v6, 0x3f317218, v9
	v_fma_f32 v5, v9, s4, -v6
	v_fmamk_f32 v12, v9, 0xb102e308, v5
	v_ldexp_f32 v13, v4, 1
	v_add_f32_e32 v7, v8, v10
	v_pk_add_f32 v[4:5], v[6:7], v[12:13]
	v_mov_b32_e32 v14, v7
	v_mov_b32_e32 v15, v5
	;; [unrolled: 1-line block ×3, first 2 shown]
	v_pk_add_f32 v[8:9], v[14:15], v[8:9] neg_lo:[0,1] neg_hi:[0,1]
	v_mov_b32_e32 v11, v7
	v_pk_add_f32 v[8:9], v[10:11], v[8:9] neg_lo:[0,1] neg_hi:[0,1]
	v_mov_b32_e32 v13, v4
	v_add_f32_e32 v7, v16, v8
	v_add_f32_e32 v7, v7, v9
	v_pk_add_f32 v[8:9], v[4:5], v[6:7] neg_lo:[0,1] neg_hi:[0,1]
	v_pk_add_f32 v[10:11], v[4:5], v[6:7]
	v_mov_b32_e32 v18, v5
	v_mov_b32_e32 v9, v11
	v_pk_add_f32 v[14:15], v[12:13], v[8:9] neg_lo:[0,1] neg_hi:[0,1]
	v_pk_add_f32 v[8:9], v[12:13], v[8:9]
	v_mov_b32_e32 v6, v7
	v_pk_add_f32 v[12:13], v[8:9], v[4:5] op_sel:[1,0] op_sel_hi:[0,1] neg_lo:[0,1] neg_hi:[0,1]
	v_pk_add_f32 v[16:17], v[10:11], v[12:13] op_sel_hi:[1,0] neg_lo:[0,1] neg_hi:[0,1]
	v_mov_b32_e32 v10, v11
	v_mov_b32_e32 v11, v9
	;; [unrolled: 1-line block ×3, first 2 shown]
	v_pk_add_f32 v[10:11], v[10:11], v[18:19] neg_lo:[0,1] neg_hi:[0,1]
	v_mov_b32_e32 v7, v4
	v_pk_add_f32 v[4:5], v[6:7], v[10:11] neg_lo:[0,1] neg_hi:[0,1]
	v_mov_b32_e32 v16, v14
	v_pk_add_f32 v[6:7], v[16:17], v[4:5]
	v_mov_b32_e32 v15, v9
	v_pk_add_f32 v[10:11], v[6:7], v[6:7] op_sel:[0,1] op_sel_hi:[1,0]
	s_mov_b32 s4, 0x7f800000
	v_pk_add_f32 v[8:9], v[8:9], v[10:11] op_sel:[1,0] op_sel_hi:[0,1]
	v_mov_b32_e32 v7, v8
	v_pk_add_f32 v[12:13], v[6:7], v[14:15] neg_lo:[0,1] neg_hi:[0,1]
	v_mov_b32_e32 v5, v10
	v_sub_f32_e32 v6, v6, v12
	v_pk_add_f32 v[4:5], v[4:5], v[12:13] neg_lo:[0,1] neg_hi:[0,1]
	v_sub_f32_e32 v6, v14, v6
	v_add_f32_e32 v4, v4, v6
	v_add_f32_e32 v4, v4, v5
	;; [unrolled: 1-line block ×3, first 2 shown]
	v_sub_f32_e32 v6, v5, v8
	v_sub_f32_e32 v4, v4, v6
	v_mul_f32_e32 v6, v20, v5
	v_fma_f32 v5, v20, v5, -v6
	v_fmac_f32_e32 v5, v20, v4
	v_add_f32_e32 v4, v6, v5
	v_cmp_class_f32_e64 vcc, v6, s6
	v_sub_f32_e32 v7, v4, v6
	v_sub_f32_e32 v5, v5, v7
	v_cndmask_b32_e32 v4, v4, v6, vcc
	v_mov_b32_e32 v6, 0x37000000
	v_cmp_eq_f32_e32 vcc, s5, v4
	v_cmp_class_f32_e64 s[10:11], v21, s6
	s_nop 0
	v_cndmask_b32_e32 v6, 0, v6, vcc
	v_sub_f32_e32 v7, v4, v6
	v_mul_f32_e32 v8, 0x3fb8aa3b, v7
	v_fma_f32 v9, v7, s7, -v8
	v_rndne_f32_e32 v10, v8
	v_fmamk_f32 v9, v7, 0x32a5705f, v9
	v_sub_f32_e32 v8, v8, v10
	v_add_f32_e32 v8, v8, v9
	v_exp_f32_e32 v8, v8
	v_cvt_i32_f32_e32 v9, v10
	v_cmp_neq_f32_e64 vcc, |v4|, s4
	s_mov_b32 s4, 0xc2ce8ed0
	s_nop 0
	v_cndmask_b32_e32 v4, 0, v5, vcc
	v_ldexp_f32 v5, v8, v9
	v_cmp_ngt_f32_e32 vcc, s4, v7
	v_add_f32_e32 v4, v6, v4
	v_mov_b32_e32 v6, 0x7f800000
	v_cndmask_b32_e32 v5, 0, v5, vcc
	v_cmp_nlt_f32_e32 vcc, s5, v7
	v_mov_b32_e32 v7, 0x7fc00000
	s_nop 0
	v_cndmask_b32_e32 v5, v6, v5, vcc
	v_fma_f32 v4, v5, v4, v5
	v_cmp_class_f32_e64 vcc, v5, s6
	v_cmp_gt_f32_e64 s[6:7], 0, v20
	s_nop 0
	v_cndmask_b32_e32 v4, v4, v5, vcc
	v_trunc_f32_e32 v5, v20
	v_cmp_eq_f32_e32 vcc, v5, v20
	v_mul_f32_e32 v5, 0.5, v20
	v_trunc_f32_e32 v8, v5
	v_cmp_neq_f32_e64 s[4:5], v8, v5
	s_and_b64 s[4:5], vcc, s[4:5]
	s_nop 0
	v_cndmask_b32_e64 v5, 1.0, v21, s[4:5]
	v_bfi_b32 v4, s18, v4, v5
	v_cndmask_b32_e32 v5, v7, v4, vcc
	v_cmp_gt_f32_e32 vcc, 0, v21
	s_nop 1
	v_cndmask_b32_e32 v4, v4, v5, vcc
	v_cmp_eq_f32_e32 vcc, 0, v21
	s_xor_b64 s[6:7], s[6:7], vcc
	v_cndmask_b32_e64 v5, v6, 0, s[6:7]
	v_cndmask_b32_e64 v6, 0, v21, s[4:5]
	v_bfi_b32 v5, s18, v5, v6
	s_or_b64 vcc, vcc, s[10:11]
	v_cndmask_b32_e32 v4, v4, v5, vcc
	v_cmp_o_f32_e32 vcc, v21, v21
	s_nop 1
	v_cndmask_b32_e32 v51, v7, v4, vcc
.LBB62_4:
	s_lshl_b32 s4, s2, 3
	v_bfe_u32 v74, v0, 10, 10
	v_and_b32_e32 v40, 0x3ff, v0
	s_movk_i32 s5, 0xe0
	v_mov_b32_e32 v0, 0x1040
	v_mul_hi_u32 v3, s40, v3
	v_cmp_gt_u32_e64 s[18:19], 28, v40
	v_mad_u32_u24 v77, v74, s5, v0
	v_lshlrev_b32_e32 v63, 3, v40
	v_add_u32_e32 v41, s4, v74
	s_and_saveexec_b64 s[4:5], s[18:19]
	s_cbranch_execz .LBB62_6
; %bb.5:
	s_load_dwordx4 s[44:47], s[0:1], 0x70
	v_mul_hi_u32 v0, s28, v41
	v_add_u32_e32 v0, v41, v0
	v_lshrrev_b32_e32 v0, s29, v0
	v_mul_lo_u32 v0, v0, s30
	s_waitcnt lgkmcnt(0)
	s_mul_i32 s6, s33, s46
	s_ashr_i32 s10, s6, 31
	s_mul_i32 s7, s34, s45
	s_add_u32 s6, s12, s6
	s_addc_u32 s10, s13, s10
	s_ashr_i32 s11, s7, 31
	s_add_u32 s6, s6, s7
	s_addc_u32 s7, s10, s11
	s_ashr_i32 s45, s44, 31
	s_lshr_b64 s[10:11], s[44:45], 2
	v_sub_u32_e32 v6, v41, v0
	v_mad_u64_u32 v[4:5], s[10:11], s10, v6, 0
	v_mov_b32_e32 v0, v5
	s_lshr_b32 s10, s45, 2
	v_mad_u64_u32 v[6:7], s[10:11], s10, v6, v[0:1]
	v_mov_b32_e32 v5, v6
	v_lshl_add_u64 v[4:5], v[4:5], 2, s[6:7]
	v_lshlrev_b32_e32 v6, 4, v40
	v_mov_b32_e32 v7, 0
	v_lshl_add_u64 v[4:5], v[4:5], 0, v[6:7]
	global_load_dwordx4 v[4:7], v[4:5], off
	v_add_u32_e32 v0, v77, v63
	s_waitcnt vmcnt(0)
	v_fma_mixlo_f16 v8, s8, v4, 0
	v_mov_b32_e32 v4, v7
	v_pk_mul_f32 v[4:5], s[8:9], v[4:5] op_sel_hi:[0,1]
	v_cvt_pk_f16_f32 v4, v4, v5
	v_fma_mixlo_f16 v6, s8, v6, 0
	v_and_b32_e32 v7, 0xffff, v8
	v_lshlrev_b32_e32 v5, 16, v4
	v_and_b32_e32 v4, 0xffff0000, v4
	v_and_b32_e32 v6, 0xffff, v6
	v_or_b32_e32 v4, v4, v7
	v_or3_b32 v5, v5, v6, 0
	v_or3_b32 v4, 0, 0, v4
	ds_write_b64 v0, v[4:5]
.LBB62_6:
	s_or_b64 exec, exec, s[4:5]
	s_ashr_i32 s35, s34, 31
	v_ashrrev_i32_e32 v0, 31, v2
	s_cmp_eq_u64 s[22:23], 0
	s_waitcnt lgkmcnt(0)
	s_barrier
	s_cbranch_scc1 .LBB62_8
; %bb.7:
	s_load_dword s4, s[0:1], 0xd0
	s_mov_b32 s5, 0
	s_waitcnt lgkmcnt(0)
	s_mul_i32 s4, s4, s33
	s_add_i32 s4, s4, s2
	s_lshl_b64 s[4:5], s[4:5], 2
	s_add_u32 s4, s22, s4
	s_addc_u32 s5, s23, s5
	s_load_dword s38, s[4:5], 0x0
.LBB62_8:
	s_load_dwordx2 s[8:9], s[0:1], 0x8c
	s_nop 0
	s_load_dwordx4 s[4:7], s[0:1], 0x98
	s_load_dwordx2 s[10:11], s[0:1], 0xa8
	v_mul_lo_u32 v2, v3, v1
	v_sub_u32_e32 v2, s40, v2
	v_add_u32_e32 v4, 1, v3
	v_sub_u32_e32 v5, v2, v1
	v_cmp_ge_u32_e32 vcc, v2, v1
	s_waitcnt lgkmcnt(0)
	s_ashr_i32 s2, s6, 2
	s_ashr_i32 s6, s33, 31
	v_cndmask_b32_e32 v3, v3, v4, vcc
	v_cndmask_b32_e32 v2, v2, v5, vcc
	v_add_u32_e32 v4, 1, v3
	v_cmp_ge_u32_e32 vcc, v2, v1
	s_ashr_i32 s39, s8, 2
	s_mul_hi_u32 s8, s4, s33
	s_mul_i32 s12, s4, s6
	v_xor_b32_e32 v0, s35, v0
	v_cndmask_b32_e32 v1, v3, v4, vcc
	s_add_i32 s8, s8, s12
	s_mul_i32 s5, s5, s33
	v_xor_b32_e32 v1, v1, v0
	s_ashr_i32 s45, s41, 1
	s_add_i32 s8, s8, s5
	s_mul_i32 s4, s4, s33
	v_sub_u32_e32 v2, v1, v0
	s_add_u32 s4, s14, s4
	v_mul_lo_u32 v0, v2, s9
	s_addc_u32 s5, s15, s8
	v_ashrrev_i32_e32 v1, 31, v0
	v_lshl_add_u64 v[44:45], s[4:5], 0, v[0:1]
	s_mul_hi_u32 s4, s10, s33
	s_mul_i32 s5, s10, s6
	s_add_i32 s4, s4, s5
	s_mul_i32 s5, s11, s33
	s_add_i32 s5, s4, s5
	s_mul_i32 s4, s10, s33
	s_add_u32 s4, s16, s4
	v_mul_lo_u32 v0, v2, s7
	s_addc_u32 s5, s17, s5
	v_ashrrev_i32_e32 v1, 31, v0
	s_lshl_b32 s44, s3, 5
	s_sub_i32 s46, s38, 32
	v_lshl_add_u64 v[42:43], s[4:5], 0, v[0:1]
	s_cmp_ge_i32 s44, s46
	v_lshl_add_u32 v84, v74, 5, v40
	v_lshrrev_b32_e32 v83, 1, v40
	v_lshrrev_b32_e32 v82, 2, v40
	v_lshlrev_b32_e32 v80, 7, v40
	v_lshlrev_b32_e32 v75, 2, v40
	v_lshrrev_b32_e32 v76, 3, v40
	v_mbcnt_lo_u32_b32 v78, -1, 0
	s_cbranch_scc1 .LBB62_39
; %bb.9:
	v_mul_hi_u32 v5, s28, v41
	v_add_u32_e32 v5, v41, v5
	v_lshrrev_b32_e32 v5, s29, v5
	v_mul_lo_u32 v5, v5, s30
	v_lshl_add_u32 v1, v74, 4, v83
	v_and_b32_e32 v0, 4, v75
	v_sub_u32_e32 v5, v41, v5
	v_lshl_add_u32 v2, v74, 3, v82
	v_lshlrev_b32_e32 v3, 7, v1
	v_lshlrev_b32_e32 v4, 2, v0
	v_and_b32_e32 v50, 12, v75
	v_mad_u64_u32 v[56:57], s[10:11], v5, s45, v[40:41]
	v_mov_b32_e32 v5, 0x1740
	v_cmp_gt_u32_e64 s[6:7], 32, v1
	v_or3_b32 v86, v3, v4, 64
	v_mul_lo_u32 v48, s39, v1
	v_lshlrev_b32_e32 v3, 2, v50
	s_cmp_lg_u64 s[36:37], 0
	v_lshl_add_u32 v57, v74, 6, v5
	v_cmp_gt_u32_e64 s[10:11], 16, v1
	v_lshl_add_u32 v5, v74, 2, v76
	v_mul_u32_u24_e32 v6, 0xe0, v1
	v_mul_lo_u32 v58, s2, v1
	v_mul_u32_u24_e32 v1, 0xe0, v2
	s_movk_i32 s17, 0x80
	v_and_b32_e32 v62, 28, v75
	v_mul_lo_u32 v46, s39, v84
	v_mov_b32_e32 v53, 0
	v_mul_lo_u32 v54, s39, v2
	s_cselect_b64 s[22:23], -1, 0
	s_movk_i32 s16, 0xe0
	v_or_b32_e32 v4, v6, v4
	v_add3_u32 v90, v1, v3, s17
	v_mul_lo_u32 v60, s2, v2
	v_lshlrev_b32_e32 v1, 2, v62
	v_mul_lo_u32 v64, s2, v5
	s_add_u32 s40, s0, 0xd0
	v_cmp_gt_u32_e64 s[4:5], 32, v84
	v_cmp_gt_u32_e64 s[8:9], 32, v2
	v_or_b32_e32 v85, 0x60, v80
	v_ashrrev_i32_e32 v47, 31, v46
	v_ashrrev_i32_e32 v49, 31, v48
	v_lshl_or_b32 v87, v2, 7, v3
	v_ashrrev_i32_e32 v55, 31, v54
	v_lshl_add_u32 v88, v40, 1, v57
	v_cmp_gt_u32_e64 s[12:13], 16, v2
	v_cmp_gt_u32_e64 s[14:15], 16, v5
	v_add_u32_e32 v89, 0xc0, v4
	v_ashrrev_i32_e32 v59, 31, v58
	v_ashrrev_i32_e32 v61, 31, v60
	v_mad_u32_u24 v91, v5, s16, v1
	v_ashrrev_i32_e32 v65, 31, v64
	s_addc_u32 s41, s1, 0
	v_mov_b32_e32 v6, 0xfeffffff
	s_mov_b32 s47, 0x3fb8aa3b
	s_mov_b32 s48, 0xc2ce8ed0
	;; [unrolled: 1-line block ×4, first 2 shown]
	v_lshlrev_b32_e32 v52, 2, v0
	v_mbcnt_hi_u32_b32 v92, -1, v78
	v_mov_b32_e32 v93, 0x7f800000
	v_mov_b32_e32 v73, v53
	v_mov_b32_e32 v72, v53
	v_mov_b32_e32 v94, v53
.LBB62_10:                              ; =>This Inner Loop Header: Depth=1
	s_mul_hi_i32 s17, s44, s39
	s_mul_i32 s16, s44, s39
	s_lshl_b64 s[16:17], s[16:17], 2
	v_lshl_add_u64 v[2:3], v[44:45], 0, s[16:17]
	v_lshl_add_u64 v[4:5], v[46:47], 2, v[2:3]
	s_and_saveexec_b64 s[16:17], s[4:5]
	s_cbranch_execz .LBB62_12
; %bb.11:                               ;   in Loop: Header=BB62_10 Depth=1
	global_load_dwordx4 v[8:11], v[4:5], off offset:96
	s_waitcnt vmcnt(0)
	ds_write_b128 v85, v[8:11]
.LBB62_12:                              ;   in Loop: Header=BB62_10 Depth=1
	s_or_b64 exec, exec, s[16:17]
	v_lshl_add_u64 v[0:1], v[48:49], 2, v[2:3]
	s_and_saveexec_b64 s[16:17], s[6:7]
	s_cbranch_execz .LBB62_14
; %bb.13:                               ;   in Loop: Header=BB62_10 Depth=1
	v_lshl_add_u64 v[8:9], v[0:1], 0, v[52:53]
	global_load_dwordx4 v[8:11], v[8:9], off offset:64
	s_waitcnt vmcnt(0)
	ds_write_b128 v86, v[8:11]
.LBB62_14:                              ;   in Loop: Header=BB62_10 Depth=1
	s_or_b64 exec, exec, s[16:17]
	v_lshl_add_u64 v[2:3], v[54:55], 2, v[2:3]
	v_lshlrev_b32_e32 v66, 2, v50
	s_and_saveexec_b64 s[16:17], s[8:9]
	s_cbranch_execz .LBB62_16
; %bb.15:                               ;   in Loop: Header=BB62_10 Depth=1
	v_mov_b32_e32 v67, v53
	v_lshl_add_u64 v[8:9], v[2:3], 0, v[66:67]
	global_load_dwordx4 v[8:11], v[8:9], off
	s_waitcnt vmcnt(0)
	ds_write_b128 v87, v[8:11]
.LBB62_16:                              ;   in Loop: Header=BB62_10 Depth=1
	s_or_b64 exec, exec, s[16:17]
	s_waitcnt lgkmcnt(0)
	s_barrier
	ds_read_b128 v[8:11], v80
	ds_read_b128 v[12:15], v77
	v_mov_b32_e32 v7, 0
	s_waitcnt lgkmcnt(0)
	;;#ASMSTART
	v_dot2_f32_f16 v7, v8, v12, v7
	;;#ASMEND
	s_nop 0
	;;#ASMSTART
	v_dot2_f32_f16 v7, v9, v13, v7
	;;#ASMEND
	s_nop 0
	;;#ASMSTART
	v_dot2_f32_f16 v7, v10, v14, v7
	;;#ASMEND
	s_nop 0
	;;#ASMSTART
	v_dot2_f32_f16 v7, v11, v15, v7
	;;#ASMEND
	ds_read_b128 v[8:11], v80 offset:16
	ds_read_b128 v[12:15], v77 offset:16
	s_waitcnt lgkmcnt(0)
	;;#ASMSTART
	v_dot2_f32_f16 v7, v8, v12, v7
	;;#ASMEND
	s_nop 0
	;;#ASMSTART
	v_dot2_f32_f16 v7, v9, v13, v7
	;;#ASMEND
	s_nop 0
	;;#ASMSTART
	v_dot2_f32_f16 v7, v10, v14, v7
	;;#ASMEND
	s_nop 0
	;;#ASMSTART
	v_dot2_f32_f16 v7, v11, v15, v7
	;;#ASMEND
	ds_read_b128 v[8:11], v80 offset:32
	ds_read_b128 v[12:15], v77 offset:32
	;; [unrolled: 18-line block ×6, first 2 shown]
	s_waitcnt lgkmcnt(0)
	;;#ASMSTART
	v_dot2_f32_f16 v7, v8, v12, v7
	;;#ASMEND
	s_nop 0
	;;#ASMSTART
	v_dot2_f32_f16 v7, v9, v13, v7
	;;#ASMEND
	s_nop 0
	;;#ASMSTART
	v_dot2_f32_f16 v7, v10, v14, v7
	;;#ASMEND
	s_nop 0
	;;#ASMSTART
	v_dot2_f32_f16 v7, v11, v15, v7
	;;#ASMEND
	s_barrier
	s_and_saveexec_b64 s[16:17], s[4:5]
	s_cbranch_execnz .LBB62_22
; %bb.17:                               ;   in Loop: Header=BB62_10 Depth=1
	s_or_b64 exec, exec, s[16:17]
	s_and_saveexec_b64 s[16:17], s[6:7]
	s_cbranch_execnz .LBB62_23
.LBB62_18:                              ;   in Loop: Header=BB62_10 Depth=1
	s_or_b64 exec, exec, s[16:17]
	s_and_saveexec_b64 s[16:17], s[8:9]
	s_cbranch_execz .LBB62_20
.LBB62_19:                              ;   in Loop: Header=BB62_10 Depth=1
	v_mov_b32_e32 v67, v53
	v_lshl_add_u64 v[0:1], v[2:3], 0, v[66:67]
	global_load_dwordx4 v[0:3], v[0:1], off offset:112
	s_waitcnt vmcnt(0)
	ds_write_b128 v87, v[0:3]
.LBB62_20:                              ;   in Loop: Header=BB62_10 Depth=1
	s_or_b64 exec, exec, s[16:17]
	s_waitcnt lgkmcnt(0)
	s_barrier
	ds_read_b128 v[0:3], v80
	ds_read_b128 v[8:11], v77 offset:112
	s_andn2_b64 vcc, exec, s[22:23]
	s_waitcnt lgkmcnt(0)
	;;#ASMSTART
	v_dot2_f32_f16 v7, v0, v8, v7
	;;#ASMEND
	s_nop 0
	;;#ASMSTART
	v_dot2_f32_f16 v7, v1, v9, v7
	;;#ASMEND
	s_nop 0
	;;#ASMSTART
	v_dot2_f32_f16 v7, v2, v10, v7
	;;#ASMEND
	s_nop 0
	;;#ASMSTART
	v_dot2_f32_f16 v7, v3, v11, v7
	;;#ASMEND
	ds_read_b128 v[0:3], v80 offset:16
	ds_read_b128 v[8:11], v77 offset:128
	s_waitcnt lgkmcnt(0)
	;;#ASMSTART
	v_dot2_f32_f16 v7, v0, v8, v7
	;;#ASMEND
	s_nop 0
	;;#ASMSTART
	v_dot2_f32_f16 v7, v1, v9, v7
	;;#ASMEND
	s_nop 0
	;;#ASMSTART
	v_dot2_f32_f16 v7, v2, v10, v7
	;;#ASMEND
	s_nop 0
	;;#ASMSTART
	v_dot2_f32_f16 v7, v3, v11, v7
	;;#ASMEND
	ds_read_b128 v[0:3], v80 offset:32
	ds_read_b128 v[8:11], v77 offset:144
	;; [unrolled: 18-line block ×6, first 2 shown]
	s_waitcnt lgkmcnt(0)
	;;#ASMSTART
	v_dot2_f32_f16 v7, v0, v8, v7
	;;#ASMEND
	s_nop 0
	;;#ASMSTART
	v_dot2_f32_f16 v7, v1, v9, v7
	;;#ASMEND
	s_nop 0
	;;#ASMSTART
	v_dot2_f32_f16 v7, v2, v10, v7
	;;#ASMEND
	s_nop 0
	;;#ASMSTART
	v_dot2_f32_f16 v7, v3, v11, v7
	;;#ASMEND
	s_cbranch_vccnz .LBB62_24
; %bb.21:                               ;   in Loop: Header=BB62_10 Depth=1
	v_add_u32_e32 v0, s44, v56
	v_ashrrev_i32_e32 v1, 31, v0
	v_lshl_add_u64 v[0:1], v[0:1], 1, s[36:37]
	global_load_ushort v0, v[0:1], off
	s_waitcnt vmcnt(0)
	v_cvt_f32_f16_e32 v0, v0
	v_mul_f32_e32 v0, v51, v0
	s_branch .LBB62_25
.LBB62_22:                              ;   in Loop: Header=BB62_10 Depth=1
	global_load_dwordx4 v[8:11], v[4:5], off offset:208
	s_waitcnt vmcnt(0)
	ds_write_b128 v85, v[8:11]
	s_or_b64 exec, exec, s[16:17]
	s_and_saveexec_b64 s[16:17], s[6:7]
	s_cbranch_execz .LBB62_18
.LBB62_23:                              ;   in Loop: Header=BB62_10 Depth=1
	v_lshl_add_u64 v[0:1], v[0:1], 0, v[52:53]
	global_load_dwordx4 v[8:11], v[0:1], off offset:176
	s_waitcnt vmcnt(0)
	ds_write_b128 v86, v[8:11]
	s_or_b64 exec, exec, s[16:17]
	s_and_saveexec_b64 s[16:17], s[8:9]
	s_cbranch_execnz .LBB62_19
	s_branch .LBB62_20
.LBB62_24:                              ;   in Loop: Header=BB62_10 Depth=1
	v_mov_b32_e32 v0, 0
.LBB62_25:                              ;   in Loop: Header=BB62_10 Depth=1
	v_and_b32_e32 v1, 0x60, v92
	v_add_u32_e32 v1, 32, v1
	v_xor_b32_e32 v2, 16, v92
	v_cmp_lt_i32_e32 vcc, v2, v1
	v_add_f32_e32 v0, v7, v0
	v_add_f32_e32 v3, 0x40051340, v0
	v_cndmask_b32_e32 v2, v92, v2, vcc
	v_max_f32_e32 v4, v6, v6
	v_lshlrev_b32_e32 v2, 2, v2
	v_max_f32_e32 v3, v4, v3
	ds_bpermute_b32 v2, v2, v3
	v_xor_b32_e32 v4, 8, v92
	v_cmp_lt_i32_e32 vcc, v4, v1
	s_mul_hi_i32 s17, s44, s2
	s_mul_i32 s16, s44, s2
	v_cndmask_b32_e32 v4, v92, v4, vcc
	s_waitcnt lgkmcnt(0)
	v_max_f32_e32 v2, v2, v2
	v_lshlrev_b32_e32 v4, 2, v4
	v_max_f32_e32 v2, v3, v2
	ds_bpermute_b32 v3, v4, v2
	v_xor_b32_e32 v4, 4, v92
	v_cmp_lt_i32_e32 vcc, v4, v1
	s_lshl_b64 s[16:17], s[16:17], 2
	s_waitcnt lgkmcnt(0)
	v_cndmask_b32_e32 v4, v92, v4, vcc
	v_max_f32_e32 v3, v3, v3
	v_lshlrev_b32_e32 v4, 2, v4
	v_max_f32_e32 v2, v2, v3
	ds_bpermute_b32 v3, v4, v2
	v_xor_b32_e32 v4, 2, v92
	v_cmp_lt_i32_e32 vcc, v4, v1
	s_barrier
	s_waitcnt lgkmcnt(0)
	v_cndmask_b32_e32 v4, v92, v4, vcc
	v_max_f32_e32 v3, v3, v3
	v_lshlrev_b32_e32 v4, 2, v4
	v_max_f32_e32 v2, v2, v3
	ds_bpermute_b32 v3, v4, v2
	v_xor_b32_e32 v4, 1, v92
	v_cmp_lt_i32_e32 vcc, v4, v1
	s_waitcnt lgkmcnt(0)
	v_max_f32_e32 v3, v3, v3
	v_cndmask_b32_e32 v1, v92, v4, vcc
	v_lshlrev_b32_e32 v1, 2, v1
	v_max_f32_e32 v2, v2, v3
	ds_bpermute_b32 v1, v1, v2
	s_waitcnt lgkmcnt(0)
	v_max_f32_e32 v1, v1, v1
	v_max_f32_e32 v81, v2, v1
	v_sub_f32_e32 v0, v0, v81
	v_mul_f32_e32 v1, 0x3fb8aa3b, v0
	v_fma_f32 v2, v0, s47, -v1
	v_rndne_f32_e32 v3, v1
	v_fmac_f32_e32 v2, 0x32a5705f, v0
	v_sub_f32_e32 v1, v1, v3
	v_add_f32_e32 v1, v1, v2
	v_exp_f32_e32 v1, v1
	v_cvt_i32_f32_e32 v2, v3
	v_cmp_ngt_f32_e32 vcc, s48, v0
	v_ldexp_f32 v1, v1, v2
	s_nop 0
	v_cndmask_b32_e32 v1, 0, v1, vcc
	v_cmp_nlt_f32_e32 vcc, s49, v0
	s_nop 1
	v_cndmask_b32_e32 v79, v93, v1, vcc
	v_cvt_f16_f32_e32 v0, v79
	ds_write_b16 v88, v0
	v_lshl_add_u64 v[0:1], v[42:43], 0, s[16:17]
	s_and_saveexec_b64 s[16:17], s[10:11]
	s_cbranch_execnz .LBB62_35
; %bb.26:                               ;   in Loop: Header=BB62_10 Depth=1
	s_or_b64 exec, exec, s[16:17]
	s_and_saveexec_b64 s[16:17], s[12:13]
	s_cbranch_execnz .LBB62_36
.LBB62_27:                              ;   in Loop: Header=BB62_10 Depth=1
	s_or_b64 exec, exec, s[16:17]
	v_lshlrev_b32_e32 v68, 2, v62
	s_and_saveexec_b64 s[16:17], s[14:15]
	s_cbranch_execz .LBB62_29
.LBB62_28:                              ;   in Loop: Header=BB62_10 Depth=1
	v_lshl_add_u64 v[0:1], v[64:65], 2, v[0:1]
	v_mov_b32_e32 v69, v53
	v_lshl_add_u64 v[0:1], v[0:1], 0, v[68:69]
	global_load_dwordx4 v[0:3], v[0:1], off
	s_waitcnt vmcnt(0)
	ds_write_b128 v91, v[0:3]
.LBB62_29:                              ;   in Loop: Header=BB62_10 Depth=1
	s_or_b64 exec, exec, s[16:17]
	s_waitcnt lgkmcnt(0)
	s_barrier
	ds_read2_b64 v[20:23], v63 offset1:28
	ds_read_b128 v[36:39], v57
	ds_read_b128 v[32:35], v57 offset:16
	ds_read2_b64 v[28:31], v63 offset0:56 offset1:84
	ds_read2_b64 v[24:27], v63 offset0:112 offset1:140
	;; [unrolled: 1-line block ×4, first 2 shown]
	v_add_u32_e32 v95, 0x800, v63
	v_sub_f32_e32 v96, v6, v81
	ds_read2_b64 v[12:15], v95 offset0:24 offset1:52
	ds_read2_b64 v[4:7], v95 offset0:80 offset1:108
	;; [unrolled: 1-line block ×3, first 2 shown]
	s_or_b32 s42, s44, 16
	s_mul_hi_i32 s43, s42, s2
	s_mul_i32 s42, s42, s2
	s_lshl_b64 s[42:43], s[42:43], 2
	v_cmp_ngt_f32_e32 vcc, s48, v96
	v_cmp_nlt_f32_e64 s[16:17], s49, v96
	v_lshl_add_u64 v[70:71], v[42:43], 0, s[42:43]
	s_waitcnt lgkmcnt(0)
	s_barrier
	s_and_saveexec_b64 s[42:43], s[10:11]
	s_cbranch_execnz .LBB62_37
; %bb.30:                               ;   in Loop: Header=BB62_10 Depth=1
	s_or_b64 exec, exec, s[42:43]
	s_and_saveexec_b64 s[42:43], s[12:13]
	s_cbranch_execnz .LBB62_38
.LBB62_31:                              ;   in Loop: Header=BB62_10 Depth=1
	s_or_b64 exec, exec, s[42:43]
	s_and_saveexec_b64 s[42:43], s[14:15]
	s_cbranch_execz .LBB62_33
.LBB62_32:                              ;   in Loop: Header=BB62_10 Depth=1
	v_lshl_add_u64 v[66:67], v[64:65], 2, v[70:71]
	v_mov_b32_e32 v69, v53
	v_lshl_add_u64 v[66:67], v[66:67], 0, v[68:69]
	global_load_dwordx4 v[66:69], v[66:67], off
	s_waitcnt vmcnt(0)
	ds_write_b128 v91, v[66:69]
.LBB62_33:                              ;   in Loop: Header=BB62_10 Depth=1
	s_or_b64 exec, exec, s[42:43]
	v_mul_f32_e32 v66, 0x3fb8aa3b, v96
	v_fma_f32 v67, v96, s47, -v66
	v_rndne_f32_e32 v68, v66
	v_fmac_f32_e32 v67, 0x32a5705f, v96
	v_sub_f32_e32 v66, v66, v68
	v_add_f32_e32 v66, v66, v67
	v_cvt_i32_f32_e32 v67, v68
	v_exp_f32_e32 v66, v66
	v_mul_u32_u24_sdwa v68, v36, s50 dst_sel:DWORD dst_unused:UNUSED_PAD src0_sel:WORD_0 src1_sel:DWORD
	v_pk_mul_f16 v20, v20, v68
	v_pk_mul_f16 v21, v21, v68
	v_ldexp_f32 v66, v66, v67
	v_cndmask_b32_e32 v66, 0, v66, vcc
	v_cndmask_b32_e64 v66, v93, v66, s[16:17]
	v_cvt_f16_f32_e32 v67, v66
	v_mul_u32_u24_sdwa v36, v36, s50 dst_sel:DWORD dst_unused:UNUSED_PAD src0_sel:WORD_1 src1_sel:DWORD
	v_mul_u32_u24_sdwa v69, v37, s50 dst_sel:DWORD dst_unused:UNUSED_PAD src0_sel:WORD_0 src1_sel:DWORD
	v_mul_u32_u24_sdwa v37, v37, s50 dst_sel:DWORD dst_unused:UNUSED_PAD src0_sel:WORD_1 src1_sel:DWORD
	v_mul_u32_u24_e32 v67, 0x10001, v67
	v_pk_fma_f16 v20, v73, v67, v20
	v_pk_fma_f16 v21, v72, v67, v21
	;; [unrolled: 1-line block ×6, first 2 shown]
	v_mul_u32_u24_sdwa v70, v38, s50 dst_sel:DWORD dst_unused:UNUSED_PAD src0_sel:WORD_0 src1_sel:DWORD
	v_pk_fma_f16 v20, v30, v37, v20
	v_pk_fma_f16 v21, v31, v37, v21
	v_mul_u32_u24_sdwa v38, v38, s50 dst_sel:DWORD dst_unused:UNUSED_PAD src0_sel:WORD_1 src1_sel:DWORD
	v_pk_fma_f16 v20, v24, v70, v20
	v_pk_fma_f16 v21, v25, v70, v21
	v_mul_u32_u24_sdwa v71, v39, s50 dst_sel:DWORD dst_unused:UNUSED_PAD src0_sel:WORD_0 src1_sel:DWORD
	v_pk_fma_f16 v20, v26, v38, v20
	v_pk_fma_f16 v21, v27, v38, v21
	v_mul_u32_u24_sdwa v39, v39, s50 dst_sel:DWORD dst_unused:UNUSED_PAD src0_sel:WORD_1 src1_sel:DWORD
	v_pk_fma_f16 v16, v16, v71, v20
	v_pk_fma_f16 v17, v17, v71, v21
	;; [unrolled: 6-line block ×5, first 2 shown]
	v_mul_u32_u24_sdwa v99, v35, s50 dst_sel:DWORD dst_unused:UNUSED_PAD src0_sel:WORD_0 src1_sel:DWORD
	v_pk_fma_f16 v4, v6, v34, v4
	v_pk_fma_f16 v5, v7, v34, v5
	;; [unrolled: 1-line block ×4, first 2 shown]
	s_waitcnt lgkmcnt(0)
	s_barrier
	ds_read_b128 v[4:7], v57 offset:32
	ds_read2_b64 v[8:11], v63 offset1:28
	v_mul_u32_u24_sdwa v35, v35, s50 dst_sel:DWORD dst_unused:UNUSED_PAD src0_sel:WORD_1 src1_sel:DWORD
	v_pk_fma_f16 v12, v2, v35, v0
	v_pk_fma_f16 v13, v3, v35, v1
	s_waitcnt lgkmcnt(1)
	v_mul_u32_u24_sdwa v14, v4, s50 dst_sel:DWORD dst_unused:UNUSED_PAD src0_sel:WORD_0 src1_sel:DWORD
	s_waitcnt lgkmcnt(0)
	v_pk_fma_f16 v8, v8, v14, v12
	v_pk_fma_f16 v9, v9, v14, v13
	ds_read2_b64 v[12:15], v63 offset0:56 offset1:84
	v_mul_u32_u24_sdwa v4, v4, s50 dst_sel:DWORD dst_unused:UNUSED_PAD src0_sel:WORD_1 src1_sel:DWORD
	v_pk_fma_f16 v8, v10, v4, v8
	v_pk_fma_f16 v4, v11, v4, v9
	v_mul_u32_u24_sdwa v9, v5, s50 dst_sel:DWORD dst_unused:UNUSED_PAD src0_sel:WORD_0 src1_sel:DWORD
	s_waitcnt lgkmcnt(0)
	v_pk_fma_f16 v12, v12, v9, v8
	v_pk_fma_f16 v4, v13, v9, v4
	ds_read2_b64 v[8:11], v63 offset0:112 offset1:140
	v_mul_u32_u24_sdwa v5, v5, s50 dst_sel:DWORD dst_unused:UNUSED_PAD src0_sel:WORD_1 src1_sel:DWORD
	v_pk_fma_f16 v12, v14, v5, v12
	v_pk_fma_f16 v4, v15, v5, v4
	v_mul_u32_u24_sdwa v5, v6, s50 dst_sel:DWORD dst_unused:UNUSED_PAD src0_sel:WORD_0 src1_sel:DWORD
	s_waitcnt lgkmcnt(0)
	v_pk_fma_f16 v8, v8, v5, v12
	ds_read2_b64 v[12:15], v63 offset0:168 offset1:196
	ds_read_b128 v[0:3], v57 offset:48
	v_pk_fma_f16 v4, v9, v5, v4
	v_mul_u32_u24_sdwa v5, v6, s50 dst_sel:DWORD dst_unused:UNUSED_PAD src0_sel:WORD_1 src1_sel:DWORD
	v_pk_fma_f16 v6, v10, v5, v8
	v_pk_fma_f16 v4, v11, v5, v4
	ds_read2_b64 v[8:11], v63 offset0:224 offset1:252
	v_mul_u32_u24_sdwa v5, v7, s50 dst_sel:DWORD dst_unused:UNUSED_PAD src0_sel:WORD_0 src1_sel:DWORD
	s_waitcnt lgkmcnt(2)
	v_pk_fma_f16 v6, v12, v5, v6
	v_pk_fma_f16 v4, v13, v5, v4
	v_mul_u32_u24_sdwa v5, v7, s50 dst_sel:DWORD dst_unused:UNUSED_PAD src0_sel:WORD_1 src1_sel:DWORD
	v_pk_fma_f16 v6, v14, v5, v6
	v_pk_fma_f16 v4, v15, v5, v4
	s_waitcnt lgkmcnt(1)
	v_mul_u32_u24_sdwa v5, v0, s50 dst_sel:DWORD dst_unused:UNUSED_PAD src0_sel:WORD_0 src1_sel:DWORD
	s_waitcnt lgkmcnt(0)
	v_pk_fma_f16 v8, v8, v5, v6
	v_pk_fma_f16 v9, v9, v5, v4
	ds_read2_b64 v[4:7], v95 offset0:24 offset1:52
	v_mul_u32_u24_sdwa v0, v0, s50 dst_sel:DWORD dst_unused:UNUSED_PAD src0_sel:WORD_1 src1_sel:DWORD
	v_pk_fma_f16 v8, v10, v0, v8
	v_pk_fma_f16 v0, v11, v0, v9
	v_mul_u32_u24_sdwa v9, v1, s50 dst_sel:DWORD dst_unused:UNUSED_PAD src0_sel:WORD_0 src1_sel:DWORD
	s_waitcnt lgkmcnt(0)
	v_pk_fma_f16 v4, v4, v9, v8
	v_pk_fma_f16 v0, v5, v9, v0
	ds_read2_b64 v[8:11], v95 offset0:80 offset1:108
	v_mul_u32_u24_sdwa v1, v1, s50 dst_sel:DWORD dst_unused:UNUSED_PAD src0_sel:WORD_1 src1_sel:DWORD
	v_pk_fma_f16 v4, v6, v1, v4
	v_pk_fma_f16 v0, v7, v1, v0
	v_mul_u32_u24_sdwa v1, v2, s50 dst_sel:DWORD dst_unused:UNUSED_PAD src0_sel:WORD_0 src1_sel:DWORD
	s_waitcnt lgkmcnt(0)
	v_pk_fma_f16 v4, v8, v1, v4
	v_pk_fma_f16 v0, v9, v1, v0
	v_mul_u32_u24_sdwa v1, v2, s50 dst_sel:DWORD dst_unused:UNUSED_PAD src0_sel:WORD_1 src1_sel:DWORD
	v_pk_fma_f16 v2, v10, v1, v4
	ds_read2_b64 v[4:7], v95 offset0:136 offset1:164
	s_waitcnt lgkmcnt(0)
	s_barrier
	s_load_dword s16, s[40:41], 0x4
	v_pk_fma_f16 v0, v11, v1, v0
	v_mul_u32_u24_sdwa v1, v3, s50 dst_sel:DWORD dst_unused:UNUSED_PAD src0_sel:WORD_0 src1_sel:DWORD
	v_pk_fma_f16 v2, v4, v1, v2
	v_pk_fma_f16 v0, v5, v1, v0
	s_waitcnt lgkmcnt(0)
	s_lshl_b32 s16, s16, 5
	v_mul_u32_u24_sdwa v1, v3, s50 dst_sel:DWORD dst_unused:UNUSED_PAD src0_sel:WORD_1 src1_sel:DWORD
	s_add_i32 s44, s16, s44
	v_fmac_f32_e32 v79, v94, v66
	v_pk_fma_f16 v73, v6, v1, v2
	s_cmp_lt_i32 s44, s46
	v_pk_fma_f16 v72, v7, v1, v0
	s_cbranch_scc0 .LBB62_40
; %bb.34:                               ;   in Loop: Header=BB62_10 Depth=1
	v_mov_b32_e32 v6, v81
	v_mov_b32_e32 v94, v79
	s_branch .LBB62_10
.LBB62_35:                              ;   in Loop: Header=BB62_10 Depth=1
	v_lshl_add_u64 v[2:3], v[58:59], 2, v[0:1]
	v_lshl_add_u64 v[2:3], v[2:3], 0, v[52:53]
	global_load_dwordx4 v[2:5], v[2:3], off offset:192
	s_waitcnt vmcnt(0)
	ds_write_b128 v89, v[2:5]
	s_or_b64 exec, exec, s[16:17]
	s_and_saveexec_b64 s[16:17], s[12:13]
	s_cbranch_execz .LBB62_27
.LBB62_36:                              ;   in Loop: Header=BB62_10 Depth=1
	v_lshl_add_u64 v[2:3], v[60:61], 2, v[0:1]
	v_mov_b32_e32 v67, v53
	v_lshl_add_u64 v[2:3], v[2:3], 0, v[66:67]
	global_load_dwordx4 v[2:5], v[2:3], off offset:128
	s_waitcnt vmcnt(0)
	ds_write_b128 v90, v[2:5]
	s_or_b64 exec, exec, s[16:17]
	v_lshlrev_b32_e32 v68, 2, v62
	s_and_saveexec_b64 s[16:17], s[14:15]
	s_cbranch_execnz .LBB62_28
	s_branch .LBB62_29
.LBB62_37:                              ;   in Loop: Header=BB62_10 Depth=1
	v_lshl_add_u64 v[98:99], v[58:59], 2, v[70:71]
	v_lshl_add_u64 v[98:99], v[98:99], 0, v[52:53]
	global_load_dwordx4 v[98:101], v[98:99], off offset:192
	s_waitcnt vmcnt(0)
	ds_write_b128 v89, v[98:101]
	s_or_b64 exec, exec, s[42:43]
	s_and_saveexec_b64 s[42:43], s[12:13]
	s_cbranch_execz .LBB62_31
.LBB62_38:                              ;   in Loop: Header=BB62_10 Depth=1
	v_lshl_add_u64 v[98:99], v[60:61], 2, v[70:71]
	v_mov_b32_e32 v67, v53
	v_lshl_add_u64 v[66:67], v[98:99], 0, v[66:67]
	global_load_dwordx4 v[98:101], v[66:67], off offset:128
	s_waitcnt vmcnt(0)
	ds_write_b128 v90, v[98:101]
	s_or_b64 exec, exec, s[42:43]
	s_and_saveexec_b64 s[42:43], s[14:15]
	s_cbranch_execnz .LBB62_32
	s_branch .LBB62_33
.LBB62_39:
	v_mov_b32_e32 v72, 0
	v_mov_b32_e32 v79, 0
	v_mov_b32_e32 v81, 0xfeffffff
	v_mov_b32_e32 v73, 0
.LBB62_40:
	s_cmp_gt_i32 s38, s44
	s_cbranch_scc1 .LBB62_43
; %bb.41:
	v_mbcnt_hi_u32_b32 v59, -1, v78
	v_and_b32_e32 v0, 0x60, v59
	v_add_u32_e32 v60, 32, v0
	v_xor_b32_e32 v61, 16, v59
	v_xor_b32_e32 v62, 8, v59
	;; [unrolled: 1-line block ×5, first 2 shown]
	s_cbranch_execz .LBB62_44
; %bb.42:
	v_mov_b32_e32 v48, v81
	s_branch .LBB62_74
.LBB62_43:
                                        ; implicit-def: $vgpr59
                                        ; implicit-def: $vgpr60
                                        ; implicit-def: $vgpr61
                                        ; implicit-def: $vgpr62
                                        ; implicit-def: $vgpr64
                                        ; implicit-def: $vgpr65
                                        ; implicit-def: $vgpr66
.LBB62_44:
	s_mul_hi_i32 s5, s44, s39
	s_mul_i32 s4, s44, s39
	s_lshl_b64 s[4:5], s[4:5], 2
	v_mul_lo_u32 v0, s39, v84
	s_sub_i32 s40, s38, s44
	v_lshl_add_u64 v[2:3], v[44:45], 0, s[4:5]
	v_ashrrev_i32_e32 v1, 31, v0
	s_mov_b64 s[14:15], src_private_base
	v_cmp_gt_u32_e64 s[8:9], 32, v84
	v_or_b32_e32 v11, 0x60, v80
	v_cmp_gt_i32_e64 s[6:7], s40, v84
	v_lshl_add_u64 v[4:5], v[0:1], 2, v[2:3]
	s_and_saveexec_b64 s[4:5], s[8:9]
	s_cbranch_execz .LBB62_46
; %bb.45:
	v_mov_b32_e32 v6, 0
	v_mov_b32_e32 v7, v6
	;; [unrolled: 1-line block ×3, first 2 shown]
	s_mov_b64 s[10:11], 0x60
	scratch_store_dword off, v6, off
	scratch_store_dwordx3 off, v[6:8], off offset:4
	v_lshl_add_u64 v[0:1], v[4:5], 0, s[10:11]
	s_nop 0
	v_mov_b32_e32 v6, s15
	v_cndmask_b32_e64 v1, v6, v1, s[6:7]
	v_mov_b32_e32 v6, 0
	v_cndmask_b32_e64 v0, v6, v0, s[6:7]
	flat_load_dwordx4 v[6:9], v[0:1]
	s_waitcnt vmcnt(0) lgkmcnt(0)
	ds_write_b128 v11, v[6:9]
.LBB62_46:
	s_or_b64 exec, exec, s[4:5]
	v_lshl_add_u32 v49, v74, 4, v83
	v_and_b32_e32 v10, 4, v75
	v_lshlrev_b32_e32 v0, 7, v49
	v_lshlrev_b32_e32 v44, 2, v10
	v_or3_b32 v12, v0, v44, 64
	v_mul_lo_u32 v0, s39, v49
	v_ashrrev_i32_e32 v1, 31, v0
	s_mov_b64 s[16:17], src_private_base
	v_cmp_gt_u32_e64 s[10:11], 32, v49
	v_cmp_gt_i32_e32 vcc, s40, v49
	v_lshl_add_u64 v[6:7], v[0:1], 2, v[2:3]
	s_and_saveexec_b64 s[4:5], s[10:11]
	s_cbranch_execz .LBB62_48
; %bb.47:
	v_mov_b32_e32 v14, 0
	v_mov_b32_e32 v45, v14
	v_lshl_add_u64 v[0:1], v[6:7], 0, v[44:45]
	v_lshl_add_u64 v[0:1], v[0:1], 0, 64
	v_mov_b32_e32 v8, s17
	v_mov_b32_e32 v15, v14
	;; [unrolled: 1-line block ×3, first 2 shown]
	v_cndmask_b32_e32 v1, v8, v1, vcc
	v_mov_b32_e32 v8, 0
	scratch_store_dword off, v14, off
	scratch_store_dwordx3 off, v[14:16], off offset:4
	v_cndmask_b32_e32 v0, v8, v0, vcc
	flat_load_dwordx4 v[14:17], v[0:1]
	s_waitcnt vmcnt(0) lgkmcnt(0)
	ds_write_b128 v12, v[14:17]
.LBB62_48:
	s_or_b64 exec, exec, s[4:5]
	v_lshl_add_u32 v58, v74, 3, v82
	v_and_b32_e32 v1, 12, v75
	v_mul_lo_u32 v8, s39, v58
	v_lshlrev_b32_e32 v46, 2, v1
	v_ashrrev_i32_e32 v9, 31, v8
	s_mov_b64 s[22:23], src_private_base
	v_cmp_gt_u32_e64 s[12:13], 32, v58
	v_mov_b32_e32 v0, 0
	v_lshl_or_b32 v13, v58, 7, v46
	v_cmp_gt_i32_e64 s[4:5], s40, v58
	v_lshl_add_u64 v[8:9], v[8:9], 2, v[2:3]
	s_and_saveexec_b64 s[38:39], s[12:13]
	s_cbranch_execz .LBB62_50
; %bb.49:
	v_mov_b32_e32 v1, v0
	v_mov_b32_e32 v2, v0
	;; [unrolled: 1-line block ×3, first 2 shown]
	scratch_store_dwordx3 off, v[0:2], off offset:4
	scratch_store_dword off, v0, off
	s_nop 0
	v_lshl_add_u64 v[2:3], v[8:9], 0, v[46:47]
	v_mov_b32_e32 v1, s23
	v_cndmask_b32_e64 v3, v1, v3, s[4:5]
	v_mov_b32_e32 v1, 0
	v_cndmask_b32_e64 v2, v1, v2, s[4:5]
	flat_load_dwordx4 v[14:17], v[2:3]
	s_waitcnt vmcnt(0) lgkmcnt(0)
	ds_write_b128 v13, v[14:17]
.LBB62_50:
	s_or_b64 exec, exec, s[38:39]
	s_waitcnt lgkmcnt(0)
	s_barrier
	ds_read_b128 v[14:17], v80
	ds_read_b128 v[18:21], v77
	s_waitcnt lgkmcnt(0)
	;;#ASMSTART
	v_dot2_f32_f16 v0, v14, v18, v0
	;;#ASMEND
	s_nop 0
	;;#ASMSTART
	v_dot2_f32_f16 v0, v15, v19, v0
	;;#ASMEND
	s_nop 0
	;;#ASMSTART
	v_dot2_f32_f16 v0, v16, v20, v0
	;;#ASMEND
	s_nop 0
	;;#ASMSTART
	v_dot2_f32_f16 v0, v17, v21, v0
	;;#ASMEND
	ds_read_b128 v[14:17], v80 offset:16
	ds_read_b128 v[18:21], v77 offset:16
	s_waitcnt lgkmcnt(0)
	;;#ASMSTART
	v_dot2_f32_f16 v0, v14, v18, v0
	;;#ASMEND
	s_nop 0
	;;#ASMSTART
	v_dot2_f32_f16 v0, v15, v19, v0
	;;#ASMEND
	s_nop 0
	;;#ASMSTART
	v_dot2_f32_f16 v0, v16, v20, v0
	;;#ASMEND
	s_nop 0
	;;#ASMSTART
	v_dot2_f32_f16 v0, v17, v21, v0
	;;#ASMEND
	ds_read_b128 v[14:17], v80 offset:32
	ds_read_b128 v[18:21], v77 offset:32
	s_waitcnt lgkmcnt(0)
	;;#ASMSTART
	v_dot2_f32_f16 v0, v14, v18, v0
	;;#ASMEND
	s_nop 0
	;;#ASMSTART
	v_dot2_f32_f16 v0, v15, v19, v0
	;;#ASMEND
	s_nop 0
	;;#ASMSTART
	v_dot2_f32_f16 v0, v16, v20, v0
	;;#ASMEND
	s_nop 0
	;;#ASMSTART
	v_dot2_f32_f16 v0, v17, v21, v0
	;;#ASMEND
	ds_read_b128 v[14:17], v80 offset:48
	ds_read_b128 v[18:21], v77 offset:48
	s_waitcnt lgkmcnt(0)
	;;#ASMSTART
	v_dot2_f32_f16 v0, v14, v18, v0
	;;#ASMEND
	s_nop 0
	;;#ASMSTART
	v_dot2_f32_f16 v0, v15, v19, v0
	;;#ASMEND
	s_nop 0
	;;#ASMSTART
	v_dot2_f32_f16 v0, v16, v20, v0
	;;#ASMEND
	s_nop 0
	;;#ASMSTART
	v_dot2_f32_f16 v0, v17, v21, v0
	;;#ASMEND
	ds_read_b128 v[14:17], v80 offset:64
	ds_read_b128 v[18:21], v77 offset:64
	s_waitcnt lgkmcnt(0)
	;;#ASMSTART
	v_dot2_f32_f16 v0, v14, v18, v0
	;;#ASMEND
	s_nop 0
	;;#ASMSTART
	v_dot2_f32_f16 v0, v15, v19, v0
	;;#ASMEND
	s_nop 0
	;;#ASMSTART
	v_dot2_f32_f16 v0, v16, v20, v0
	;;#ASMEND
	s_nop 0
	;;#ASMSTART
	v_dot2_f32_f16 v0, v17, v21, v0
	;;#ASMEND
	ds_read_b128 v[14:17], v80 offset:80
	ds_read_b128 v[18:21], v77 offset:80
	s_waitcnt lgkmcnt(0)
	;;#ASMSTART
	v_dot2_f32_f16 v0, v14, v18, v0
	;;#ASMEND
	s_nop 0
	;;#ASMSTART
	v_dot2_f32_f16 v0, v15, v19, v0
	;;#ASMEND
	s_nop 0
	;;#ASMSTART
	v_dot2_f32_f16 v0, v16, v20, v0
	;;#ASMEND
	s_nop 0
	;;#ASMSTART
	v_dot2_f32_f16 v0, v17, v21, v0
	;;#ASMEND
	ds_read_b128 v[14:17], v80 offset:96
	ds_read_b128 v[18:21], v77 offset:96
	s_waitcnt lgkmcnt(0)
	;;#ASMSTART
	v_dot2_f32_f16 v0, v14, v18, v0
	;;#ASMEND
	s_nop 0
	;;#ASMSTART
	v_dot2_f32_f16 v0, v15, v19, v0
	;;#ASMEND
	s_nop 0
	;; [unrolled: 4-line block ×3, first 2 shown]
	;;#ASMSTART
	v_dot2_f32_f16 v0, v17, v21, v0
	;;#ASMEND
	s_barrier
	s_and_saveexec_b64 s[38:39], s[8:9]
	s_cbranch_execnz .LBB62_57
; %bb.51:
	s_or_b64 exec, exec, s[38:39]
	s_and_saveexec_b64 s[6:7], s[10:11]
	s_cbranch_execnz .LBB62_58
.LBB62_52:
	s_or_b64 exec, exec, s[6:7]
	s_and_saveexec_b64 s[6:7], s[12:13]
	s_cbranch_execz .LBB62_54
.LBB62_53:
	v_mov_b32_e32 v2, 0
	v_mov_b32_e32 v3, v2
	;; [unrolled: 1-line block ×4, first 2 shown]
	scratch_store_dword off, v2, off
	scratch_store_dwordx3 off, v[2:4], off offset:4
	s_mov_b64 s[8:9], 0x70
	v_mov_b32_e32 v1, s23
	v_lshl_add_u64 v[2:3], v[8:9], 0, v[46:47]
	v_lshl_add_u64 v[2:3], v[2:3], 0, s[8:9]
	v_cndmask_b32_e64 v3, v1, v3, s[4:5]
	v_mov_b32_e32 v1, 0
	v_cndmask_b32_e64 v2, v1, v2, s[4:5]
	flat_load_dwordx4 v[2:5], v[2:3]
	s_waitcnt vmcnt(0) lgkmcnt(0)
	ds_write_b128 v13, v[2:5]
.LBB62_54:
	s_or_b64 exec, exec, s[6:7]
	s_waitcnt lgkmcnt(0)
	s_barrier
	ds_read_b128 v[2:5], v80
	ds_read_b128 v[6:9], v77 offset:112
	v_cmp_gt_i32_e64 s[6:7], s40, v40
	s_waitcnt lgkmcnt(0)
	;;#ASMSTART
	v_dot2_f32_f16 v0, v2, v6, v0
	;;#ASMEND
	s_nop 0
	;;#ASMSTART
	v_dot2_f32_f16 v0, v3, v7, v0
	;;#ASMEND
	v_mov_b32_e32 v1, v81
	;;#ASMSTART
	v_dot2_f32_f16 v0, v4, v8, v0
	;;#ASMEND
	s_nop 0
	;;#ASMSTART
	v_dot2_f32_f16 v0, v5, v9, v0
	;;#ASMEND
	ds_read_b128 v[2:5], v80 offset:16
	ds_read_b128 v[6:9], v77 offset:128
	s_waitcnt lgkmcnt(0)
	;;#ASMSTART
	v_dot2_f32_f16 v0, v2, v6, v0
	;;#ASMEND
	s_nop 0
	;;#ASMSTART
	v_dot2_f32_f16 v0, v3, v7, v0
	;;#ASMEND
	s_nop 0
	;;#ASMSTART
	v_dot2_f32_f16 v0, v4, v8, v0
	;;#ASMEND
	s_nop 0
	;;#ASMSTART
	v_dot2_f32_f16 v0, v5, v9, v0
	;;#ASMEND
	ds_read_b128 v[2:5], v80 offset:32
	ds_read_b128 v[6:9], v77 offset:144
	s_waitcnt lgkmcnt(0)
	;;#ASMSTART
	v_dot2_f32_f16 v0, v2, v6, v0
	;;#ASMEND
	s_nop 0
	;;#ASMSTART
	v_dot2_f32_f16 v0, v3, v7, v0
	;;#ASMEND
	s_nop 0
	;; [unrolled: 18-line block ×6, first 2 shown]
	;;#ASMSTART
	v_dot2_f32_f16 v0, v4, v8, v0
	;;#ASMEND
	s_nop 0
	;;#ASMSTART
	v_dot2_f32_f16 v0, v5, v9, v0
	;;#ASMEND
	s_and_saveexec_b64 s[8:9], s[6:7]
	s_cbranch_execz .LBB62_61
; %bb.55:
	s_cmp_eq_u64 s[36:37], 0
	s_cbranch_scc1 .LBB62_59
; %bb.56:
	v_mul_hi_u32 v1, s28, v41
	v_add_u32_e32 v1, v41, v1
	v_lshrrev_b32_e32 v1, s29, v1
	v_mul_lo_u32 v1, v1, s30
	v_sub_u32_e32 v1, v41, v1
	v_mul_lo_u32 v1, v1, s45
	v_add3_u32 v2, v1, v40, s44
	v_ashrrev_i32_e32 v3, 31, v2
	v_lshl_add_u64 v[2:3], v[2:3], 1, s[36:37]
	global_load_ushort v1, v[2:3], off
	s_waitcnt vmcnt(0)
	v_cvt_f32_f16_e32 v1, v1
	v_mul_f32_e32 v1, v51, v1
	s_branch .LBB62_60
.LBB62_57:
	s_mov_b64 s[8:9], 0xd0
	v_mov_b32_e32 v14, 0
	v_lshl_add_u64 v[2:3], v[4:5], 0, s[8:9]
	v_mov_b32_e32 v1, s15
	v_mov_b32_e32 v15, v14
	;; [unrolled: 1-line block ×3, first 2 shown]
	v_cndmask_b32_e64 v3, v1, v3, s[6:7]
	v_mov_b32_e32 v1, 0
	scratch_store_dword off, v14, off
	scratch_store_dwordx3 off, v[14:16], off offset:4
	v_cndmask_b32_e64 v2, v1, v2, s[6:7]
	flat_load_dwordx4 v[2:5], v[2:3]
	s_waitcnt vmcnt(0) lgkmcnt(0)
	ds_write_b128 v11, v[2:5]
	s_or_b64 exec, exec, s[38:39]
	s_and_saveexec_b64 s[6:7], s[10:11]
	s_cbranch_execz .LBB62_52
.LBB62_58:
	v_mov_b32_e32 v2, 0
	v_mov_b32_e32 v3, v2
	v_mov_b32_e32 v4, v2
	v_mov_b32_e32 v45, v2
	scratch_store_dword off, v2, off
	scratch_store_dwordx3 off, v[2:4], off offset:4
	s_mov_b64 s[8:9], 0xb0
	v_mov_b32_e32 v1, s17
	v_lshl_add_u64 v[2:3], v[6:7], 0, v[44:45]
	v_lshl_add_u64 v[2:3], v[2:3], 0, s[8:9]
	v_cndmask_b32_e32 v3, v1, v3, vcc
	v_mov_b32_e32 v1, 0
	v_cndmask_b32_e32 v2, v1, v2, vcc
	flat_load_dwordx4 v[2:5], v[2:3]
	s_waitcnt vmcnt(0) lgkmcnt(0)
	ds_write_b128 v12, v[2:5]
	s_or_b64 exec, exec, s[6:7]
	s_and_saveexec_b64 s[6:7], s[12:13]
	s_cbranch_execnz .LBB62_53
	s_branch .LBB62_54
.LBB62_59:
	v_mov_b32_e32 v1, 0
.LBB62_60:
	v_add_f32_e32 v0, v0, v1
	v_add_f32_e32 v1, 0x40051340, v0
	v_max_f32_e32 v2, v81, v81
	v_max_f32_e32 v1, v2, v1
.LBB62_61:
	s_or_b64 exec, exec, s[8:9]
	v_mbcnt_hi_u32_b32 v59, -1, v78
	v_and_b32_e32 v2, 0x60, v59
	v_add_u32_e32 v60, 32, v2
	v_xor_b32_e32 v61, 16, v59
	v_cmp_lt_i32_e64 s[6:7], v61, v60
	v_xor_b32_e32 v62, 8, v59
	v_xor_b32_e32 v64, 4, v59
	v_cndmask_b32_e64 v2, v59, v61, s[6:7]
	v_lshlrev_b32_e32 v2, 2, v2
	ds_bpermute_b32 v2, v2, v1
	v_cmp_lt_i32_e64 s[6:7], v62, v60
	v_max_f32_e32 v1, v1, v1
	v_xor_b32_e32 v65, 2, v59
	v_cndmask_b32_e64 v3, v59, v62, s[6:7]
	s_waitcnt lgkmcnt(0)
	v_max_f32_e32 v2, v2, v2
	v_lshlrev_b32_e32 v3, 2, v3
	v_max_f32_e32 v1, v1, v2
	ds_bpermute_b32 v2, v3, v1
	v_cmp_lt_i32_e64 s[6:7], v64, v60
	v_xor_b32_e32 v66, 1, v59
	s_waitcnt lgkmcnt(0)
	v_cndmask_b32_e64 v3, v59, v64, s[6:7]
	v_max_f32_e32 v2, v2, v2
	v_lshlrev_b32_e32 v3, 2, v3
	v_max_f32_e32 v1, v1, v2
	ds_bpermute_b32 v2, v3, v1
	v_cmp_lt_i32_e64 s[6:7], v65, v60
	s_barrier
	s_waitcnt lgkmcnt(0)
	v_cndmask_b32_e64 v3, v59, v65, s[6:7]
	v_max_f32_e32 v2, v2, v2
	v_lshlrev_b32_e32 v3, 2, v3
	v_max_f32_e32 v1, v1, v2
	ds_bpermute_b32 v2, v3, v1
	v_cmp_lt_i32_e64 s[6:7], v66, v60
	s_mul_hi_i32 s9, s44, s2
	s_mul_i32 s8, s44, s2
	v_cndmask_b32_e64 v3, v59, v66, s[6:7]
	s_waitcnt lgkmcnt(0)
	v_max_f32_e32 v2, v2, v2
	v_lshlrev_b32_e32 v3, 2, v3
	v_max_f32_e32 v1, v1, v2
	ds_bpermute_b32 v2, v3, v1
	s_mov_b32 s6, 0x3fb8aa3b
	v_mul_lo_u32 v50, s2, v49
	s_lshl_b64 s[8:9], s[8:9], 2
	s_mov_b64 s[10:11], src_private_base
	s_waitcnt lgkmcnt(0)
	v_max_f32_e32 v2, v2, v2
	v_max_f32_e32 v48, v1, v2
	v_sub_f32_e32 v0, v0, v48
	v_mul_f32_e32 v1, 0x3fb8aa3b, v0
	v_fma_f32 v2, v0, s6, -v1
	v_rndne_f32_e32 v3, v1
	v_fmamk_f32 v2, v0, 0x32a5705f, v2
	v_sub_f32_e32 v1, v1, v3
	v_add_f32_e32 v1, v1, v2
	v_exp_f32_e32 v1, v1
	v_cvt_i32_f32_e32 v2, v3
	s_mov_b32 s6, 0xc2ce8ed0
	v_cmp_ngt_f32_e64 s[6:7], s6, v0
	v_ashrrev_i32_e32 v51, 31, v50
	v_ldexp_f32 v1, v1, v2
	v_cndmask_b32_e64 v1, 0, v1, s[6:7]
	s_mov_b32 s6, 0x42b17218
	v_mov_b32_e32 v2, 0x7f800000
	v_cmp_nlt_f32_e64 s[6:7], s6, v0
	v_lshl_add_u64 v[4:5], v[42:43], 0, s[8:9]
	s_nop 0
	v_cndmask_b32_e64 v0, v2, v1, s[6:7]
	v_cmp_gt_u32_e64 s[6:7], s40, v40
	v_mov_b32_e32 v1, 0x1740
	v_lshl_add_u32 v68, v74, 6, v1
	v_cndmask_b32_e64 v67, 0, v0, s[6:7]
	v_cvt_f16_f32_e32 v0, v67
	v_lshl_add_u32 v1, v40, 1, v68
	v_cmp_gt_u32_e64 s[6:7], 16, v49
	ds_write_b16 v1, v0
	v_mul_u32_u24_e32 v0, 0xe0, v49
	v_lshl_or_b32 v0, v10, 2, v0
	v_add_u32_e32 v69, 0xc0, v0
	s_and_saveexec_b64 s[8:9], s[6:7]
	s_cbranch_execz .LBB62_63
; %bb.62:
	v_mov_b32_e32 v0, 0
	v_mov_b32_e32 v1, v0
	;; [unrolled: 1-line block ×3, first 2 shown]
	scratch_store_dwordx3 off, v[0:2], off offset:4
	v_mov_b32_e32 v45, v0
	scratch_store_dword off, v0, off
	v_lshl_add_u64 v[2:3], v[50:51], 2, v[4:5]
	v_lshl_add_u64 v[0:1], v[2:3], 0, v[44:45]
	s_mov_b64 s[12:13], 0xc0
	v_lshl_add_u64 v[0:1], v[0:1], 0, s[12:13]
	v_mov_b32_e32 v2, s11
	v_cndmask_b32_e32 v1, v2, v1, vcc
	v_mov_b32_e32 v2, 0
	v_cndmask_b32_e32 v0, v2, v0, vcc
	flat_load_dwordx4 v[0:3], v[0:1]
	s_waitcnt vmcnt(0) lgkmcnt(0)
	ds_write_b128 v69, v[0:3]
.LBB62_63:
	s_or_b64 exec, exec, s[8:9]
	v_mul_u32_u24_e32 v0, 0xe0, v58
	s_movk_i32 s10, 0x80
	v_mul_lo_u32 v56, s2, v58
	s_mov_b64 s[14:15], src_private_base
	v_cmp_gt_u32_e64 s[8:9], 16, v58
	v_add3_u32 v77, v0, v46, s10
	v_ashrrev_i32_e32 v57, 31, v56
	s_and_saveexec_b64 s[12:13], s[8:9]
	s_cbranch_execz .LBB62_65
; %bb.64:
	v_mov_b32_e32 v0, 0
	v_mov_b32_e32 v1, v0
	;; [unrolled: 1-line block ×3, first 2 shown]
	scratch_store_dwordx3 off, v[0:2], off offset:4
	v_mov_b32_e32 v47, v0
	scratch_store_dword off, v0, off
	v_lshl_add_u64 v[2:3], v[56:57], 2, v[4:5]
	v_lshl_add_u64 v[0:1], v[2:3], 0, v[46:47]
	s_mov_b64 s[16:17], 0x80
	v_lshl_add_u64 v[0:1], v[0:1], 0, s[16:17]
	v_mov_b32_e32 v2, s15
	v_cndmask_b32_e64 v1, v2, v1, s[4:5]
	v_mov_b32_e32 v2, 0
	v_cndmask_b32_e64 v0, v2, v0, s[4:5]
	flat_load_dwordx4 v[0:3], v[0:1]
	s_waitcnt vmcnt(0) lgkmcnt(0)
	ds_write_b128 v77, v[0:3]
.LBB62_65:
	s_or_b64 exec, exec, s[12:13]
	v_lshl_add_u32 v70, v74, 2, v76
	v_and_b32_e32 v1, 28, v75
	v_lshlrev_b32_e32 v52, 2, v1
	s_movk_i32 s4, 0xe0
	v_mul_lo_u32 v54, s2, v70
	s_mov_b64 s[12:13], src_private_base
	v_cmp_gt_u32_e32 vcc, 16, v70
	v_mov_b32_e32 v0, 0
	v_mad_u32_u24 v71, v70, s4, v52
	v_ashrrev_i32_e32 v55, 31, v54
	s_and_saveexec_b64 s[16:17], vcc
	s_cbranch_execz .LBB62_67
; %bb.66:
	v_mov_b32_e32 v1, v0
	v_mov_b32_e32 v2, v0
	scratch_store_dwordx3 off, v[0:2], off offset:4
	v_mov_b32_e32 v53, v0
	scratch_store_dword off, v0, off
	v_lshl_add_u64 v[2:3], v[54:55], 2, v[4:5]
	v_lshl_add_u64 v[0:1], v[2:3], 0, v[52:53]
	v_mov_b32_e32 v2, s13
	v_cmp_gt_i32_e64 s[4:5], s40, v70
	s_nop 1
	v_cndmask_b32_e64 v1, v2, v1, s[4:5]
	v_mov_b32_e32 v2, 0
	v_cndmask_b32_e64 v0, v2, v0, s[4:5]
	flat_load_dwordx4 v[0:3], v[0:1]
	s_waitcnt vmcnt(0) lgkmcnt(0)
	ds_write_b128 v71, v[0:3]
.LBB62_67:
	s_or_b64 exec, exec, s[16:17]
	v_sub_f32_e32 v0, v81, v48
	s_mov_b32 s4, 0x3fb8aa3b
	v_mul_f32_e32 v1, 0x3fb8aa3b, v0
	v_fma_f32 v2, v0, s4, -v1
	v_rndne_f32_e32 v3, v1
	v_fmamk_f32 v2, v0, 0x32a5705f, v2
	v_sub_f32_e32 v1, v1, v3
	v_add_f32_e32 v1, v1, v2
	v_exp_f32_e32 v1, v1
	v_cvt_i32_f32_e32 v2, v3
	s_mov_b32 s4, 0xc2ce8ed0
	s_waitcnt lgkmcnt(0)
	s_barrier
	ds_read2_b64 v[20:23], v63 offset1:28
	ds_read_b128 v[36:39], v68
	ds_read_b128 v[32:35], v68 offset:16
	ds_read2_b64 v[28:31], v63 offset0:56 offset1:84
	ds_read2_b64 v[24:27], v63 offset0:112 offset1:140
	;; [unrolled: 1-line block ×4, first 2 shown]
	v_ldexp_f32 v1, v1, v2
	v_cmp_ngt_f32_e64 s[4:5], s4, v0
	v_mov_b32_e32 v2, 0x7f800000
	s_add_i32 s40, s40, -16
	v_cndmask_b32_e64 v1, 0, v1, s[4:5]
	s_mov_b32 s4, 0x42b17218
	v_cmp_nlt_f32_e64 s[4:5], s4, v0
	v_add_u32_e32 v0, 0x800, v63
	s_nop 0
	v_cndmask_b32_e64 v74, v2, v1, s[4:5]
	ds_read2_b64 v[12:15], v0 offset0:24 offset1:52
	ds_read2_b64 v[4:7], v0 offset0:80 offset1:108
	;; [unrolled: 1-line block ×3, first 2 shown]
	v_cvt_f16_f32_e32 v53, v74
	s_or_b32 s4, s44, 16
	s_mul_hi_i32 s5, s4, s2
	s_mul_i32 s4, s4, s2
	s_lshl_b64 s[4:5], s[4:5], 2
	v_lshl_add_u64 v[42:43], v[42:43], 0, s[4:5]
	s_waitcnt lgkmcnt(0)
	s_barrier
	s_and_saveexec_b64 s[16:17], s[6:7]
	s_cbranch_execz .LBB62_69
; %bb.68:
	v_mov_b32_e32 v80, 0
	v_lshl_add_u64 v[50:51], v[50:51], 2, v[42:43]
	v_mov_b32_e32 v45, v80
	v_lshl_add_u64 v[44:45], v[50:51], 0, v[44:45]
	s_mov_b64 s[4:5], 0xc0
	v_lshl_add_u64 v[44:45], v[44:45], 0, s[4:5]
	v_mov_b32_e32 v47, s11
	v_cmp_gt_i32_e64 s[4:5], s40, v49
	v_mov_b32_e32 v81, v80
	v_mov_b32_e32 v82, v80
	v_cndmask_b32_e64 v45, v47, v45, s[4:5]
	v_mov_b32_e32 v47, 0
	scratch_store_dword off, v80, off
	scratch_store_dwordx3 off, v[80:82], off offset:4
	v_cndmask_b32_e64 v44, v47, v44, s[4:5]
	flat_load_dwordx4 v[80:83], v[44:45]
	s_waitcnt vmcnt(0) lgkmcnt(0)
	ds_write_b128 v69, v[80:83]
.LBB62_69:
	s_or_b64 exec, exec, s[16:17]
	s_mov_b32 s2, 0x10001
	s_and_saveexec_b64 s[6:7], s[8:9]
	s_cbranch_execz .LBB62_71
; %bb.70:
	v_mov_b32_e32 v80, 0
	v_lshl_add_u64 v[44:45], v[56:57], 2, v[42:43]
	v_mov_b32_e32 v47, v80
	v_lshl_add_u64 v[44:45], v[44:45], 0, v[46:47]
	s_mov_b64 s[4:5], 0x80
	v_lshl_add_u64 v[44:45], v[44:45], 0, s[4:5]
	v_mov_b32_e32 v46, s15
	v_cmp_gt_i32_e64 s[4:5], s40, v58
	v_mov_b32_e32 v81, v80
	v_mov_b32_e32 v82, v80
	v_cndmask_b32_e64 v45, v46, v45, s[4:5]
	v_mov_b32_e32 v46, 0
	scratch_store_dword off, v80, off
	scratch_store_dwordx3 off, v[80:82], off offset:4
	v_cndmask_b32_e64 v44, v46, v44, s[4:5]
	flat_load_dwordx4 v[44:47], v[44:45]
	s_waitcnt vmcnt(0) lgkmcnt(0)
	ds_write_b128 v77, v[44:47]
.LBB62_71:
	s_or_b64 exec, exec, s[6:7]
	v_mul_u32_u24_e32 v56, 0x10001, v53
	v_mul_u32_u24_sdwa v58, v36, s2 dst_sel:DWORD dst_unused:UNUSED_PAD src0_sel:WORD_0 src1_sel:DWORD
	v_mul_u32_u24_sdwa v57, v36, s2 dst_sel:DWORD dst_unused:UNUSED_PAD src0_sel:WORD_1 src1_sel:DWORD
	v_mul_u32_u24_sdwa v51, v37, s2 dst_sel:DWORD dst_unused:UNUSED_PAD src0_sel:WORD_0 src1_sel:DWORD
	v_mul_u32_u24_sdwa v50, v37, s2 dst_sel:DWORD dst_unused:UNUSED_PAD src0_sel:WORD_1 src1_sel:DWORD
	;; [unrolled: 2-line block ×8, first 2 shown]
	s_and_saveexec_b64 s[4:5], vcc
	s_cbranch_execz .LBB62_73
; %bb.72:
	v_mov_b32_e32 v76, 0
	v_lshl_add_u64 v[42:43], v[54:55], 2, v[42:43]
	v_mov_b32_e32 v53, v76
	v_lshl_add_u64 v[42:43], v[42:43], 0, v[52:53]
	v_mov_b32_e32 v35, s13
	v_cmp_gt_i32_e32 vcc, s40, v70
	v_mov_b32_e32 v77, v76
	v_mov_b32_e32 v78, v76
	v_cndmask_b32_e32 v43, v35, v43, vcc
	v_mov_b32_e32 v35, 0
	scratch_store_dword off, v76, off
	scratch_store_dwordx3 off, v[76:78], off offset:4
	v_cndmask_b32_e32 v42, v35, v42, vcc
	flat_load_dwordx4 v[52:55], v[42:43]
	s_waitcnt vmcnt(0) lgkmcnt(0)
	ds_write_b128 v71, v[52:55]
.LBB62_73:
	s_or_b64 exec, exec, s[4:5]
	v_pk_mul_f16 v20, v20, v58
	v_pk_mul_f16 v21, v21, v58
	v_pk_fma_f16 v20, v73, v56, v20
	v_pk_fma_f16 v21, v72, v56, v21
	;; [unrolled: 1-line block ×32, first 2 shown]
	s_waitcnt lgkmcnt(0)
	s_barrier
	ds_read_b128 v[0:3], v68 offset:32
	ds_read2_b64 v[4:7], v63 offset1:28
	ds_read_b128 v[8:11], v68 offset:48
	v_fmac_f32_e32 v67, v79, v74
	v_mov_b32_e32 v79, v67
	s_waitcnt lgkmcnt(2)
	v_mul_u32_u24_sdwa v14, v0, s2 dst_sel:DWORD dst_unused:UNUSED_PAD src0_sel:WORD_0 src1_sel:DWORD
	s_waitcnt lgkmcnt(1)
	v_pk_fma_f16 v4, v4, v14, v12
	v_pk_fma_f16 v5, v5, v14, v13
	ds_read2_b64 v[12:15], v63 offset0:56 offset1:84
	v_mul_u32_u24_sdwa v0, v0, s2 dst_sel:DWORD dst_unused:UNUSED_PAD src0_sel:WORD_1 src1_sel:DWORD
	v_pk_fma_f16 v4, v6, v0, v4
	v_pk_fma_f16 v0, v7, v0, v5
	v_mul_u32_u24_sdwa v5, v1, s2 dst_sel:DWORD dst_unused:UNUSED_PAD src0_sel:WORD_0 src1_sel:DWORD
	s_waitcnt lgkmcnt(0)
	v_pk_fma_f16 v12, v12, v5, v4
	v_pk_fma_f16 v0, v13, v5, v0
	ds_read2_b64 v[4:7], v63 offset0:112 offset1:140
	v_mul_u32_u24_sdwa v1, v1, s2 dst_sel:DWORD dst_unused:UNUSED_PAD src0_sel:WORD_1 src1_sel:DWORD
	v_pk_fma_f16 v12, v14, v1, v12
	v_pk_fma_f16 v0, v15, v1, v0
	v_mul_u32_u24_sdwa v1, v2, s2 dst_sel:DWORD dst_unused:UNUSED_PAD src0_sel:WORD_0 src1_sel:DWORD
	s_waitcnt lgkmcnt(0)
	v_pk_fma_f16 v4, v4, v1, v12
	ds_read2_b64 v[12:15], v63 offset0:168 offset1:196
	v_pk_fma_f16 v0, v5, v1, v0
	v_mul_u32_u24_sdwa v1, v2, s2 dst_sel:DWORD dst_unused:UNUSED_PAD src0_sel:WORD_1 src1_sel:DWORD
	v_pk_fma_f16 v2, v6, v1, v4
	v_pk_fma_f16 v0, v7, v1, v0
	ds_read2_b64 v[4:7], v63 offset0:224 offset1:252
	v_mul_u32_u24_sdwa v1, v3, s2 dst_sel:DWORD dst_unused:UNUSED_PAD src0_sel:WORD_0 src1_sel:DWORD
	s_waitcnt lgkmcnt(1)
	v_pk_fma_f16 v2, v12, v1, v2
	v_pk_fma_f16 v0, v13, v1, v0
	v_mul_u32_u24_sdwa v1, v3, s2 dst_sel:DWORD dst_unused:UNUSED_PAD src0_sel:WORD_1 src1_sel:DWORD
	v_pk_fma_f16 v2, v14, v1, v2
	v_pk_fma_f16 v0, v15, v1, v0
	v_mul_u32_u24_sdwa v1, v8, s2 dst_sel:DWORD dst_unused:UNUSED_PAD src0_sel:WORD_0 src1_sel:DWORD
	v_add_u32_e32 v12, 0x800, v63
	s_waitcnt lgkmcnt(0)
	v_pk_fma_f16 v4, v4, v1, v2
	v_pk_fma_f16 v5, v5, v1, v0
	ds_read2_b64 v[0:3], v12 offset0:24 offset1:52
	v_mul_u32_u24_sdwa v8, v8, s2 dst_sel:DWORD dst_unused:UNUSED_PAD src0_sel:WORD_1 src1_sel:DWORD
	v_pk_fma_f16 v4, v6, v8, v4
	v_pk_fma_f16 v5, v7, v8, v5
	v_mul_u32_u24_sdwa v6, v9, s2 dst_sel:DWORD dst_unused:UNUSED_PAD src0_sel:WORD_0 src1_sel:DWORD
	s_waitcnt lgkmcnt(0)
	v_pk_fma_f16 v0, v0, v6, v4
	v_pk_fma_f16 v1, v1, v6, v5
	ds_read2_b64 v[4:7], v12 offset0:80 offset1:108
	v_mul_u32_u24_sdwa v8, v9, s2 dst_sel:DWORD dst_unused:UNUSED_PAD src0_sel:WORD_1 src1_sel:DWORD
	v_pk_fma_f16 v0, v2, v8, v0
	v_pk_fma_f16 v1, v3, v8, v1
	v_mul_u32_u24_sdwa v2, v10, s2 dst_sel:DWORD dst_unused:UNUSED_PAD src0_sel:WORD_0 src1_sel:DWORD
	;; [unrolled: 8-line block ×3, first 2 shown]
	s_waitcnt lgkmcnt(0)
	v_pk_fma_f16 v0, v0, v6, v4
	v_pk_fma_f16 v1, v1, v6, v5
	v_mul_u32_u24_sdwa v4, v11, s2 dst_sel:DWORD dst_unused:UNUSED_PAD src0_sel:WORD_1 src1_sel:DWORD
	v_pk_fma_f16 v73, v2, v4, v0
	v_pk_fma_f16 v72, v3, v4, v1
	s_barrier
.LBB62_74:
	v_cmp_lt_i32_e32 vcc, v61, v60
	s_cmp_eq_u64 s[20:21], 0
	s_cselect_b64 s[4:5], -1, 0
	v_cndmask_b32_e32 v0, v59, v61, vcc
	v_lshlrev_b32_e32 v0, 2, v0
	ds_bpermute_b32 v0, v0, v79
	v_cmp_lt_i32_e32 vcc, v62, v60
	s_cmp_lg_u32 s3, 0
	s_cselect_b64 s[6:7], -1, 0
	v_cndmask_b32_e32 v1, v59, v62, vcc
	v_lshlrev_b32_e32 v1, 2, v1
	s_waitcnt lgkmcnt(0)
	v_add_f32_e32 v0, v79, v0
	ds_bpermute_b32 v1, v1, v0
	v_cmp_lt_i32_e32 vcc, v64, v60
	s_or_b64 s[4:5], s[6:7], s[4:5]
	s_waitcnt lgkmcnt(0)
	v_add_f32_e32 v0, v0, v1
	v_cndmask_b32_e32 v2, v59, v64, vcc
	v_lshlrev_b32_e32 v2, 2, v2
	ds_bpermute_b32 v1, v2, v0
	v_cmp_lt_i32_e32 vcc, v65, v60
	s_waitcnt lgkmcnt(0)
	v_add_f32_e32 v0, v0, v1
	v_cndmask_b32_e32 v2, v59, v65, vcc
	v_lshlrev_b32_e32 v2, 2, v2
	ds_bpermute_b32 v1, v2, v0
	v_cmp_lt_i32_e32 vcc, v66, v60
	s_waitcnt lgkmcnt(0)
	v_add_f32_e32 v0, v0, v1
	v_cndmask_b32_e32 v2, v59, v66, vcc
	v_lshlrev_b32_e32 v2, 2, v2
	ds_bpermute_b32 v1, v2, v0
	s_and_b64 vcc, exec, s[4:5]
	s_waitcnt lgkmcnt(0)
	v_add_f32_e32 v49, v0, v1
	s_cbranch_vccnz .LBB62_77
; %bb.75:
	s_lshl_b64 s[4:5], s[34:35], 2
	s_add_u32 s4, s20, s4
	s_addc_u32 s5, s21, s5
	v_mov_b32_e32 v0, 0
	global_load_dword v1, v0, s[4:5]
	v_max_f32_e32 v0, v48, v48
	s_mov_b32 s2, 0x3fb8aa3b
	s_mov_b32 s4, 0xc2ce8ed0
	s_waitcnt vmcnt(0)
	v_max_f32_e32 v2, v1, v1
	v_max_f32_e32 v0, v0, v2
	v_sub_f32_e32 v2, v48, v0
	v_sub_f32_e32 v1, v1, v0
	v_mul_f32_e32 v3, 0x3fb8aa3b, v2
	v_mul_f32_e32 v4, 0x3fb8aa3b, v1
	v_fma_f32 v5, v2, s2, -v3
	v_rndne_f32_e32 v6, v3
	v_fma_f32 v7, v1, s2, -v4
	v_rndne_f32_e32 v8, v4
	v_fmac_f32_e32 v5, 0x32a5705f, v2
	v_sub_f32_e32 v3, v3, v6
	v_fmac_f32_e32 v7, 0x32a5705f, v1
	v_sub_f32_e32 v4, v4, v8
	v_add_f32_e32 v3, v3, v5
	v_cvt_i32_f32_e32 v6, v6
	v_add_f32_e32 v4, v4, v7
	v_exp_f32_e32 v3, v3
	v_cvt_i32_f32_e32 v8, v8
	v_exp_f32_e32 v4, v4
	v_cmp_ngt_f32_e32 vcc, s4, v2
	v_ldexp_f32 v3, v3, v6
	s_mov_b32 s2, 0x42b17218
	v_ldexp_f32 v4, v4, v8
	v_cndmask_b32_e32 v3, 0, v3, vcc
	v_cmp_ngt_f32_e32 vcc, s4, v1
	v_mov_b32_e32 v5, 0x7f800000
	s_nop 0
	v_cndmask_b32_e32 v4, 0, v4, vcc
	v_cmp_nlt_f32_e32 vcc, s2, v2
	s_nop 1
	v_cndmask_b32_e32 v2, v5, v3, vcc
	v_cvt_f16_f32_e32 v3, v2
	v_cmp_nlt_f32_e32 vcc, s2, v1
	s_nop 1
	v_cndmask_b32_e32 v1, v5, v4, vcc
	v_fmac_f32_e32 v1, v49, v2
	v_mul_u32_u24_e32 v2, 0x10001, v3
	v_pk_mul_f16 v73, v73, v2
	v_pk_mul_f16 v72, v72, v2
	v_mov_b64_e32 v[48:49], v[0:1]
	v_cmp_gt_i32_e32 vcc, s30, v41
	s_and_saveexec_b64 s[4:5], vcc
	s_cbranch_execnz .LBB62_78
.LBB62_76:
	s_endpgm
.LBB62_77:
	v_mov_b32_e32 v1, v49
	v_cmp_gt_i32_e32 vcc, s30, v41
	s_and_saveexec_b64 s[4:5], vcc
	s_cbranch_execz .LBB62_76
.LBB62_78:
	s_load_dword s2, s[0:1], 0xd4
	s_mul_i32 s33, s33, s30
	v_add_u32_e32 v0, s33, v41
	v_mul_lo_u32 v0, v0, s31
	v_add_u32_e32 v0, s34, v0
	s_waitcnt lgkmcnt(0)
	s_cmp_lg_u32 s2, 1
	v_mul_lo_u32 v0, s2, v0
	s_cselect_b64 s[0:1], -1, 0
	v_add_u32_e32 v0, s3, v0
	s_and_saveexec_b64 s[2:3], s[18:19]
	s_cbranch_execz .LBB62_80
; %bb.79:
	v_div_scale_f32 v4, s[4:5], v1, v1, 1.0
	v_rcp_f32_e32 v5, v4
	v_cvt_f32_f16_sdwa v9, v73 dst_sel:DWORD dst_unused:UNUSED_PAD src0_sel:WORD_1
	v_cvt_f32_f16_sdwa v11, v72 dst_sel:DWORD dst_unused:UNUSED_PAD src0_sel:WORD_1
	v_cvt_f32_f16_e32 v10, v72
	v_fma_f32 v6, -v4, v5, 1.0
	v_fmac_f32_e32 v5, v6, v5
	v_div_scale_f32 v6, vcc, 1.0, v1, 1.0
	v_mul_f32_e32 v7, v6, v5
	v_fma_f32 v8, -v4, v7, v6
	v_fmac_f32_e32 v7, v8, v5
	v_fma_f32 v4, -v4, v7, v6
	v_div_fmas_f32 v4, v4, v5, v7
	v_cvt_f32_f16_e32 v8, v73
	v_div_fixup_f32 v1, v4, v1, 1.0
	s_movk_i32 s4, 0x70
	v_cndmask_b32_e64 v4, v1, 1.0, s[0:1]
	v_mul_lo_u32 v1, v0, s4
	v_mov_b32_e32 v2, s24
	v_mov_b32_e32 v3, s25
	v_lshl_add_u32 v6, v40, 2, v1
	v_mov_b32_e32 v7, 0
	v_lshl_add_u64 v[6:7], v[6:7], 2, v[2:3]
	v_pk_mul_f32 v[2:3], v[4:5], v[8:9] op_sel_hi:[0,1]
	v_pk_mul_f32 v[4:5], v[4:5], v[10:11] op_sel_hi:[0,1]
	global_store_dwordx4 v[6:7], v[2:5], off
.LBB62_80:
	s_or_b64 exec, exec, s[2:3]
	v_cmp_eq_u32_e32 vcc, 0, v40
	s_and_b64 s[0:1], vcc, s[0:1]
	s_and_b64 exec, exec, s[0:1]
	s_cbranch_execz .LBB62_76
; %bb.81:
	v_mov_b32_e32 v2, s26
	v_mov_b32_e32 v3, s27
	v_ashrrev_i32_e32 v1, 31, v0
	v_lshl_add_u64 v[0:1], v[0:1], 3, v[2:3]
	global_store_dwordx2 v[0:1], v[48:49], off
	s_endpgm
	.section	.rodata,"a",@progbits
	.p2align	6, 0x0
	.amdhsa_kernel _ZL15flash_attn_tileILi112ELi112ELi8ELi1ELb0EEvPKcS1_S1_S1_S1_PKiPfP15HIP_vector_typeIfLj2EEffffjfiS5_IjLj3EEiiiiiiiiiiiliiliiiiil
		.amdhsa_group_segment_fixed_size 6464
		.amdhsa_private_segment_fixed_size 32
		.amdhsa_kernarg_size 464
		.amdhsa_user_sgpr_count 2
		.amdhsa_user_sgpr_dispatch_ptr 0
		.amdhsa_user_sgpr_queue_ptr 0
		.amdhsa_user_sgpr_kernarg_segment_ptr 1
		.amdhsa_user_sgpr_dispatch_id 0
		.amdhsa_user_sgpr_kernarg_preload_length 0
		.amdhsa_user_sgpr_kernarg_preload_offset 0
		.amdhsa_user_sgpr_private_segment_size 0
		.amdhsa_uses_dynamic_stack 0
		.amdhsa_enable_private_segment 1
		.amdhsa_system_sgpr_workgroup_id_x 1
		.amdhsa_system_sgpr_workgroup_id_y 1
		.amdhsa_system_sgpr_workgroup_id_z 1
		.amdhsa_system_sgpr_workgroup_info 0
		.amdhsa_system_vgpr_workitem_id 1
		.amdhsa_next_free_vgpr 102
		.amdhsa_next_free_sgpr 51
		.amdhsa_accum_offset 104
		.amdhsa_reserve_vcc 1
		.amdhsa_float_round_mode_32 0
		.amdhsa_float_round_mode_16_64 0
		.amdhsa_float_denorm_mode_32 3
		.amdhsa_float_denorm_mode_16_64 3
		.amdhsa_dx10_clamp 1
		.amdhsa_ieee_mode 1
		.amdhsa_fp16_overflow 0
		.amdhsa_tg_split 0
		.amdhsa_exception_fp_ieee_invalid_op 0
		.amdhsa_exception_fp_denorm_src 0
		.amdhsa_exception_fp_ieee_div_zero 0
		.amdhsa_exception_fp_ieee_overflow 0
		.amdhsa_exception_fp_ieee_underflow 0
		.amdhsa_exception_fp_ieee_inexact 0
		.amdhsa_exception_int_div_zero 0
	.end_amdhsa_kernel
	.section	.text._ZL15flash_attn_tileILi112ELi112ELi8ELi1ELb0EEvPKcS1_S1_S1_S1_PKiPfP15HIP_vector_typeIfLj2EEffffjfiS5_IjLj3EEiiiiiiiiiiiliiliiiiil,"axG",@progbits,_ZL15flash_attn_tileILi112ELi112ELi8ELi1ELb0EEvPKcS1_S1_S1_S1_PKiPfP15HIP_vector_typeIfLj2EEffffjfiS5_IjLj3EEiiiiiiiiiiiliiliiiiil,comdat
.Lfunc_end62:
	.size	_ZL15flash_attn_tileILi112ELi112ELi8ELi1ELb0EEvPKcS1_S1_S1_S1_PKiPfP15HIP_vector_typeIfLj2EEffffjfiS5_IjLj3EEiiiiiiiiiiiliiliiiiil, .Lfunc_end62-_ZL15flash_attn_tileILi112ELi112ELi8ELi1ELb0EEvPKcS1_S1_S1_S1_PKiPfP15HIP_vector_typeIfLj2EEffffjfiS5_IjLj3EEiiiiiiiiiiiliiliiiiil
                                        ; -- End function
	.set _ZL15flash_attn_tileILi112ELi112ELi8ELi1ELb0EEvPKcS1_S1_S1_S1_PKiPfP15HIP_vector_typeIfLj2EEffffjfiS5_IjLj3EEiiiiiiiiiiiliiliiiiil.num_vgpr, 102
	.set _ZL15flash_attn_tileILi112ELi112ELi8ELi1ELb0EEvPKcS1_S1_S1_S1_PKiPfP15HIP_vector_typeIfLj2EEffffjfiS5_IjLj3EEiiiiiiiiiiiliiliiiiil.num_agpr, 0
	.set _ZL15flash_attn_tileILi112ELi112ELi8ELi1ELb0EEvPKcS1_S1_S1_S1_PKiPfP15HIP_vector_typeIfLj2EEffffjfiS5_IjLj3EEiiiiiiiiiiiliiliiiiil.numbered_sgpr, 51
	.set _ZL15flash_attn_tileILi112ELi112ELi8ELi1ELb0EEvPKcS1_S1_S1_S1_PKiPfP15HIP_vector_typeIfLj2EEffffjfiS5_IjLj3EEiiiiiiiiiiiliiliiiiil.num_named_barrier, 0
	.set _ZL15flash_attn_tileILi112ELi112ELi8ELi1ELb0EEvPKcS1_S1_S1_S1_PKiPfP15HIP_vector_typeIfLj2EEffffjfiS5_IjLj3EEiiiiiiiiiiiliiliiiiil.private_seg_size, 32
	.set _ZL15flash_attn_tileILi112ELi112ELi8ELi1ELb0EEvPKcS1_S1_S1_S1_PKiPfP15HIP_vector_typeIfLj2EEffffjfiS5_IjLj3EEiiiiiiiiiiiliiliiiiil.uses_vcc, 1
	.set _ZL15flash_attn_tileILi112ELi112ELi8ELi1ELb0EEvPKcS1_S1_S1_S1_PKiPfP15HIP_vector_typeIfLj2EEffffjfiS5_IjLj3EEiiiiiiiiiiiliiliiiiil.uses_flat_scratch, 0
	.set _ZL15flash_attn_tileILi112ELi112ELi8ELi1ELb0EEvPKcS1_S1_S1_S1_PKiPfP15HIP_vector_typeIfLj2EEffffjfiS5_IjLj3EEiiiiiiiiiiiliiliiiiil.has_dyn_sized_stack, 0
	.set _ZL15flash_attn_tileILi112ELi112ELi8ELi1ELb0EEvPKcS1_S1_S1_S1_PKiPfP15HIP_vector_typeIfLj2EEffffjfiS5_IjLj3EEiiiiiiiiiiiliiliiiiil.has_recursion, 0
	.set _ZL15flash_attn_tileILi112ELi112ELi8ELi1ELb0EEvPKcS1_S1_S1_S1_PKiPfP15HIP_vector_typeIfLj2EEffffjfiS5_IjLj3EEiiiiiiiiiiiliiliiiiil.has_indirect_call, 0
	.section	.AMDGPU.csdata,"",@progbits
; Kernel info:
; codeLenInByte = 11876
; TotalNumSgprs: 57
; NumVgprs: 102
; NumAgprs: 0
; TotalNumVgprs: 102
; ScratchSize: 32
; MemoryBound: 0
; FloatMode: 240
; IeeeMode: 1
; LDSByteSize: 6464 bytes/workgroup (compile time only)
; SGPRBlocks: 7
; VGPRBlocks: 12
; NumSGPRsForWavesPerEU: 57
; NumVGPRsForWavesPerEU: 102
; AccumOffset: 104
; Occupancy: 4
; WaveLimiterHint : 1
; COMPUTE_PGM_RSRC2:SCRATCH_EN: 1
; COMPUTE_PGM_RSRC2:USER_SGPR: 2
; COMPUTE_PGM_RSRC2:TRAP_HANDLER: 0
; COMPUTE_PGM_RSRC2:TGID_X_EN: 1
; COMPUTE_PGM_RSRC2:TGID_Y_EN: 1
; COMPUTE_PGM_RSRC2:TGID_Z_EN: 1
; COMPUTE_PGM_RSRC2:TIDIG_COMP_CNT: 1
; COMPUTE_PGM_RSRC3_GFX90A:ACCUM_OFFSET: 25
; COMPUTE_PGM_RSRC3_GFX90A:TG_SPLIT: 0
	.section	.text._ZL33flash_attn_stream_k_fixup_uniformILi112ELi8ELi1EEvPfPK15HIP_vector_typeIfLj2EEiiiiiiS1_IjLj3EES5_S5_,"axG",@progbits,_ZL33flash_attn_stream_k_fixup_uniformILi112ELi8ELi1EEvPfPK15HIP_vector_typeIfLj2EEiiiiiiS1_IjLj3EES5_S5_,comdat
	.globl	_ZL33flash_attn_stream_k_fixup_uniformILi112ELi8ELi1EEvPfPK15HIP_vector_typeIfLj2EEiiiiiiS1_IjLj3EES5_S5_ ; -- Begin function _ZL33flash_attn_stream_k_fixup_uniformILi112ELi8ELi1EEvPfPK15HIP_vector_typeIfLj2EEiiiiiiS1_IjLj3EES5_S5_
	.p2align	8
	.type	_ZL33flash_attn_stream_k_fixup_uniformILi112ELi8ELi1EEvPfPK15HIP_vector_typeIfLj2EEiiiiiiS1_IjLj3EES5_S5_,@function
_ZL33flash_attn_stream_k_fixup_uniformILi112ELi8ELi1EEvPfPK15HIP_vector_typeIfLj2EEiiiiiiS1_IjLj3EES5_S5_: ; @_ZL33flash_attn_stream_k_fixup_uniformILi112ELi8ELi1EEvPfPK15HIP_vector_typeIfLj2EEiiiiiiS1_IjLj3EES5_S5_
; %bb.0:
	s_load_dwordx8 s[8:15], s[0:1], 0x1c
	s_load_dwordx2 s[6:7], s[0:1], 0x10
	s_load_dwordx4 s[16:19], s[0:1], 0x3c
	s_waitcnt lgkmcnt(0)
	s_mul_hi_u32 s5, s11, s2
	s_add_i32 s5, s2, s5
	s_lshr_b32 s5, s5, s12
	s_mul_i32 s11, s5, s13
	s_sub_i32 s12, s2, s11
	s_mul_hi_u32 s11, s12, s14
	s_add_i32 s11, s12, s11
	s_lshr_b32 s11, s11, s15
	s_mul_i32 s13, s11, s16
	s_sub_i32 s12, s12, s13
	;; [unrolled: 5-line block ×3, first 2 shown]
	s_lshl_b32 s12, s17, 3
	s_add_i32 s12, s12, s3
	s_cmp_lt_i32 s12, s6
	s_cselect_b64 s[12:13], -1, 0
	s_add_i32 s16, s16, s4
	s_cmp_lt_i32 s16, s9
	s_cselect_b64 s[14:15], -1, 0
	s_and_b64 s[12:13], s[12:13], s[14:15]
	s_andn2_b64 vcc, exec, s[12:13]
	s_cbranch_vccnz .LBB63_6
; %bb.1:
	s_load_dwordx4 s[12:15], s[0:1], 0x0
	s_mul_i32 s0, s5, s6
	s_mul_i32 s11, s11, s9
	s_add_i32 s0, s0, s3
	s_mul_i32 s0, s0, s7
	s_add_i32 s5, s16, s11
	;; [unrolled: 2-line block ×3, first 2 shown]
	s_mulk_i32 s1, 0x380
	s_mulk_i32 s0, 0x70
	s_add_i32 s0, s0, s1
	v_add_u32_e32 v4, s0, v0
	s_waitcnt lgkmcnt(0)
	v_mov_b32_e32 v2, s12
	v_mov_b32_e32 v3, s13
	v_ashrrev_i32_e32 v5, 31, v4
	v_lshl_add_u64 v[2:3], v[4:5], 2, v[2:3]
	global_load_dword v5, v[2:3], off
	s_mul_i32 s6, s10, s2
	s_add_i32 s7, s6, s10
	s_add_i32 s3, s3, s4
	s_lshl_b32 s0, s7, 3
	s_add_i32 s0, s3, s0
	s_add_i32 s0, s0, -8
	s_ashr_i32 s1, s0, 31
	s_lshl_b64 s[0:1], s[0:1], 3
	s_add_u32 s0, s14, s0
	s_addc_u32 s1, s15, s1
	s_load_dword s9, s[0:1], 0x4
	s_add_i32 s4, s7, -2
	s_cmp_lt_i32 s4, s6
	s_cbranch_scc1 .LBB63_4
; %bb.2:
	s_lshl_b32 s4, s8, 5
	s_ashr_i32 s5, s4, 31
	s_lshl_b64 s[4:5], s[4:5], 2
	s_add_u32 s4, s14, s4
	s_addc_u32 s5, s15, s5
	s_load_dword s0, s[0:1], 0x0
	s_add_i32 s2, s2, 1
	s_mul_i32 s10, s10, s2
	s_mul_i32 s1, s3, 0x70
	s_lshl_b32 s2, s10, 3
	s_mulk_i32 s10, 0x380
	s_add_i32 s2, s3, s2
	s_lshl_b32 s3, s8, 3
	s_add_i32 s1, s1, s10
	s_add_i32 s2, s2, s3
	v_add_u32_e32 v0, s1, v0
	s_add_i32 s7, s7, -1
	s_add_i32 s2, s2, -16
	v_add_u32_e32 v0, 0xfffff900, v0
	s_waitcnt lgkmcnt(0)
	v_mov_b32_e32 v7, s0
	v_mov_b32_e32 v4, s9
	s_mov_b32 s8, 0x3fb8aa3b
	s_mov_b32 s9, 0xc2ce8ed0
	;; [unrolled: 1-line block ×3, first 2 shown]
	v_mov_b32_e32 v6, 0x7f800000
	s_mov_b32 s11, 0xc1a00000
.LBB63_3:                               ; =>This Inner Loop Header: Depth=1
	v_ashrrev_i32_e32 v1, 31, v0
	v_lshl_add_u64 v[8:9], v[0:1], 2, s[4:5]
	global_load_dword v9, v[8:9], off
	s_ashr_i32 s3, s2, 31
	s_lshl_b64 s[0:1], s[2:3], 3
	s_add_u32 s0, s14, s0
	s_addc_u32 s1, s15, s1
	s_load_dwordx2 s[0:1], s[0:1], 0x0
	v_max_f32_e32 v1, v7, v7
	s_add_i32 s7, s7, -1
	s_add_i32 s2, s2, -8
	v_add_u32_e32 v0, 0xfffffc80, v0
	s_waitcnt lgkmcnt(0)
	v_max_f32_e64 v10, s0, s0
	v_max_f32_e32 v1, v1, v10
	v_sub_f32_e32 v11, s0, v1
	v_sub_f32_e32 v10, v7, v1
	v_mul_f32_e32 v12, 0x3fb8aa3b, v11
	v_mov_b32_e32 v7, v1
	v_mul_f32_e32 v1, 0x3fb8aa3b, v10
	v_fma_f32 v15, v11, s8, -v12
	v_rndne_f32_e32 v16, v12
	v_fma_f32 v13, v10, s8, -v1
	v_rndne_f32_e32 v14, v1
	v_fmac_f32_e32 v15, 0x32a5705f, v11
	v_sub_f32_e32 v12, v12, v16
	v_fmac_f32_e32 v13, 0x32a5705f, v10
	v_sub_f32_e32 v1, v1, v14
	v_add_f32_e32 v12, v12, v15
	v_cvt_i32_f32_e32 v16, v16
	v_add_f32_e32 v1, v1, v13
	v_exp_f32_e32 v12, v12
	v_cvt_i32_f32_e32 v14, v14
	v_exp_f32_e32 v1, v1
	v_cmp_ngt_f32_e32 vcc, s9, v11
	v_ldexp_f32 v12, v12, v16
	v_mov_b32_e32 v8, s1
	v_ldexp_f32 v1, v1, v14
	v_cmp_ngt_f32_e64 s[0:1], s9, v10
	v_cndmask_b32_e32 v12, 0, v12, vcc
	v_cmp_nlt_f32_e32 vcc, s10, v11
	v_cndmask_b32_e64 v1, 0, v1, s[0:1]
	v_cmp_nlt_f32_e64 s[0:1], s10, v10
	v_cndmask_b32_e32 v12, v6, v12, vcc
	v_cmp_le_f32_e32 vcc, s11, v11
	v_cndmask_b32_e64 v1, v6, v1, s[0:1]
	v_cmp_le_f32_e64 s[0:1], s11, v10
	v_cndmask_b32_e32 v12, 0, v12, vcc
	s_cmp_le_i32 s7, s6
	v_cndmask_b32_e64 v10, 0, v1, s[0:1]
	s_waitcnt vmcnt(0)
	v_pk_mul_f32 v[8:9], v[8:9], v[12:13] op_sel_hi:[1,0]
	s_nop 0
	v_pk_fma_f32 v[4:5], v[4:5], v[10:11], v[8:9] op_sel_hi:[1,0,1]
	s_cbranch_scc0 .LBB63_3
	s_branch .LBB63_5
.LBB63_4:
	s_waitcnt lgkmcnt(0)
	v_mov_b32_e32 v4, s9
.LBB63_5:
	s_waitcnt vmcnt(0)
	v_div_scale_f32 v0, s[0:1], v4, v4, v5
	v_rcp_f32_e32 v1, v0
	v_div_scale_f32 v6, vcc, v5, v4, v5
	v_fma_f32 v7, -v0, v1, 1.0
	v_fmac_f32_e32 v1, v7, v1
	v_mul_f32_e32 v7, v6, v1
	v_fma_f32 v8, -v0, v7, v6
	v_fmac_f32_e32 v7, v8, v1
	v_fma_f32 v0, -v0, v7, v6
	v_div_fmas_f32 v0, v0, v1, v7
	v_div_fixup_f32 v0, v0, v4, v5
	global_store_dword v[2:3], v0, off
.LBB63_6:
	s_endpgm
	.section	.rodata,"a",@progbits
	.p2align	6, 0x0
	.amdhsa_kernel _ZL33flash_attn_stream_k_fixup_uniformILi112ELi8ELi1EEvPfPK15HIP_vector_typeIfLj2EEiiiiiiS1_IjLj3EES5_S5_
		.amdhsa_group_segment_fixed_size 0
		.amdhsa_private_segment_fixed_size 0
		.amdhsa_kernarg_size 76
		.amdhsa_user_sgpr_count 2
		.amdhsa_user_sgpr_dispatch_ptr 0
		.amdhsa_user_sgpr_queue_ptr 0
		.amdhsa_user_sgpr_kernarg_segment_ptr 1
		.amdhsa_user_sgpr_dispatch_id 0
		.amdhsa_user_sgpr_kernarg_preload_length 0
		.amdhsa_user_sgpr_kernarg_preload_offset 0
		.amdhsa_user_sgpr_private_segment_size 0
		.amdhsa_uses_dynamic_stack 0
		.amdhsa_enable_private_segment 0
		.amdhsa_system_sgpr_workgroup_id_x 1
		.amdhsa_system_sgpr_workgroup_id_y 1
		.amdhsa_system_sgpr_workgroup_id_z 1
		.amdhsa_system_sgpr_workgroup_info 0
		.amdhsa_system_vgpr_workitem_id 0
		.amdhsa_next_free_vgpr 17
		.amdhsa_next_free_sgpr 20
		.amdhsa_accum_offset 20
		.amdhsa_reserve_vcc 1
		.amdhsa_float_round_mode_32 0
		.amdhsa_float_round_mode_16_64 0
		.amdhsa_float_denorm_mode_32 3
		.amdhsa_float_denorm_mode_16_64 3
		.amdhsa_dx10_clamp 1
		.amdhsa_ieee_mode 1
		.amdhsa_fp16_overflow 0
		.amdhsa_tg_split 0
		.amdhsa_exception_fp_ieee_invalid_op 0
		.amdhsa_exception_fp_denorm_src 0
		.amdhsa_exception_fp_ieee_div_zero 0
		.amdhsa_exception_fp_ieee_overflow 0
		.amdhsa_exception_fp_ieee_underflow 0
		.amdhsa_exception_fp_ieee_inexact 0
		.amdhsa_exception_int_div_zero 0
	.end_amdhsa_kernel
	.section	.text._ZL33flash_attn_stream_k_fixup_uniformILi112ELi8ELi1EEvPfPK15HIP_vector_typeIfLj2EEiiiiiiS1_IjLj3EES5_S5_,"axG",@progbits,_ZL33flash_attn_stream_k_fixup_uniformILi112ELi8ELi1EEvPfPK15HIP_vector_typeIfLj2EEiiiiiiS1_IjLj3EES5_S5_,comdat
.Lfunc_end63:
	.size	_ZL33flash_attn_stream_k_fixup_uniformILi112ELi8ELi1EEvPfPK15HIP_vector_typeIfLj2EEiiiiiiS1_IjLj3EES5_S5_, .Lfunc_end63-_ZL33flash_attn_stream_k_fixup_uniformILi112ELi8ELi1EEvPfPK15HIP_vector_typeIfLj2EEiiiiiiS1_IjLj3EES5_S5_
                                        ; -- End function
	.set _ZL33flash_attn_stream_k_fixup_uniformILi112ELi8ELi1EEvPfPK15HIP_vector_typeIfLj2EEiiiiiiS1_IjLj3EES5_S5_.num_vgpr, 17
	.set _ZL33flash_attn_stream_k_fixup_uniformILi112ELi8ELi1EEvPfPK15HIP_vector_typeIfLj2EEiiiiiiS1_IjLj3EES5_S5_.num_agpr, 0
	.set _ZL33flash_attn_stream_k_fixup_uniformILi112ELi8ELi1EEvPfPK15HIP_vector_typeIfLj2EEiiiiiiS1_IjLj3EES5_S5_.numbered_sgpr, 20
	.set _ZL33flash_attn_stream_k_fixup_uniformILi112ELi8ELi1EEvPfPK15HIP_vector_typeIfLj2EEiiiiiiS1_IjLj3EES5_S5_.num_named_barrier, 0
	.set _ZL33flash_attn_stream_k_fixup_uniformILi112ELi8ELi1EEvPfPK15HIP_vector_typeIfLj2EEiiiiiiS1_IjLj3EES5_S5_.private_seg_size, 0
	.set _ZL33flash_attn_stream_k_fixup_uniformILi112ELi8ELi1EEvPfPK15HIP_vector_typeIfLj2EEiiiiiiS1_IjLj3EES5_S5_.uses_vcc, 1
	.set _ZL33flash_attn_stream_k_fixup_uniformILi112ELi8ELi1EEvPfPK15HIP_vector_typeIfLj2EEiiiiiiS1_IjLj3EES5_S5_.uses_flat_scratch, 0
	.set _ZL33flash_attn_stream_k_fixup_uniformILi112ELi8ELi1EEvPfPK15HIP_vector_typeIfLj2EEiiiiiiS1_IjLj3EES5_S5_.has_dyn_sized_stack, 0
	.set _ZL33flash_attn_stream_k_fixup_uniformILi112ELi8ELi1EEvPfPK15HIP_vector_typeIfLj2EEiiiiiiS1_IjLj3EES5_S5_.has_recursion, 0
	.set _ZL33flash_attn_stream_k_fixup_uniformILi112ELi8ELi1EEvPfPK15HIP_vector_typeIfLj2EEiiiiiiS1_IjLj3EES5_S5_.has_indirect_call, 0
	.section	.AMDGPU.csdata,"",@progbits
; Kernel info:
; codeLenInByte = 816
; TotalNumSgprs: 26
; NumVgprs: 17
; NumAgprs: 0
; TotalNumVgprs: 17
; ScratchSize: 0
; MemoryBound: 0
; FloatMode: 240
; IeeeMode: 1
; LDSByteSize: 0 bytes/workgroup (compile time only)
; SGPRBlocks: 3
; VGPRBlocks: 2
; NumSGPRsForWavesPerEU: 26
; NumVGPRsForWavesPerEU: 17
; AccumOffset: 20
; Occupancy: 8
; WaveLimiterHint : 0
; COMPUTE_PGM_RSRC2:SCRATCH_EN: 0
; COMPUTE_PGM_RSRC2:USER_SGPR: 2
; COMPUTE_PGM_RSRC2:TRAP_HANDLER: 0
; COMPUTE_PGM_RSRC2:TGID_X_EN: 1
; COMPUTE_PGM_RSRC2:TGID_Y_EN: 1
; COMPUTE_PGM_RSRC2:TGID_Z_EN: 1
; COMPUTE_PGM_RSRC2:TIDIG_COMP_CNT: 0
; COMPUTE_PGM_RSRC3_GFX90A:ACCUM_OFFSET: 4
; COMPUTE_PGM_RSRC3_GFX90A:TG_SPLIT: 0
	.section	.text._ZL33flash_attn_stream_k_fixup_generalILi112ELi8ELi1EEvPfPK15HIP_vector_typeIfLj2EEiiiiS1_IjLj3EES5_S5_S5_,"axG",@progbits,_ZL33flash_attn_stream_k_fixup_generalILi112ELi8ELi1EEvPfPK15HIP_vector_typeIfLj2EEiiiiS1_IjLj3EES5_S5_S5_,comdat
	.globl	_ZL33flash_attn_stream_k_fixup_generalILi112ELi8ELi1EEvPfPK15HIP_vector_typeIfLj2EEiiiiS1_IjLj3EES5_S5_S5_ ; -- Begin function _ZL33flash_attn_stream_k_fixup_generalILi112ELi8ELi1EEvPfPK15HIP_vector_typeIfLj2EEiiiiS1_IjLj3EES5_S5_S5_
	.p2align	8
	.type	_ZL33flash_attn_stream_k_fixup_generalILi112ELi8ELi1EEvPfPK15HIP_vector_typeIfLj2EEiiiiS1_IjLj3EES5_S5_S5_,@function
_ZL33flash_attn_stream_k_fixup_generalILi112ELi8ELi1EEvPfPK15HIP_vector_typeIfLj2EEiiiiS1_IjLj3EES5_S5_S5_: ; @_ZL33flash_attn_stream_k_fixup_generalILi112ELi8ELi1EEvPfPK15HIP_vector_typeIfLj2EEiiiiS1_IjLj3EES5_S5_S5_
; %bb.0:
	s_load_dwordx4 s[8:11], s[0:1], 0x10
	s_load_dword s22, s[0:1], 0x50
	s_mov_b32 s12, 0
	s_waitcnt lgkmcnt(0)
	s_mul_hi_i32 s13, s11, s2
	s_cmp_lg_u64 s[12:13], 0
	s_mul_i32 s5, s11, s2
	s_cbranch_scc0 .LBB64_20
; %bb.1:
	s_add_u32 s6, s22, 0
	s_addc_u32 s7, 0, 0
	s_xor_b64 s[6:7], s[6:7], 0
	v_cvt_f32_u32_e32 v1, s6
	v_cvt_f32_u32_e32 v2, s7
	s_sub_u32 s12, 0, s6
	s_subb_u32 s18, 0, s7
	v_fmamk_f32 v1, v2, 0x4f800000, v1
	v_rcp_f32_e32 v1, v1
	s_nop 0
	v_mul_f32_e32 v1, 0x5f7ffffc, v1
	v_mul_f32_e32 v2, 0x2f800000, v1
	v_trunc_f32_e32 v2, v2
	v_fmamk_f32 v1, v2, 0xcf800000, v1
	v_cvt_u32_f32_e32 v2, v2
	v_cvt_u32_f32_e32 v1, v1
	v_readfirstlane_b32 s19, v2
	v_readfirstlane_b32 s14, v1
	s_mul_i32 s15, s12, s19
	s_mul_hi_u32 s21, s12, s14
	s_mul_i32 s20, s18, s14
	s_add_i32 s15, s21, s15
	s_add_i32 s15, s15, s20
	s_mul_i32 s23, s12, s14
	s_mul_i32 s21, s14, s15
	s_mul_hi_u32 s24, s14, s23
	s_mul_hi_u32 s20, s14, s15
	s_add_u32 s21, s24, s21
	s_addc_u32 s20, 0, s20
	s_mul_hi_u32 s25, s19, s23
	s_mul_i32 s23, s19, s23
	s_add_u32 s21, s21, s23
	s_mul_hi_u32 s24, s19, s15
	s_addc_u32 s20, s20, s25
	s_addc_u32 s21, s24, 0
	s_mul_i32 s15, s19, s15
	s_add_u32 s15, s20, s15
	s_addc_u32 s20, 0, s21
	s_add_u32 s21, s14, s15
	s_cselect_b64 s[14:15], -1, 0
	s_cmp_lg_u64 s[14:15], 0
	s_addc_u32 s19, s19, s20
	s_mul_i32 s14, s12, s19
	s_mul_hi_u32 s15, s12, s21
	s_add_i32 s14, s15, s14
	s_mul_i32 s18, s18, s21
	s_add_i32 s14, s14, s18
	s_mul_i32 s12, s12, s21
	s_mul_hi_u32 s18, s19, s12
	s_mul_i32 s20, s19, s12
	s_mul_i32 s24, s21, s14
	s_mul_hi_u32 s12, s21, s12
	s_mul_hi_u32 s23, s21, s14
	s_add_u32 s12, s12, s24
	s_addc_u32 s23, 0, s23
	s_add_u32 s12, s12, s20
	s_mul_hi_u32 s15, s19, s14
	s_addc_u32 s12, s23, s18
	s_addc_u32 s15, s15, 0
	s_mul_i32 s14, s19, s14
	s_add_u32 s12, s12, s14
	s_addc_u32 s18, 0, s15
	s_add_u32 s20, s21, s12
	s_cselect_b64 s[14:15], -1, 0
	s_cmp_lg_u64 s[14:15], 0
	s_addc_u32 s18, s19, s18
	s_ashr_i32 s14, s13, 31
	s_add_u32 s12, s5, s14
	s_mov_b32 s15, s14
	s_addc_u32 s13, s13, s14
	s_xor_b64 s[12:13], s[12:13], s[14:15]
	s_mul_i32 s21, s12, s18
	s_mul_hi_u32 s23, s12, s20
	s_mul_hi_u32 s19, s12, s18
	s_add_u32 s21, s23, s21
	s_addc_u32 s19, 0, s19
	s_mul_hi_u32 s24, s13, s20
	s_mul_i32 s20, s13, s20
	s_add_u32 s20, s21, s20
	s_mul_hi_u32 s23, s13, s18
	s_addc_u32 s19, s19, s24
	s_addc_u32 s20, s23, 0
	s_mul_i32 s18, s13, s18
	s_add_u32 s23, s19, s18
	s_addc_u32 s24, 0, s20
	s_mul_i32 s18, s6, s24
	s_mul_hi_u32 s19, s6, s23
	s_add_i32 s18, s19, s18
	s_mul_i32 s19, s7, s23
	s_add_i32 s25, s18, s19
	s_sub_i32 s20, s13, s25
	s_mul_i32 s18, s6, s23
	s_sub_u32 s12, s12, s18
	s_cselect_b64 s[18:19], -1, 0
	s_cmp_lg_u64 s[18:19], 0
	s_subb_u32 s26, s20, s7
	s_sub_u32 s27, s12, s6
	s_cselect_b64 s[20:21], -1, 0
	s_cmp_lg_u64 s[20:21], 0
	s_subb_u32 s20, s26, 0
	s_cmp_ge_u32 s20, s7
	s_cselect_b32 s21, -1, 0
	s_cmp_ge_u32 s27, s6
	s_cselect_b32 s26, -1, 0
	s_cmp_eq_u32 s20, s7
	s_cselect_b32 s20, s26, s21
	s_add_u32 s21, s23, 1
	s_addc_u32 s26, s24, 0
	s_add_u32 s27, s23, 2
	s_addc_u32 s28, s24, 0
	s_cmp_lg_u32 s20, 0
	s_cselect_b32 s20, s27, s21
	s_cselect_b32 s21, s28, s26
	s_cmp_lg_u64 s[18:19], 0
	s_subb_u32 s13, s13, s25
	s_cmp_ge_u32 s13, s7
	s_cselect_b32 s18, -1, 0
	s_cmp_ge_u32 s12, s6
	s_cselect_b32 s6, -1, 0
	s_cmp_eq_u32 s13, s7
	s_cselect_b32 s6, s6, s18
	s_cmp_lg_u32 s6, 0
	s_cselect_b32 s7, s21, s24
	s_cselect_b32 s6, s20, s23
	s_xor_b64 s[12:13], s[14:15], 0
	s_xor_b64 s[6:7], s[6:7], s[12:13]
	s_sub_u32 s6, s6, s12
	s_load_dwordx4 s[12:15], s[0:1], 0x44
	s_cbranch_execnz .LBB64_3
.LBB64_2:
	v_cvt_f32_u32_e32 v1, s22
	s_sub_i32 s6, 0, s22
	v_rcp_iflag_f32_e32 v1, v1
	s_nop 0
	v_mul_f32_e32 v1, 0x4f7ffffe, v1
	v_cvt_u32_f32_e32 v1, v1
	s_nop 0
	v_readfirstlane_b32 s7, v1
	s_mul_i32 s6, s6, s7
	s_mul_hi_u32 s6, s7, s6
	s_add_i32 s7, s7, s6
	s_mul_hi_u32 s6, s5, s7
	s_waitcnt lgkmcnt(0)
	s_mul_i32 s15, s6, s22
	s_sub_i32 s5, s5, s15
	s_add_i32 s7, s6, 1
	s_sub_i32 s15, s5, s22
	s_cmp_ge_u32 s5, s22
	s_cselect_b32 s6, s7, s6
	s_cselect_b32 s5, s15, s5
	s_add_i32 s7, s6, 1
	s_cmp_ge_u32 s5, s22
	s_cselect_b32 s6, s7, s6
.LBB64_3:
	s_add_i32 s5, s2, 1
	s_mul_hi_i32 s21, s11, s5
	s_mov_b32 s20, 0
	s_cmp_lg_u64 s[20:21], 0
	s_mul_i32 s5, s11, s5
	s_cbranch_scc0 .LBB64_21
; %bb.4:
	s_add_u32 s16, s22, 0
	s_addc_u32 s17, 0, 0
	s_xor_b64 s[18:19], s[16:17], 0
	v_cvt_f32_u32_e32 v1, s18
	v_cvt_f32_u32_e32 v2, s19
	s_sub_u32 s7, 0, s18
	s_waitcnt lgkmcnt(0)
	s_subb_u32 s15, 0, s19
	v_fmamk_f32 v1, v2, 0x4f800000, v1
	v_rcp_f32_e32 v1, v1
	s_nop 0
	v_mul_f32_e32 v1, 0x5f7ffffc, v1
	v_mul_f32_e32 v2, 0x2f800000, v1
	v_trunc_f32_e32 v2, v2
	v_fmamk_f32 v1, v2, 0xcf800000, v1
	v_cvt_u32_f32_e32 v2, v2
	v_cvt_u32_f32_e32 v1, v1
	v_readfirstlane_b32 s20, v2
	v_readfirstlane_b32 s23, v1
	s_mul_i32 s24, s7, s20
	s_mul_hi_u32 s26, s7, s23
	s_mul_i32 s25, s15, s23
	s_add_i32 s24, s26, s24
	s_add_i32 s24, s24, s25
	s_mul_i32 s27, s7, s23
	s_mul_i32 s26, s23, s24
	s_mul_hi_u32 s28, s23, s27
	s_mul_hi_u32 s25, s23, s24
	s_add_u32 s26, s28, s26
	s_addc_u32 s25, 0, s25
	s_mul_hi_u32 s29, s20, s27
	s_mul_i32 s27, s20, s27
	s_add_u32 s26, s26, s27
	s_mul_hi_u32 s28, s20, s24
	s_addc_u32 s25, s25, s29
	s_addc_u32 s26, s28, 0
	s_mul_i32 s24, s20, s24
	s_add_u32 s24, s25, s24
	s_addc_u32 s26, 0, s26
	s_add_u32 s23, s23, s24
	s_cselect_b64 s[24:25], -1, 0
	s_cmp_lg_u64 s[24:25], 0
	s_addc_u32 s20, s20, s26
	s_mul_i32 s24, s7, s20
	s_mul_hi_u32 s25, s7, s23
	s_add_i32 s24, s25, s24
	s_mul_i32 s15, s15, s23
	s_add_i32 s24, s24, s15
	s_mul_i32 s7, s7, s23
	s_mul_hi_u32 s25, s20, s7
	s_mul_i32 s26, s20, s7
	s_mul_i32 s28, s23, s24
	s_mul_hi_u32 s7, s23, s7
	s_mul_hi_u32 s27, s23, s24
	s_add_u32 s7, s7, s28
	s_addc_u32 s27, 0, s27
	s_add_u32 s7, s7, s26
	s_mul_hi_u32 s15, s20, s24
	s_addc_u32 s7, s27, s25
	s_addc_u32 s15, s15, 0
	s_mul_i32 s24, s20, s24
	s_add_u32 s7, s7, s24
	s_addc_u32 s15, 0, s15
	s_add_u32 s7, s23, s7
	s_cselect_b64 s[24:25], -1, 0
	s_cmp_lg_u64 s[24:25], 0
	s_addc_u32 s15, s20, s15
	s_ashr_i32 s24, s21, 31
	s_add_u32 s20, s5, s24
	s_mov_b32 s25, s24
	s_addc_u32 s21, s21, s24
	s_xor_b64 s[20:21], s[20:21], s[24:25]
	s_mul_i32 s26, s20, s15
	s_mul_hi_u32 s27, s20, s7
	s_mul_hi_u32 s23, s20, s15
	s_add_u32 s26, s27, s26
	s_addc_u32 s23, 0, s23
	s_mul_hi_u32 s28, s21, s7
	s_mul_i32 s7, s21, s7
	s_add_u32 s7, s26, s7
	s_mul_hi_u32 s27, s21, s15
	s_addc_u32 s7, s23, s28
	s_addc_u32 s23, s27, 0
	s_mul_i32 s15, s21, s15
	s_add_u32 s7, s7, s15
	s_addc_u32 s15, 0, s23
	s_mul_i32 s23, s18, s15
	s_mul_hi_u32 s26, s18, s7
	s_add_i32 s23, s26, s23
	s_mul_i32 s26, s19, s7
	s_add_i32 s23, s23, s26
	s_sub_i32 s28, s21, s23
	s_mul_i32 s26, s18, s7
	s_sub_u32 s20, s20, s26
	s_cselect_b64 s[26:27], -1, 0
	s_cmp_lg_u64 s[26:27], 0
	s_subb_u32 s30, s28, s19
	s_sub_u32 s31, s20, s18
	s_cselect_b64 s[28:29], -1, 0
	s_cmp_lg_u64 s[28:29], 0
	s_subb_u32 s28, s30, 0
	s_cmp_ge_u32 s28, s19
	s_cselect_b32 s29, -1, 0
	s_cmp_ge_u32 s31, s18
	s_cselect_b32 s30, -1, 0
	s_cmp_eq_u32 s28, s19
	s_cselect_b32 s28, s30, s29
	s_add_u32 s29, s7, 1
	s_addc_u32 s30, s15, 0
	s_add_u32 s31, s7, 2
	s_addc_u32 s33, s15, 0
	s_cmp_lg_u32 s28, 0
	s_cselect_b32 s28, s31, s29
	s_cselect_b32 s29, s33, s30
	s_cmp_lg_u64 s[26:27], 0
	s_subb_u32 s21, s21, s23
	s_cmp_ge_u32 s21, s19
	s_cselect_b32 s23, -1, 0
	s_cmp_ge_u32 s20, s18
	s_cselect_b32 s18, -1, 0
	s_cmp_eq_u32 s21, s19
	s_cselect_b32 s18, s18, s23
	s_cmp_lg_u32 s18, 0
	s_cselect_b32 s19, s29, s15
	s_cselect_b32 s18, s28, s7
	s_xor_b64 s[20:21], s[24:25], 0
	s_xor_b64 s[18:19], s[18:19], s[20:21]
	s_sub_u32 s18, s18, s20
	s_cbranch_execnz .LBB64_6
.LBB64_5:
	v_cvt_f32_u32_e32 v1, s22
	s_sub_i32 s7, 0, s22
	v_rcp_iflag_f32_e32 v1, v1
	s_nop 0
	v_mul_f32_e32 v1, 0x4f7ffffe, v1
	v_cvt_u32_f32_e32 v1, v1
	s_waitcnt lgkmcnt(0)
	v_readfirstlane_b32 s15, v1
	s_mul_i32 s7, s7, s15
	s_mul_hi_u32 s7, s15, s7
	s_add_i32 s15, s15, s7
	s_mul_hi_u32 s7, s5, s15
	s_mul_i32 s16, s7, s22
	s_sub_i32 s5, s5, s16
	s_add_i32 s15, s7, 1
	s_sub_i32 s16, s5, s22
	s_cmp_ge_u32 s5, s22
	s_cselect_b32 s7, s15, s7
	s_cselect_b32 s5, s16, s5
	s_add_i32 s15, s7, 1
	s_cmp_ge_u32 s5, s22
	s_cselect_b32 s18, s15, s7
.LBB64_6:
	s_cmp_eq_u32 s6, s18
	s_waitcnt lgkmcnt(0)
	s_mul_hi_u32 s5, s6, s12
	s_cselect_b64 s[16:17], -1, 0
	s_add_i32 s5, s5, s6
	s_lshr_b32 s7, s5, s13
	s_mul_i32 s5, s7, s14
	s_cmp_eq_u32 s5, s6
	s_mul_hi_u32 s5, s18, s12
	s_cselect_b64 s[20:21], -1, 0
	s_add_i32 s5, s5, s18
	s_lshr_b32 s5, s5, s13
	s_cmp_eq_u32 s7, s5
	s_mul_i32 s5, s5, s14
	s_cselect_b64 s[24:25], -1, 0
	s_cmp_lg_u32 s5, s18
	s_cselect_b64 s[18:19], -1, 0
	s_and_b64 s[18:19], s[24:25], s[18:19]
	s_or_b64 s[16:17], s[16:17], s[20:21]
	s_or_b64 s[16:17], s[16:17], s[18:19]
	s_and_b64 vcc, exec, s[16:17]
	s_cbranch_vccnz .LBB64_23
; %bb.7:
	s_load_dwordx8 s[24:31], s[0:1], 0x20
	s_load_dword s5, s[0:1], 0x40
	s_waitcnt lgkmcnt(0)
	s_mul_hi_u32 s15, s6, s24
	s_add_i32 s15, s15, s6
	s_lshr_b32 s20, s15, s25
	s_mul_i32 s15, s20, s26
	s_sub_i32 s15, s6, s15
	s_mul_hi_u32 s16, s15, s27
	s_add_i32 s16, s15, s16
	s_lshr_b32 s21, s16, s28
	s_mul_i32 s16, s21, s29
	s_sub_i32 s15, s15, s16
	;; [unrolled: 5-line block ×3, first 2 shown]
	s_mul_hi_u32 s15, s5, s12
	s_add_i32 s5, s5, s15
	s_lshr_b32 s23, s5, s13
	s_lshl_b32 s5, s23, 3
	s_add_i32 s5, s5, s3
	s_cmp_lt_i32 s5, s8
	s_cselect_b64 s[16:17], -1, 0
	s_add_i32 s24, s24, s4
	s_cmp_lt_i32 s24, s10
	s_cselect_b64 s[18:19], -1, 0
	s_and_b64 s[16:17], s[16:17], s[18:19]
	s_andn2_b64 vcc, exec, s[16:17]
	s_cbranch_vccnz .LBB64_23
; %bb.8:
	s_load_dwordx4 s[16:19], s[0:1], 0x0
	s_mov_b32 s0, 0
	s_add_i32 s15, s3, s4
	s_lshl_b32 s4, s22, 5
	s_mov_b32 s5, s0
	s_lshl_b64 s[4:5], s[4:5], 2
	s_waitcnt lgkmcnt(0)
	s_add_u32 s4, s18, s4
	s_mul_i32 s1, s20, s8
	s_addc_u32 s5, s19, s5
	s_mul_i32 s21, s21, s10
	s_add_i32 s1, s1, s3
	s_mul_i32 s1, s1, s9
	s_add_i32 s3, s24, s21
	s_mul_i32 s8, s9, s23
	s_add_i32 s1, s3, s1
	s_mulk_i32 s8, 0x380
	s_mulk_i32 s1, 0x70
	s_add_i32 s8, s8, s1
	v_add_u32_e32 v4, s8, v0
	v_mov_b32_e32 v2, s16
	v_mov_b32_e32 v3, s17
	v_ashrrev_i32_e32 v5, 31, v4
	v_lshl_add_u64 v[2:3], v[4:5], 2, v[2:3]
	global_load_dword v1, v[2:3], off
	v_cvt_f32_u32_e32 v4, s22
	s_lshl_b32 s1, s2, 3
	s_add_i32 s8, s1, s15
	s_ashr_i32 s9, s8, 31
	s_lshl_b64 s[8:9], s[8:9], 3
	v_rcp_iflag_f32_e32 v4, v4
	s_add_u32 s8, s18, s8
	s_addc_u32 s9, s19, s9
	s_load_dwordx2 s[8:9], s[8:9], 0x0
	v_mul_f32_e32 v4, 0x4f7ffffe, v4
	v_cvt_u32_f32_e32 v7, v4
	s_mul_i32 s1, s15, 0x70
	s_add_i32 s21, s2, -1
	v_add_u32_e32 v6, s1, v0
	s_waitcnt lgkmcnt(0)
	v_mov_b32_e32 v0, s9
	v_mov_b32_e32 v9, s8
	s_mov_b32 s10, 0x3fb8aa3b
	s_mov_b32 s20, 0xc2ce8ed0
	;; [unrolled: 1-line block ×4, first 2 shown]
	v_mov_b32_e32 v8, 0x7f800000
	s_mul_hi_i32 s1, s21, s11
	s_cmp_lg_u64 s[0:1], 0
	s_mul_i32 s16, s21, s11
	s_cbranch_scc0 .LBB64_19
.LBB64_9:
	s_add_u32 s2, s22, 0
	s_addc_u32 s3, 0, 0
	s_xor_b64 s[2:3], s[2:3], 0
	v_cvt_f32_u32_e32 v4, s2
	v_cvt_f32_u32_e32 v5, s3
	s_sub_u32 s17, 0, s2
	s_subb_u32 s25, 0, s3
	v_fmac_f32_e32 v4, 0x4f800000, v5
	v_rcp_f32_e32 v4, v4
	s_nop 0
	v_mul_f32_e32 v4, 0x5f7ffffc, v4
	v_mul_f32_e32 v5, 0x2f800000, v4
	v_trunc_f32_e32 v5, v5
	v_fmac_f32_e32 v4, 0xcf800000, v5
	v_cvt_u32_f32_e32 v5, v5
	v_cvt_u32_f32_e32 v4, v4
	v_readfirstlane_b32 s26, v5
	v_readfirstlane_b32 s8, v4
	s_mul_i32 s9, s17, s26
	s_mul_hi_u32 s28, s17, s8
	s_mul_i32 s27, s25, s8
	s_add_i32 s9, s28, s9
	s_mul_i32 s29, s17, s8
	s_add_i32 s9, s9, s27
	s_mul_i32 s28, s8, s9
	s_mul_hi_u32 s30, s8, s29
	s_mul_hi_u32 s27, s8, s9
	s_add_u32 s28, s30, s28
	s_addc_u32 s27, 0, s27
	s_mul_hi_u32 s31, s26, s29
	s_mul_i32 s29, s26, s29
	s_add_u32 s28, s28, s29
	s_mul_hi_u32 s30, s26, s9
	s_addc_u32 s27, s27, s31
	s_addc_u32 s28, s30, 0
	s_mul_i32 s9, s26, s9
	s_add_u32 s9, s27, s9
	s_addc_u32 s27, 0, s28
	s_add_u32 s28, s8, s9
	s_cselect_b64 s[8:9], -1, 0
	s_cmp_lg_u64 s[8:9], 0
	s_addc_u32 s26, s26, s27
	s_mul_i32 s8, s17, s26
	s_mul_hi_u32 s9, s17, s28
	s_add_i32 s8, s9, s8
	s_mul_i32 s25, s25, s28
	s_add_i32 s8, s8, s25
	s_mul_i32 s17, s17, s28
	s_mul_hi_u32 s25, s26, s17
	s_mul_i32 s27, s26, s17
	s_mul_i32 s30, s28, s8
	s_mul_hi_u32 s17, s28, s17
	s_mul_hi_u32 s29, s28, s8
	s_add_u32 s17, s17, s30
	s_addc_u32 s29, 0, s29
	s_add_u32 s17, s17, s27
	s_mul_hi_u32 s9, s26, s8
	s_addc_u32 s17, s29, s25
	s_addc_u32 s9, s9, 0
	s_mul_i32 s8, s26, s8
	s_add_u32 s8, s17, s8
	s_addc_u32 s17, 0, s9
	s_add_u32 s25, s28, s8
	s_cselect_b64 s[8:9], -1, 0
	s_cmp_lg_u64 s[8:9], 0
	s_addc_u32 s17, s26, s17
	s_ashr_i32 s8, s1, 31
	s_add_u32 s26, s16, s8
	s_mov_b32 s9, s8
	s_addc_u32 s27, s1, s8
	s_xor_b64 s[26:27], s[26:27], s[8:9]
	s_mul_i32 s28, s26, s17
	s_mul_hi_u32 s29, s26, s25
	s_mul_hi_u32 s1, s26, s17
	s_add_u32 s28, s29, s28
	s_addc_u32 s1, 0, s1
	s_mul_hi_u32 s30, s27, s25
	s_mul_i32 s25, s27, s25
	s_add_u32 s25, s28, s25
	s_mul_hi_u32 s29, s27, s17
	s_addc_u32 s1, s1, s30
	s_addc_u32 s25, s29, 0
	s_mul_i32 s17, s27, s17
	s_add_u32 s1, s1, s17
	s_addc_u32 s17, 0, s25
	s_mul_i32 s25, s2, s17
	s_mul_hi_u32 s28, s2, s1
	s_add_i32 s25, s28, s25
	s_mul_i32 s28, s3, s1
	s_add_i32 s25, s25, s28
	s_sub_i32 s30, s27, s25
	s_mul_i32 s28, s2, s1
	s_sub_u32 s26, s26, s28
	s_cselect_b64 s[28:29], -1, 0
	s_cmp_lg_u64 s[28:29], 0
	s_subb_u32 s33, s30, s3
	s_sub_u32 s34, s26, s2
	s_cselect_b64 s[30:31], -1, 0
	s_cmp_lg_u64 s[30:31], 0
	s_subb_u32 s30, s33, 0
	s_cmp_ge_u32 s30, s3
	s_cselect_b32 s31, -1, 0
	s_cmp_ge_u32 s34, s2
	s_cselect_b32 s33, -1, 0
	s_cmp_eq_u32 s30, s3
	s_cselect_b32 s30, s33, s31
	s_add_u32 s31, s1, 1
	s_addc_u32 s33, s17, 0
	s_add_u32 s34, s1, 2
	s_addc_u32 s35, s17, 0
	s_cmp_lg_u32 s30, 0
	s_cselect_b32 s30, s34, s31
	s_cselect_b32 s31, s35, s33
	s_cmp_lg_u64 s[28:29], 0
	s_subb_u32 s25, s27, s25
	s_cmp_ge_u32 s25, s3
	s_cselect_b32 s27, -1, 0
	s_cmp_ge_u32 s26, s2
	s_cselect_b32 s2, -1, 0
	s_cmp_eq_u32 s25, s3
	s_cselect_b32 s2, s2, s27
	s_cmp_lg_u32 s2, 0
	s_cselect_b32 s3, s31, s17
	s_cselect_b32 s2, s30, s1
	s_xor_b64 s[8:9], s[8:9], 0
	s_xor_b64 s[2:3], s[2:3], s[8:9]
	s_sub_u32 s8, s2, s8
	s_cbranch_execnz .LBB64_11
.LBB64_10:
	s_sub_i32 s1, 0, s22
	v_readfirstlane_b32 s2, v7
	s_mul_i32 s1, s1, s2
	s_mul_hi_u32 s1, s2, s1
	s_add_i32 s2, s2, s1
	s_mul_hi_u32 s1, s16, s2
	s_mul_i32 s3, s1, s22
	s_sub_i32 s3, s16, s3
	s_add_i32 s2, s1, 1
	s_sub_i32 s8, s3, s22
	s_cmp_ge_u32 s3, s22
	s_cselect_b32 s1, s2, s1
	s_cselect_b32 s3, s8, s3
	s_add_i32 s2, s1, 1
	s_cmp_ge_u32 s3, s22
	s_cselect_b32 s8, s2, s1
.LBB64_11:
	s_cmp_lg_u32 s6, s8
	s_cbranch_scc0 .LBB64_15
; %bb.12:
	s_add_i32 s1, s21, s22
	s_lshl_b32 s1, s1, 3
	s_add_i32 s2, s1, s15
	s_mov_b32 s3, s0
	s_lshl_b64 s[2:3], s[2:3], 3
	s_add_u32 s16, s18, s2
	s_mul_hi_u32 s1, s8, s12
	s_addc_u32 s17, s19, s3
	s_add_i32 s1, s1, s8
	s_lshr_b32 s1, s1, s13
	s_mul_i32 s2, s1, s14
	s_cmp_eq_u32 s2, s8
	s_cselect_b64 s[2:3], -1, 0
	s_cmp_lt_u32 s1, s7
	s_cselect_b64 s[26:27], -1, 0
	s_or_b64 s[26:27], s[26:27], s[2:3]
	s_mov_b64 s[2:3], -1
	s_and_b64 vcc, exec, s[26:27]
	s_mov_b32 s1, s21
	s_mov_b32 s25, s6
	s_cbranch_vccnz .LBB64_14
; %bb.13:
	s_add_i32 s1, s21, -1
	s_mov_b64 s[2:3], 0
	s_mov_b32 s25, s8
.LBB64_14:
	s_mul_i32 s8, s21, 0x380
	v_add_u32_e32 v4, s8, v6
	v_ashrrev_i32_e32 v5, 31, v4
	v_lshl_add_u64 v[4:5], v[4:5], 2, s[4:5]
	global_load_dword v5, v[4:5], off
	s_load_dwordx2 s[8:9], s[16:17], 0x0
	v_max_f32_e32 v4, v9, v9
	s_waitcnt lgkmcnt(0)
	v_max_f32_e64 v10, s8, s8
	v_max_f32_e32 v10, v4, v10
	v_sub_f32_e32 v11, v9, v10
	v_sub_f32_e32 v13, s8, v10
	v_mul_f32_e32 v4, 0x3fb8aa3b, v11
	v_mul_f32_e32 v12, 0x3fb8aa3b, v13
	v_fma_f32 v14, v11, s10, -v4
	v_rndne_f32_e32 v15, v4
	v_fma_f32 v16, v13, s10, -v12
	v_rndne_f32_e32 v17, v12
	v_fmac_f32_e32 v14, 0x32a5705f, v11
	v_sub_f32_e32 v4, v4, v15
	v_fmac_f32_e32 v16, 0x32a5705f, v13
	v_sub_f32_e32 v12, v12, v17
	v_add_f32_e32 v4, v4, v14
	v_cvt_i32_f32_e32 v15, v15
	v_add_f32_e32 v12, v12, v16
	v_exp_f32_e32 v14, v4
	v_cvt_i32_f32_e32 v17, v17
	v_exp_f32_e32 v12, v12
	v_cmp_ngt_f32_e32 vcc, s20, v11
	v_ldexp_f32 v14, v14, v15
	v_mov_b32_e32 v4, s9
	v_ldexp_f32 v12, v12, v17
	v_cndmask_b32_e32 v14, 0, v14, vcc
	v_cmp_ngt_f32_e32 vcc, s20, v13
	s_nop 1
	v_cndmask_b32_e32 v12, 0, v12, vcc
	v_cmp_nlt_f32_e32 vcc, s23, v11
	s_nop 1
	v_cndmask_b32_e32 v14, v8, v14, vcc
	v_cmp_nlt_f32_e32 vcc, s23, v13
	s_nop 1
	v_cndmask_b32_e32 v15, v8, v12, vcc
	v_cmp_le_f32_e32 vcc, s24, v11
	s_nop 1
	v_cndmask_b32_e32 v12, 0, v14, vcc
	v_cmp_le_f32_e32 vcc, s24, v13
	s_nop 1
	v_cndmask_b32_e32 v14, 0, v15, vcc
	s_waitcnt vmcnt(0)
	v_pk_mul_f32 v[4:5], v[4:5], v[14:15] op_sel_hi:[1,0]
	s_nop 0
	v_pk_fma_f32 v[4:5], v[0:1], v[12:13], v[4:5] op_sel_hi:[1,0,1]
	s_cbranch_execz .LBB64_16
	s_branch .LBB64_17
.LBB64_15:
                                        ; implicit-def: $vgpr4_vgpr5
                                        ; implicit-def: $sgpr2_sgpr3
                                        ; implicit-def: $vgpr10
                                        ; implicit-def: $sgpr1
                                        ; implicit-def: $sgpr25
.LBB64_16:
	s_add_i32 s1, s21, -1
	s_mov_b64 s[2:3], 0
	s_mov_b32 s25, s6
	v_mov_b32_e32 v10, v9
	s_waitcnt vmcnt(0)
	v_mov_b64_e32 v[4:5], v[0:1]
.LBB64_17:
	s_andn2_b64 vcc, exec, s[2:3]
	s_cbranch_vccz .LBB64_22
; %bb.18:
	s_mov_b32 s6, s25
	s_mov_b32 s21, s1
	v_mov_b32_e32 v9, v10
	s_waitcnt vmcnt(0)
	v_mov_b64_e32 v[0:1], v[4:5]
	s_mul_hi_i32 s1, s21, s11
	s_cmp_lg_u64 s[0:1], 0
	s_mul_i32 s16, s21, s11
	s_cbranch_scc1 .LBB64_9
.LBB64_19:
                                        ; implicit-def: $sgpr8_sgpr9
	s_branch .LBB64_10
.LBB64_20:
                                        ; implicit-def: $sgpr6_sgpr7
	s_load_dwordx4 s[12:15], s[0:1], 0x44
	s_branch .LBB64_2
.LBB64_21:
                                        ; implicit-def: $sgpr18_sgpr19
	s_branch .LBB64_5
.LBB64_22:
	v_div_scale_f32 v0, s[0:1], v4, v4, v5
	s_waitcnt vmcnt(0)
	v_rcp_f32_e32 v1, v0
	v_div_scale_f32 v6, vcc, v5, v4, v5
	v_fma_f32 v7, -v0, v1, 1.0
	v_fmac_f32_e32 v1, v7, v1
	v_mul_f32_e32 v7, v6, v1
	v_fma_f32 v8, -v0, v7, v6
	v_fmac_f32_e32 v7, v8, v1
	v_fma_f32 v0, -v0, v7, v6
	v_div_fmas_f32 v0, v0, v1, v7
	v_div_fixup_f32 v0, v0, v4, v5
	global_store_dword v[2:3], v0, off
.LBB64_23:
	s_endpgm
	.section	.rodata,"a",@progbits
	.p2align	6, 0x0
	.amdhsa_kernel _ZL33flash_attn_stream_k_fixup_generalILi112ELi8ELi1EEvPfPK15HIP_vector_typeIfLj2EEiiiiS1_IjLj3EES5_S5_S5_
		.amdhsa_group_segment_fixed_size 0
		.amdhsa_private_segment_fixed_size 0
		.amdhsa_kernarg_size 336
		.amdhsa_user_sgpr_count 2
		.amdhsa_user_sgpr_dispatch_ptr 0
		.amdhsa_user_sgpr_queue_ptr 0
		.amdhsa_user_sgpr_kernarg_segment_ptr 1
		.amdhsa_user_sgpr_dispatch_id 0
		.amdhsa_user_sgpr_kernarg_preload_length 0
		.amdhsa_user_sgpr_kernarg_preload_offset 0
		.amdhsa_user_sgpr_private_segment_size 0
		.amdhsa_uses_dynamic_stack 0
		.amdhsa_enable_private_segment 0
		.amdhsa_system_sgpr_workgroup_id_x 1
		.amdhsa_system_sgpr_workgroup_id_y 1
		.amdhsa_system_sgpr_workgroup_id_z 1
		.amdhsa_system_sgpr_workgroup_info 0
		.amdhsa_system_vgpr_workitem_id 0
		.amdhsa_next_free_vgpr 18
		.amdhsa_next_free_sgpr 36
		.amdhsa_accum_offset 20
		.amdhsa_reserve_vcc 1
		.amdhsa_float_round_mode_32 0
		.amdhsa_float_round_mode_16_64 0
		.amdhsa_float_denorm_mode_32 3
		.amdhsa_float_denorm_mode_16_64 3
		.amdhsa_dx10_clamp 1
		.amdhsa_ieee_mode 1
		.amdhsa_fp16_overflow 0
		.amdhsa_tg_split 0
		.amdhsa_exception_fp_ieee_invalid_op 0
		.amdhsa_exception_fp_denorm_src 0
		.amdhsa_exception_fp_ieee_div_zero 0
		.amdhsa_exception_fp_ieee_overflow 0
		.amdhsa_exception_fp_ieee_underflow 0
		.amdhsa_exception_fp_ieee_inexact 0
		.amdhsa_exception_int_div_zero 0
	.end_amdhsa_kernel
	.section	.text._ZL33flash_attn_stream_k_fixup_generalILi112ELi8ELi1EEvPfPK15HIP_vector_typeIfLj2EEiiiiS1_IjLj3EES5_S5_S5_,"axG",@progbits,_ZL33flash_attn_stream_k_fixup_generalILi112ELi8ELi1EEvPfPK15HIP_vector_typeIfLj2EEiiiiS1_IjLj3EES5_S5_S5_,comdat
.Lfunc_end64:
	.size	_ZL33flash_attn_stream_k_fixup_generalILi112ELi8ELi1EEvPfPK15HIP_vector_typeIfLj2EEiiiiS1_IjLj3EES5_S5_S5_, .Lfunc_end64-_ZL33flash_attn_stream_k_fixup_generalILi112ELi8ELi1EEvPfPK15HIP_vector_typeIfLj2EEiiiiS1_IjLj3EES5_S5_S5_
                                        ; -- End function
	.set _ZL33flash_attn_stream_k_fixup_generalILi112ELi8ELi1EEvPfPK15HIP_vector_typeIfLj2EEiiiiS1_IjLj3EES5_S5_S5_.num_vgpr, 18
	.set _ZL33flash_attn_stream_k_fixup_generalILi112ELi8ELi1EEvPfPK15HIP_vector_typeIfLj2EEiiiiS1_IjLj3EES5_S5_S5_.num_agpr, 0
	.set _ZL33flash_attn_stream_k_fixup_generalILi112ELi8ELi1EEvPfPK15HIP_vector_typeIfLj2EEiiiiS1_IjLj3EES5_S5_S5_.numbered_sgpr, 36
	.set _ZL33flash_attn_stream_k_fixup_generalILi112ELi8ELi1EEvPfPK15HIP_vector_typeIfLj2EEiiiiS1_IjLj3EES5_S5_S5_.num_named_barrier, 0
	.set _ZL33flash_attn_stream_k_fixup_generalILi112ELi8ELi1EEvPfPK15HIP_vector_typeIfLj2EEiiiiS1_IjLj3EES5_S5_S5_.private_seg_size, 0
	.set _ZL33flash_attn_stream_k_fixup_generalILi112ELi8ELi1EEvPfPK15HIP_vector_typeIfLj2EEiiiiS1_IjLj3EES5_S5_S5_.uses_vcc, 1
	.set _ZL33flash_attn_stream_k_fixup_generalILi112ELi8ELi1EEvPfPK15HIP_vector_typeIfLj2EEiiiiS1_IjLj3EES5_S5_S5_.uses_flat_scratch, 0
	.set _ZL33flash_attn_stream_k_fixup_generalILi112ELi8ELi1EEvPfPK15HIP_vector_typeIfLj2EEiiiiS1_IjLj3EES5_S5_S5_.has_dyn_sized_stack, 0
	.set _ZL33flash_attn_stream_k_fixup_generalILi112ELi8ELi1EEvPfPK15HIP_vector_typeIfLj2EEiiiiS1_IjLj3EES5_S5_S5_.has_recursion, 0
	.set _ZL33flash_attn_stream_k_fixup_generalILi112ELi8ELi1EEvPfPK15HIP_vector_typeIfLj2EEiiiiS1_IjLj3EES5_S5_S5_.has_indirect_call, 0
	.section	.AMDGPU.csdata,"",@progbits
; Kernel info:
; codeLenInByte = 2936
; TotalNumSgprs: 42
; NumVgprs: 18
; NumAgprs: 0
; TotalNumVgprs: 18
; ScratchSize: 0
; MemoryBound: 0
; FloatMode: 240
; IeeeMode: 1
; LDSByteSize: 0 bytes/workgroup (compile time only)
; SGPRBlocks: 5
; VGPRBlocks: 2
; NumSGPRsForWavesPerEU: 42
; NumVGPRsForWavesPerEU: 18
; AccumOffset: 20
; Occupancy: 8
; WaveLimiterHint : 0
; COMPUTE_PGM_RSRC2:SCRATCH_EN: 0
; COMPUTE_PGM_RSRC2:USER_SGPR: 2
; COMPUTE_PGM_RSRC2:TRAP_HANDLER: 0
; COMPUTE_PGM_RSRC2:TGID_X_EN: 1
; COMPUTE_PGM_RSRC2:TGID_Y_EN: 1
; COMPUTE_PGM_RSRC2:TGID_Z_EN: 1
; COMPUTE_PGM_RSRC2:TIDIG_COMP_CNT: 0
; COMPUTE_PGM_RSRC3_GFX90A:ACCUM_OFFSET: 4
; COMPUTE_PGM_RSRC3_GFX90A:TG_SPLIT: 0
	.section	.text._ZL15flash_attn_tileILi112ELi112ELi4ELi1ELb0EEvPKcS1_S1_S1_S1_PKiPfP15HIP_vector_typeIfLj2EEffffjfiS5_IjLj3EEiiiiiiiiiiiliiliiiiil,"axG",@progbits,_ZL15flash_attn_tileILi112ELi112ELi4ELi1ELb0EEvPKcS1_S1_S1_S1_PKiPfP15HIP_vector_typeIfLj2EEffffjfiS5_IjLj3EEiiiiiiiiiiiliiliiiiil,comdat
	.globl	_ZL15flash_attn_tileILi112ELi112ELi4ELi1ELb0EEvPKcS1_S1_S1_S1_PKiPfP15HIP_vector_typeIfLj2EEffffjfiS5_IjLj3EEiiiiiiiiiiiliiliiiiil ; -- Begin function _ZL15flash_attn_tileILi112ELi112ELi4ELi1ELb0EEvPKcS1_S1_S1_S1_PKiPfP15HIP_vector_typeIfLj2EEffffjfiS5_IjLj3EEiiiiiiiiiiiliiliiiiil
	.p2align	8
	.type	_ZL15flash_attn_tileILi112ELi112ELi4ELi1ELb0EEvPKcS1_S1_S1_S1_PKiPfP15HIP_vector_typeIfLj2EEffffjfiS5_IjLj3EEiiiiiiiiiiiliiliiiiil,@function
_ZL15flash_attn_tileILi112ELi112ELi4ELi1ELb0EEvPKcS1_S1_S1_S1_PKiPfP15HIP_vector_typeIfLj2EEffffjfiS5_IjLj3EEiiiiiiiiiiiliiliiiiil: ; @_ZL15flash_attn_tileILi112ELi112ELi4ELi1ELb0EEvPKcS1_S1_S1_S1_PKiPfP15HIP_vector_typeIfLj2EEffffjfiS5_IjLj3EEiiiiiiiiiiiliiliiiiil
; %bb.0:
	s_load_dwordx4 s[24:27], s[0:1], 0x5c
	s_load_dwordx2 s[38:39], s[0:1], 0x80
	s_mov_b64 s[36:37], 0
	s_waitcnt lgkmcnt(0)
	v_cvt_f32_u32_e32 v1, s27
	s_sub_i32 s5, 0, s27
	v_rcp_iflag_f32_e32 v1, v1
	s_nop 0
	v_mul_f32_e32 v1, 0x4f7ffffe, v1
	v_cvt_u32_f32_e32 v1, v1
	s_nop 0
	v_readfirstlane_b32 s6, v1
	s_mul_i32 s5, s5, s6
	s_mul_hi_u32 s5, s6, s5
	s_add_i32 s6, s6, s5
	s_mul_hi_u32 s5, s4, s6
	s_mul_i32 s6, s5, s27
	s_sub_i32 s6, s4, s6
	s_add_i32 s7, s5, 1
	s_sub_i32 s8, s6, s27
	s_cmp_ge_u32 s6, s27
	s_cselect_b32 s5, s7, s5
	s_cselect_b32 s6, s8, s6
	s_add_i32 s7, s5, 1
	s_cmp_ge_u32 s6, s27
	s_cselect_b32 s33, s7, s5
	s_abs_i32 s5, s39
	v_cvt_f32_u32_e32 v1, s5
	s_sub_i32 s8, 0, s5
	s_abs_i32 s7, s27
	s_xor_b32 s6, s27, s39
	v_rcp_iflag_f32_e32 v1, v1
	s_ashr_i32 s6, s6, 31
	v_mul_f32_e32 v1, 0x4f7ffffe, v1
	v_cvt_u32_f32_e32 v1, v1
	v_mul_lo_u32 v2, s8, v1
	v_mul_hi_u32 v2, v1, v2
	v_add_u32_e32 v1, v1, v2
	v_mul_hi_u32 v1, s7, v1
	v_mul_lo_u32 v2, v1, s5
	v_sub_u32_e32 v2, s7, v2
	v_add_u32_e32 v3, 1, v1
	v_subrev_u32_e32 v4, s5, v2
	v_cmp_le_u32_e32 vcc, s5, v2
	s_load_dwordx16 s[8:23], s[0:1], 0x0
	s_load_dwordx2 s[40:41], s[0:1], 0xb8
	v_cndmask_b32_e32 v1, v1, v3, vcc
	v_cndmask_b32_e32 v2, v2, v4, vcc
	v_add_u32_e32 v3, 1, v1
	v_cmp_le_u32_e32 vcc, s5, v2
	s_mul_i32 s5, s33, s27
	s_sub_i32 s34, s4, s5
	v_cndmask_b32_e32 v1, v1, v3, vcc
	v_xor_b32_e32 v1, s6, v1
	v_subrev_u32_e32 v2, s6, v1
	v_sub_u32_e32 v1, 0, v2
	v_max_i32_e32 v1, v2, v1
	v_cvt_f32_u32_e32 v3, v1
	v_sub_u32_e32 v4, 0, v1
	s_waitcnt lgkmcnt(0)
	s_cmp_eq_u64 s[14:15], 0
	v_rcp_iflag_f32_e32 v3, v3
	s_nop 0
	v_mul_f32_e32 v3, 0x4f7ffffe, v3
	v_cvt_u32_f32_e32 v3, v3
	v_mul_lo_u32 v4, v4, v3
	v_mul_hi_u32 v4, v3, v4
	s_cbranch_scc1 .LBB65_2
; %bb.1:
	s_abs_i32 s6, s40
	v_cvt_f32_u32_e32 v5, s6
	s_sub_i32 s29, 0, s6
	s_abs_i32 s28, s33
	s_ashr_i32 s7, s33, 31
	v_rcp_iflag_f32_e32 v5, v5
	s_load_dwordx2 s[4:5], s[0:1], 0xc8
	v_mul_f32_e32 v5, 0x4f7ffffe, v5
	v_cvt_u32_f32_e32 v5, v5
	s_nop 0
	v_readfirstlane_b32 s30, v5
	s_mul_i32 s29, s29, s30
	s_mul_hi_u32 s29, s30, s29
	s_add_i32 s30, s30, s29
	s_mul_hi_u32 s29, s28, s30
	s_mul_i32 s29, s29, s6
	s_sub_i32 s28, s28, s29
	s_sub_i32 s29, s28, s6
	s_cmp_ge_u32 s28, s6
	s_cselect_b32 s28, s29, s28
	s_sub_i32 s29, s28, s6
	s_cmp_ge_u32 s28, s6
	s_cselect_b32 s6, s29, s28
	s_xor_b32 s6, s6, s7
	s_sub_i32 s6, s6, s7
	s_ashr_i32 s7, s6, 31
	s_waitcnt lgkmcnt(0)
	s_mul_hi_u32 s28, s4, s6
	s_mul_i32 s7, s4, s7
	s_mul_i32 s5, s5, s6
	s_add_i32 s7, s28, s7
	s_add_i32 s7, s7, s5
	s_mul_i32 s4, s4, s6
	s_add_u32 s36, s14, s4
	s_addc_u32 s37, s15, s7
.LBB65_2:
	s_load_dwordx4 s[28:31], s[0:1], 0x40
	s_load_dword s4, s[0:1], 0x50
	s_abs_i32 s39, s34
	v_add_u32_e32 v3, v3, v4
	v_mov_b32_e32 v76, 1.0
	s_waitcnt lgkmcnt(0)
	v_cmp_le_f32_e64 s[6:7], s29, 0
	s_and_b64 vcc, exec, s[6:7]
	s_cbranch_vccnz .LBB65_4
; %bb.3:
	v_mov_b32_e32 v4, s4
	v_sub_co_u32_e32 v4, vcc, s34, v4
	v_mov_b32_e32 v5, s31
	v_mov_b32_e32 v6, s30
	s_add_i32 s4, s34, 1
	v_lshlrev_b32_e32 v4, 1, v4
	v_cndmask_b32_e32 v5, v5, v6, vcc
	v_or_b32_e32 v4, 1, v4
	v_mov_b32_e32 v6, s4
	v_cndmask_b32_e32 v4, v4, v6, vcc
	v_cvt_f32_i32_e32 v4, v4
	v_cmp_neq_f32_e32 vcc, 1.0, v5
	s_mov_b32 s4, 0x3f2aaaab
	s_movk_i32 s6, 0x204
	v_cndmask_b32_e32 v20, 1.0, v4, vcc
	v_cmp_neq_f32_e32 vcc, 0, v20
	s_mov_b32 s5, 0x42b17218
	s_mov_b32 s7, 0x3fb8aa3b
	v_cndmask_b32_e32 v21, 1.0, v5, vcc
	v_frexp_mant_f32_e64 v4, |v21|
	v_cmp_gt_f32_e32 vcc, s4, v4
	s_mov_b32 s4, 0x3f317218
	s_brev_b32 s30, -2
	v_cndmask_b32_e64 v5, 1.0, 2.0, vcc
	v_mul_f32_e32 v4, v4, v5
	v_add_f32_e32 v7, 1.0, v4
	v_rcp_f32_e32 v12, v7
	v_add_f32_e32 v5, -1.0, v7
	v_sub_f32_e32 v9, v4, v5
	v_add_f32_e32 v5, -1.0, v4
	v_mul_f32_e32 v13, v5, v12
	v_mul_f32_e32 v6, v7, v13
	v_fma_f32 v8, v13, v7, -v6
	v_fmac_f32_e32 v8, v13, v9
	v_add_f32_e32 v4, v6, v8
	v_sub_f32_e32 v7, v5, v4
	v_pk_add_f32 v[10:11], v[4:5], v[6:7] neg_lo:[0,1] neg_hi:[0,1]
	v_mov_b32_e32 v9, v4
	v_pk_add_f32 v[4:5], v[10:11], v[8:9] neg_lo:[0,1] neg_hi:[0,1]
	v_mov_b32_e32 v8, 0x3e91f4c4
	v_add_f32_e32 v4, v4, v5
	v_add_f32_e32 v4, v7, v4
	v_mul_f32_e32 v5, v12, v4
	v_add_f32_e32 v4, v13, v5
	v_sub_f32_e32 v6, v4, v13
	v_sub_f32_e32 v14, v5, v6
	v_mul_f32_e32 v5, v4, v4
	v_fma_f32 v7, v4, v4, -v5
	v_add_f32_e32 v6, v14, v14
	v_fmac_f32_e32 v7, v4, v6
	v_add_f32_e32 v6, v5, v7
	v_fmac_f32_e32 v8, 0x3e76c4e1, v6
	v_fmaak_f32 v8, v6, v8, 0x3ecccdef
	v_sub_f32_e32 v5, v6, v5
	v_sub_f32_e32 v15, v7, v5
	v_mul_f32_e32 v5, v6, v8
	v_fma_f32 v7, v6, v8, -v5
	v_fmac_f32_e32 v7, v15, v8
	v_add_f32_e32 v8, v5, v7
	v_add_f32_e32 v9, 0x3f2aaaaa, v8
	v_sub_f32_e32 v5, v8, v5
	v_sub_f32_e32 v5, v7, v5
	v_add_f32_e32 v7, 0xbf2aaaaa, v9
	v_add_f32_e32 v5, 0x31739010, v5
	v_sub_f32_e32 v7, v8, v7
	v_pk_mul_f32 v[10:11], v[4:5], v[6:7]
	v_pk_add_f32 v[12:13], v[4:5], v[6:7]
	v_fma_f32 v8, v6, v4, -v10
	v_fmac_f32_e32 v8, v6, v14
	v_mov_b32_e32 v11, v13
	v_fmac_f32_e32 v8, v15, v4
	v_pk_add_f32 v[6:7], v[10:11], v[8:9]
	v_ldexp_f32 v16, v14, 1
	v_sub_f32_e32 v5, v6, v10
	v_sub_f32_e32 v5, v8, v5
	;; [unrolled: 1-line block ×3, first 2 shown]
	v_add_f32_e32 v11, v13, v8
	v_pk_mul_f32 v[8:9], v[6:7], v[6:7] op_sel:[0,1] op_sel_hi:[1,0]
	v_cvt_f64_f32_e64 v[12:13], |v21|
	v_frexp_exp_i32_f64_e32 v9, v[12:13]
	v_subbrev_co_u32_e32 v9, vcc, 0, v9, vcc
	v_cvt_f32_i32_e32 v9, v9
	v_fma_f32 v10, v6, v7, -v8
	v_fmac_f32_e32 v10, v6, v11
	v_fmac_f32_e32 v10, v5, v7
	v_mul_f32_e32 v6, 0x3f317218, v9
	v_fma_f32 v5, v9, s4, -v6
	v_fmamk_f32 v12, v9, 0xb102e308, v5
	v_ldexp_f32 v13, v4, 1
	v_add_f32_e32 v7, v8, v10
	v_pk_add_f32 v[4:5], v[6:7], v[12:13]
	v_mov_b32_e32 v14, v7
	v_mov_b32_e32 v15, v5
	;; [unrolled: 1-line block ×3, first 2 shown]
	v_pk_add_f32 v[8:9], v[14:15], v[8:9] neg_lo:[0,1] neg_hi:[0,1]
	v_mov_b32_e32 v11, v7
	v_pk_add_f32 v[8:9], v[10:11], v[8:9] neg_lo:[0,1] neg_hi:[0,1]
	v_mov_b32_e32 v13, v4
	v_add_f32_e32 v7, v16, v8
	v_add_f32_e32 v7, v7, v9
	v_pk_add_f32 v[8:9], v[4:5], v[6:7] neg_lo:[0,1] neg_hi:[0,1]
	v_pk_add_f32 v[10:11], v[4:5], v[6:7]
	v_mov_b32_e32 v18, v5
	v_mov_b32_e32 v9, v11
	v_pk_add_f32 v[14:15], v[12:13], v[8:9] neg_lo:[0,1] neg_hi:[0,1]
	v_pk_add_f32 v[8:9], v[12:13], v[8:9]
	v_mov_b32_e32 v6, v7
	v_pk_add_f32 v[12:13], v[8:9], v[4:5] op_sel:[1,0] op_sel_hi:[0,1] neg_lo:[0,1] neg_hi:[0,1]
	v_pk_add_f32 v[16:17], v[10:11], v[12:13] op_sel_hi:[1,0] neg_lo:[0,1] neg_hi:[0,1]
	v_mov_b32_e32 v10, v11
	v_mov_b32_e32 v11, v9
	;; [unrolled: 1-line block ×3, first 2 shown]
	v_pk_add_f32 v[10:11], v[10:11], v[18:19] neg_lo:[0,1] neg_hi:[0,1]
	v_mov_b32_e32 v7, v4
	v_pk_add_f32 v[4:5], v[6:7], v[10:11] neg_lo:[0,1] neg_hi:[0,1]
	v_mov_b32_e32 v16, v14
	v_pk_add_f32 v[6:7], v[16:17], v[4:5]
	v_mov_b32_e32 v15, v9
	v_pk_add_f32 v[10:11], v[6:7], v[6:7] op_sel:[0,1] op_sel_hi:[1,0]
	s_mov_b32 s4, 0x7f800000
	v_pk_add_f32 v[8:9], v[8:9], v[10:11] op_sel:[1,0] op_sel_hi:[0,1]
	v_mov_b32_e32 v7, v8
	v_pk_add_f32 v[12:13], v[6:7], v[14:15] neg_lo:[0,1] neg_hi:[0,1]
	v_mov_b32_e32 v5, v10
	v_sub_f32_e32 v6, v6, v12
	v_pk_add_f32 v[4:5], v[4:5], v[12:13] neg_lo:[0,1] neg_hi:[0,1]
	v_sub_f32_e32 v6, v14, v6
	v_add_f32_e32 v4, v4, v6
	v_add_f32_e32 v4, v4, v5
	;; [unrolled: 1-line block ×3, first 2 shown]
	v_sub_f32_e32 v6, v5, v8
	v_sub_f32_e32 v4, v4, v6
	v_mul_f32_e32 v6, v20, v5
	v_fma_f32 v5, v20, v5, -v6
	v_fmac_f32_e32 v5, v20, v4
	v_add_f32_e32 v4, v6, v5
	v_cmp_class_f32_e64 vcc, v6, s6
	v_sub_f32_e32 v7, v4, v6
	v_sub_f32_e32 v5, v5, v7
	v_cndmask_b32_e32 v4, v4, v6, vcc
	v_mov_b32_e32 v6, 0x37000000
	v_cmp_eq_f32_e32 vcc, s5, v4
	v_cmp_class_f32_e64 s[14:15], v21, s6
	s_nop 0
	v_cndmask_b32_e32 v6, 0, v6, vcc
	v_sub_f32_e32 v7, v4, v6
	v_mul_f32_e32 v8, 0x3fb8aa3b, v7
	v_fma_f32 v9, v7, s7, -v8
	v_rndne_f32_e32 v10, v8
	v_fmamk_f32 v9, v7, 0x32a5705f, v9
	v_sub_f32_e32 v8, v8, v10
	v_add_f32_e32 v8, v8, v9
	v_exp_f32_e32 v8, v8
	v_cvt_i32_f32_e32 v9, v10
	v_cmp_neq_f32_e64 vcc, |v4|, s4
	s_mov_b32 s4, 0xc2ce8ed0
	s_nop 0
	v_cndmask_b32_e32 v4, 0, v5, vcc
	v_ldexp_f32 v5, v8, v9
	v_cmp_ngt_f32_e32 vcc, s4, v7
	v_add_f32_e32 v4, v6, v4
	v_mov_b32_e32 v6, 0x7f800000
	v_cndmask_b32_e32 v5, 0, v5, vcc
	v_cmp_nlt_f32_e32 vcc, s5, v7
	v_mov_b32_e32 v7, 0x7fc00000
	s_nop 0
	v_cndmask_b32_e32 v5, v6, v5, vcc
	v_fma_f32 v4, v5, v4, v5
	v_cmp_class_f32_e64 vcc, v5, s6
	v_cmp_gt_f32_e64 s[6:7], 0, v20
	s_nop 0
	v_cndmask_b32_e32 v4, v4, v5, vcc
	v_trunc_f32_e32 v5, v20
	v_cmp_eq_f32_e32 vcc, v5, v20
	v_mul_f32_e32 v5, 0.5, v20
	v_trunc_f32_e32 v8, v5
	v_cmp_neq_f32_e64 s[4:5], v8, v5
	s_and_b64 s[4:5], vcc, s[4:5]
	s_nop 0
	v_cndmask_b32_e64 v5, 1.0, v21, s[4:5]
	v_bfi_b32 v4, s30, v4, v5
	v_cndmask_b32_e32 v5, v7, v4, vcc
	v_cmp_gt_f32_e32 vcc, 0, v21
	s_nop 1
	v_cndmask_b32_e32 v4, v4, v5, vcc
	v_cmp_eq_f32_e32 vcc, 0, v21
	s_xor_b64 s[6:7], s[6:7], vcc
	v_cndmask_b32_e64 v5, v6, 0, s[6:7]
	v_cndmask_b32_e64 v6, 0, v21, s[4:5]
	v_bfi_b32 v5, s30, v5, v6
	s_or_b64 vcc, vcc, s[14:15]
	v_cndmask_b32_e32 v4, v4, v5, vcc
	v_cmp_o_f32_e32 vcc, v21, v21
	s_nop 1
	v_cndmask_b32_e32 v76, v7, v4, vcc
.LBB65_4:
	s_lshl_b32 s4, s2, 2
	v_bfe_u32 v73, v0, 10, 10
	v_and_b32_e32 v44, 0x3ff, v0
	s_movk_i32 s5, 0xe0
	v_mov_b32_e32 v0, 0x1040
	v_mul_hi_u32 v3, s39, v3
	v_cmp_gt_u32_e64 s[14:15], 28, v44
	v_mad_u32_u24 v77, v73, s5, v0
	v_lshlrev_b32_e32 v70, 3, v44
	v_add_u32_e32 v45, s4, v73
	s_and_saveexec_b64 s[4:5], s[14:15]
	s_cbranch_execz .LBB65_6
; %bb.5:
	s_load_dwordx4 s[44:47], s[0:1], 0x70
	v_mul_hi_u32 v0, s24, v45
	v_add_u32_e32 v0, v45, v0
	v_lshrrev_b32_e32 v0, s25, v0
	v_mul_lo_u32 v0, v0, s26
	s_waitcnt lgkmcnt(0)
	s_mul_i32 s6, s33, s46
	s_ashr_i32 s30, s6, 31
	s_mul_i32 s7, s34, s45
	s_add_u32 s6, s8, s6
	s_addc_u32 s8, s9, s30
	s_ashr_i32 s9, s7, 31
	s_add_u32 s6, s6, s7
	s_addc_u32 s7, s8, s9
	s_ashr_i32 s45, s44, 31
	s_lshr_b64 s[8:9], s[44:45], 2
	v_sub_u32_e32 v6, v45, v0
	v_mad_u64_u32 v[4:5], s[8:9], s8, v6, 0
	v_mov_b32_e32 v0, v5
	s_lshr_b32 s8, s45, 2
	v_mad_u64_u32 v[6:7], s[8:9], s8, v6, v[0:1]
	v_mov_b32_e32 v5, v6
	v_lshl_add_u64 v[4:5], v[4:5], 2, s[6:7]
	v_lshlrev_b32_e32 v6, 4, v44
	v_mov_b32_e32 v7, 0
	v_lshl_add_u64 v[4:5], v[4:5], 0, v[6:7]
	global_load_dwordx4 v[4:7], v[4:5], off
	v_add_u32_e32 v0, v77, v70
	s_waitcnt vmcnt(0)
	v_fma_mixlo_f16 v8, s28, v4, 0
	v_mov_b32_e32 v4, v7
	v_pk_mul_f32 v[4:5], s[28:29], v[4:5] op_sel_hi:[0,1]
	v_cvt_pk_f16_f32 v4, v4, v5
	v_fma_mixlo_f16 v6, s28, v6, 0
	v_and_b32_e32 v7, 0xffff, v8
	v_lshlrev_b32_e32 v5, 16, v4
	v_and_b32_e32 v4, 0xffff0000, v4
	v_and_b32_e32 v6, 0xffff, v6
	v_or_b32_e32 v4, v4, v7
	v_or3_b32 v5, v5, v6, 0
	v_or3_b32 v4, 0, 0, v4
	ds_write_b64 v0, v[4:5]
.LBB65_6:
	s_or_b64 exec, exec, s[4:5]
	s_ashr_i32 s35, s34, 31
	v_ashrrev_i32_e32 v0, 31, v2
	s_cmp_eq_u64 s[18:19], 0
	s_waitcnt lgkmcnt(0)
	s_barrier
	s_cbranch_scc1 .LBB65_8
; %bb.7:
	s_load_dword s4, s[0:1], 0xd0
	s_mov_b32 s5, 0
	s_waitcnt lgkmcnt(0)
	s_mul_i32 s4, s4, s33
	s_add_i32 s4, s4, s2
	s_lshl_b64 s[4:5], s[4:5], 2
	s_add_u32 s4, s18, s4
	s_addc_u32 s5, s19, s5
	s_load_dword s38, s[4:5], 0x0
.LBB65_8:
	s_load_dwordx2 s[8:9], s[0:1], 0x8c
	s_nop 0
	s_load_dwordx4 s[4:7], s[0:1], 0x98
	s_load_dwordx2 s[18:19], s[0:1], 0xa8
	v_mul_lo_u32 v2, v3, v1
	v_sub_u32_e32 v2, s39, v2
	v_add_u32_e32 v4, 1, v3
	v_sub_u32_e32 v5, v2, v1
	v_cmp_ge_u32_e32 vcc, v2, v1
	s_waitcnt lgkmcnt(0)
	s_ashr_i32 s2, s6, 2
	s_ashr_i32 s6, s33, 31
	v_cndmask_b32_e32 v3, v3, v4, vcc
	v_cndmask_b32_e32 v2, v2, v5, vcc
	v_add_u32_e32 v4, 1, v3
	v_cmp_ge_u32_e32 vcc, v2, v1
	s_ashr_i32 s40, s41, 1
	s_ashr_i32 s41, s8, 2
	s_mul_hi_u32 s8, s4, s33
	s_mul_i32 s28, s4, s6
	v_xor_b32_e32 v0, s35, v0
	v_cndmask_b32_e32 v1, v3, v4, vcc
	s_add_i32 s8, s8, s28
	s_mul_i32 s5, s5, s33
	v_xor_b32_e32 v1, v1, v0
	s_add_i32 s8, s8, s5
	s_mul_i32 s4, s4, s33
	v_sub_u32_e32 v2, v1, v0
	s_add_u32 s4, s10, s4
	v_mul_lo_u32 v0, v2, s9
	s_addc_u32 s5, s11, s8
	v_ashrrev_i32_e32 v1, 31, v0
	v_lshl_add_u64 v[40:41], s[4:5], 0, v[0:1]
	s_mul_hi_u32 s4, s18, s33
	s_mul_i32 s5, s18, s6
	s_add_i32 s4, s4, s5
	s_mul_i32 s5, s19, s33
	s_add_i32 s5, s4, s5
	s_mul_i32 s4, s18, s33
	s_add_u32 s4, s12, s4
	v_mul_lo_u32 v0, v2, s7
	s_addc_u32 s5, s13, s5
	v_ashrrev_i32_e32 v1, 31, v0
	s_lshl_b32 s39, s3, 5
	s_sub_i32 s42, s38, 32
	v_lshl_add_u64 v[46:47], s[4:5], 0, v[0:1]
	s_cmp_ge_i32 s39, s42
	v_lshl_add_u32 v83, v73, 5, v44
	v_lshrrev_b32_e32 v82, 1, v44
	v_lshlrev_b32_e32 v74, 2, v44
	v_lshrrev_b32_e32 v53, 2, v44
	v_lshlrev_b32_e32 v80, 7, v44
	v_lshrrev_b32_e32 v75, 3, v44
	v_mbcnt_lo_u32_b32 v78, -1, 0
	s_cbranch_scc1 .LBB65_31
; %bb.9:
	v_lshl_add_u32 v1, v73, 4, v82
	v_and_b32_e32 v52, 4, v74
	v_lshlrev_b32_e32 v4, 7, v1
	v_lshlrev_b32_e32 v5, 2, v52
	v_or3_b32 v86, v4, v5, 64
	v_mul_hi_u32 v4, s24, v45
	v_add_u32_e32 v4, v45, v4
	v_lshrrev_b32_e32 v4, s25, v4
	v_mul_lo_u32 v4, v4, s26
	v_and_b32_e32 v0, 12, v74
	v_sub_u32_e32 v4, v45, v4
	v_lshl_add_u32 v2, v73, 3, v53
	v_lshlrev_b32_e32 v3, 2, v0
	v_mad_u64_u32 v[56:57], s[8:9], v4, s40, v[44:45]
	v_mov_b32_e32 v4, 0x13c0
	v_cmp_gt_u32_e64 s[6:7], 32, v1
	v_lshl_or_b32 v84, v2, 7, v3
	v_mul_lo_u32 v48, s41, v2
	v_mul_lo_u32 v54, s41, v1
	s_cmp_lg_u64 s[36:37], 0
	v_lshl_add_u32 v57, v73, 6, v4
	v_cmp_gt_u32_e64 s[8:9], 16, v1
	v_cmp_gt_u32_e64 s[10:11], 16, v2
	v_lshl_add_u32 v4, v73, 2, v75
	v_mul_u32_u24_e32 v6, 0xe0, v1
	v_mul_lo_u32 v60, s2, v1
	v_mul_u32_u24_e32 v1, 0xe0, v2
	s_movk_i32 s13, 0x80
	v_mul_lo_u32 v62, s2, v2
	v_and_b32_e32 v2, 28, v74
	v_mov_b32_e32 v43, 0
	v_mul_lo_u32 v50, s41, v83
	s_cselect_b64 s[18:19], -1, 0
	v_mul_lo_u32 v58, s2, v4
	s_movk_i32 s12, 0xe0
	v_or_b32_e32 v5, v6, v5
	v_add3_u32 v89, v1, v3, s13
	v_lshlrev_b32_e32 v1, 2, v2
	s_add_u32 s28, s0, 0xd0
	v_cmp_gt_u32_e64 s[4:5], 32, v83
	v_ashrrev_i32_e32 v49, 31, v48
	v_or_b32_e32 v85, 0x60, v80
	v_ashrrev_i32_e32 v51, 31, v50
	v_ashrrev_i32_e32 v55, 31, v54
	v_lshl_add_u32 v87, v44, 1, v57
	v_ashrrev_i32_e32 v59, 31, v58
	v_add_u32_e32 v88, 0xc0, v5
	v_ashrrev_i32_e32 v61, 31, v60
	v_ashrrev_i32_e32 v63, 31, v62
	v_mad_u32_u24 v90, v4, s12, v1
	s_addc_u32 s29, s1, 0
	v_mov_b32_e32 v6, 0xfeffffff
	v_lshlrev_b32_e32 v42, 2, v0
	s_mov_b32 s43, 0x3fb8aa3b
	s_mov_b32 s44, 0xc2ce8ed0
	;; [unrolled: 1-line block ×4, first 2 shown]
	v_lshlrev_b32_e32 v64, 2, v2
	v_mbcnt_hi_u32_b32 v91, -1, v78
	v_mov_b32_e32 v92, 0x7f800000
	v_mov_b32_e32 v72, v43
	;; [unrolled: 1-line block ×4, first 2 shown]
.LBB65_10:                              ; =>This Inner Loop Header: Depth=1
	s_mul_hi_i32 s13, s39, s41
	s_mul_i32 s12, s39, s41
	s_lshl_b64 s[12:13], s[12:13], 2
	v_lshl_add_u64 v[4:5], v[40:41], 0, s[12:13]
	v_lshl_add_u64 v[2:3], v[50:51], 2, v[4:5]
	s_and_saveexec_b64 s[12:13], s[4:5]
	s_cbranch_execz .LBB65_12
; %bb.11:                               ;   in Loop: Header=BB65_10 Depth=1
	global_load_dwordx4 v[8:11], v[2:3], off offset:96
	s_waitcnt vmcnt(0)
	ds_write_b128 v85, v[8:11]
.LBB65_12:                              ;   in Loop: Header=BB65_10 Depth=1
	s_or_b64 exec, exec, s[12:13]
	v_lshl_add_u64 v[0:1], v[54:55], 2, v[4:5]
	v_lshlrev_b32_e32 v66, 2, v52
	s_and_saveexec_b64 s[12:13], s[6:7]
	s_cbranch_execz .LBB65_14
; %bb.13:                               ;   in Loop: Header=BB65_10 Depth=1
	v_mov_b32_e32 v67, v43
	v_lshl_add_u64 v[8:9], v[0:1], 0, v[66:67]
	global_load_dwordx4 v[8:11], v[8:9], off offset:64
	s_waitcnt vmcnt(0)
	ds_write_b128 v86, v[8:11]
.LBB65_14:                              ;   in Loop: Header=BB65_10 Depth=1
	s_or_b64 exec, exec, s[12:13]
	v_lshl_add_u64 v[4:5], v[48:49], 2, v[4:5]
	v_lshl_add_u64 v[4:5], v[4:5], 0, v[42:43]
	global_load_dwordx4 v[8:11], v[4:5], off
	v_mov_b32_e32 v7, v43
	s_waitcnt vmcnt(0)
	ds_write_b128 v84, v[8:11]
	s_waitcnt lgkmcnt(0)
	s_barrier
	ds_read_b128 v[8:11], v80
	ds_read_b128 v[12:15], v77
	s_waitcnt lgkmcnt(0)
	;;#ASMSTART
	v_dot2_f32_f16 v7, v8, v12, v7
	;;#ASMEND
	s_nop 0
	;;#ASMSTART
	v_dot2_f32_f16 v7, v9, v13, v7
	;;#ASMEND
	s_nop 0
	;;#ASMSTART
	v_dot2_f32_f16 v7, v10, v14, v7
	;;#ASMEND
	s_nop 0
	;;#ASMSTART
	v_dot2_f32_f16 v7, v11, v15, v7
	;;#ASMEND
	ds_read_b128 v[8:11], v80 offset:16
	ds_read_b128 v[12:15], v77 offset:16
	s_waitcnt lgkmcnt(0)
	;;#ASMSTART
	v_dot2_f32_f16 v7, v8, v12, v7
	;;#ASMEND
	s_nop 0
	;;#ASMSTART
	v_dot2_f32_f16 v7, v9, v13, v7
	;;#ASMEND
	s_nop 0
	;;#ASMSTART
	v_dot2_f32_f16 v7, v10, v14, v7
	;;#ASMEND
	s_nop 0
	;;#ASMSTART
	v_dot2_f32_f16 v7, v11, v15, v7
	;;#ASMEND
	ds_read_b128 v[8:11], v80 offset:32
	ds_read_b128 v[12:15], v77 offset:32
	;; [unrolled: 18-line block ×6, first 2 shown]
	s_waitcnt lgkmcnt(0)
	;;#ASMSTART
	v_dot2_f32_f16 v7, v8, v12, v7
	;;#ASMEND
	s_nop 0
	;;#ASMSTART
	v_dot2_f32_f16 v7, v9, v13, v7
	;;#ASMEND
	s_nop 0
	;; [unrolled: 4-line block ×3, first 2 shown]
	;;#ASMSTART
	v_dot2_f32_f16 v7, v11, v15, v7
	;;#ASMEND
	s_barrier
	s_and_saveexec_b64 s[12:13], s[4:5]
	s_cbranch_execz .LBB65_16
; %bb.15:                               ;   in Loop: Header=BB65_10 Depth=1
	global_load_dwordx4 v[8:11], v[2:3], off offset:208
	s_waitcnt vmcnt(0)
	ds_write_b128 v85, v[8:11]
.LBB65_16:                              ;   in Loop: Header=BB65_10 Depth=1
	s_or_b64 exec, exec, s[12:13]
	s_and_saveexec_b64 s[12:13], s[6:7]
	s_cbranch_execz .LBB65_18
; %bb.17:                               ;   in Loop: Header=BB65_10 Depth=1
	v_mov_b32_e32 v67, v43
	v_lshl_add_u64 v[0:1], v[0:1], 0, v[66:67]
	global_load_dwordx4 v[0:3], v[0:1], off offset:176
	s_waitcnt vmcnt(0)
	ds_write_b128 v86, v[0:3]
.LBB65_18:                              ;   in Loop: Header=BB65_10 Depth=1
	s_or_b64 exec, exec, s[12:13]
	global_load_dwordx4 v[0:3], v[4:5], off offset:112
	s_andn2_b64 vcc, exec, s[18:19]
	s_waitcnt vmcnt(0)
	ds_write_b128 v84, v[0:3]
	s_waitcnt lgkmcnt(0)
	s_barrier
	ds_read_b128 v[0:3], v80
	ds_read_b128 v[8:11], v77 offset:112
	s_waitcnt lgkmcnt(0)
	;;#ASMSTART
	v_dot2_f32_f16 v7, v0, v8, v7
	;;#ASMEND
	s_nop 0
	;;#ASMSTART
	v_dot2_f32_f16 v7, v1, v9, v7
	;;#ASMEND
	s_nop 0
	;;#ASMSTART
	v_dot2_f32_f16 v7, v2, v10, v7
	;;#ASMEND
	s_nop 0
	;;#ASMSTART
	v_dot2_f32_f16 v7, v3, v11, v7
	;;#ASMEND
	ds_read_b128 v[0:3], v80 offset:16
	ds_read_b128 v[8:11], v77 offset:128
	s_waitcnt lgkmcnt(0)
	;;#ASMSTART
	v_dot2_f32_f16 v7, v0, v8, v7
	;;#ASMEND
	s_nop 0
	;;#ASMSTART
	v_dot2_f32_f16 v7, v1, v9, v7
	;;#ASMEND
	s_nop 0
	;;#ASMSTART
	v_dot2_f32_f16 v7, v2, v10, v7
	;;#ASMEND
	s_nop 0
	;;#ASMSTART
	v_dot2_f32_f16 v7, v3, v11, v7
	;;#ASMEND
	ds_read_b128 v[0:3], v80 offset:32
	;; [unrolled: 18-line block ×6, first 2 shown]
	ds_read_b128 v[8:11], v77 offset:208
	s_waitcnt lgkmcnt(0)
	;;#ASMSTART
	v_dot2_f32_f16 v7, v0, v8, v7
	;;#ASMEND
	s_nop 0
	;;#ASMSTART
	v_dot2_f32_f16 v7, v1, v9, v7
	;;#ASMEND
	s_nop 0
	;; [unrolled: 4-line block ×3, first 2 shown]
	;;#ASMSTART
	v_dot2_f32_f16 v7, v3, v11, v7
	;;#ASMEND
	s_cbranch_vccnz .LBB65_20
; %bb.19:                               ;   in Loop: Header=BB65_10 Depth=1
	v_add_u32_e32 v0, s39, v56
	v_ashrrev_i32_e32 v1, 31, v0
	v_lshl_add_u64 v[0:1], v[0:1], 1, s[36:37]
	global_load_ushort v0, v[0:1], off
	s_waitcnt vmcnt(0)
	v_cvt_f32_f16_e32 v0, v0
	v_mul_f32_e32 v0, v76, v0
	s_branch .LBB65_21
.LBB65_20:                              ;   in Loop: Header=BB65_10 Depth=1
	v_mov_b32_e32 v0, 0
.LBB65_21:                              ;   in Loop: Header=BB65_10 Depth=1
	v_and_b32_e32 v1, 0x60, v91
	v_add_u32_e32 v1, 32, v1
	v_xor_b32_e32 v2, 16, v91
	v_cmp_lt_i32_e32 vcc, v2, v1
	v_add_f32_e32 v0, v7, v0
	v_add_f32_e32 v3, 0x40051340, v0
	v_cndmask_b32_e32 v2, v91, v2, vcc
	v_max_f32_e32 v4, v6, v6
	v_lshlrev_b32_e32 v2, 2, v2
	v_max_f32_e32 v3, v4, v3
	ds_bpermute_b32 v2, v2, v3
	v_xor_b32_e32 v4, 8, v91
	v_cmp_lt_i32_e32 vcc, v4, v1
	s_mul_hi_i32 s13, s39, s2
	s_mul_i32 s12, s39, s2
	v_cndmask_b32_e32 v4, v91, v4, vcc
	s_waitcnt lgkmcnt(0)
	v_max_f32_e32 v2, v2, v2
	v_lshlrev_b32_e32 v4, 2, v4
	v_max_f32_e32 v2, v3, v2
	ds_bpermute_b32 v3, v4, v2
	v_xor_b32_e32 v4, 4, v91
	v_cmp_lt_i32_e32 vcc, v4, v1
	s_lshl_b64 s[12:13], s[12:13], 2
	s_waitcnt lgkmcnt(0)
	v_cndmask_b32_e32 v4, v91, v4, vcc
	v_max_f32_e32 v3, v3, v3
	v_lshlrev_b32_e32 v4, 2, v4
	v_max_f32_e32 v2, v2, v3
	ds_bpermute_b32 v3, v4, v2
	v_xor_b32_e32 v4, 2, v91
	v_cmp_lt_i32_e32 vcc, v4, v1
	s_barrier
	s_waitcnt lgkmcnt(0)
	v_cndmask_b32_e32 v4, v91, v4, vcc
	v_max_f32_e32 v3, v3, v3
	v_lshlrev_b32_e32 v4, 2, v4
	v_max_f32_e32 v2, v2, v3
	ds_bpermute_b32 v3, v4, v2
	v_xor_b32_e32 v4, 1, v91
	v_cmp_lt_i32_e32 vcc, v4, v1
	s_waitcnt lgkmcnt(0)
	v_max_f32_e32 v3, v3, v3
	v_cndmask_b32_e32 v1, v91, v4, vcc
	v_lshlrev_b32_e32 v1, 2, v1
	v_max_f32_e32 v2, v2, v3
	ds_bpermute_b32 v1, v1, v2
	s_waitcnt lgkmcnt(0)
	v_max_f32_e32 v1, v1, v1
	v_max_f32_e32 v81, v2, v1
	v_sub_f32_e32 v0, v0, v81
	v_mul_f32_e32 v1, 0x3fb8aa3b, v0
	v_fma_f32 v2, v0, s43, -v1
	v_rndne_f32_e32 v3, v1
	v_fmac_f32_e32 v2, 0x32a5705f, v0
	v_sub_f32_e32 v1, v1, v3
	v_add_f32_e32 v1, v1, v2
	v_exp_f32_e32 v1, v1
	v_cvt_i32_f32_e32 v2, v3
	v_cmp_ngt_f32_e32 vcc, s44, v0
	v_ldexp_f32 v1, v1, v2
	s_nop 0
	v_cndmask_b32_e32 v1, 0, v1, vcc
	v_cmp_nlt_f32_e32 vcc, s45, v0
	s_nop 1
	v_cndmask_b32_e32 v79, v92, v1, vcc
	v_cvt_f16_f32_e32 v0, v79
	ds_write_b16 v87, v0
	v_lshl_add_u64 v[0:1], v[46:47], 0, s[12:13]
	s_and_saveexec_b64 s[12:13], s[8:9]
	s_cbranch_execz .LBB65_23
; %bb.22:                               ;   in Loop: Header=BB65_10 Depth=1
	v_lshl_add_u64 v[2:3], v[60:61], 2, v[0:1]
	v_mov_b32_e32 v67, v43
	v_lshl_add_u64 v[2:3], v[2:3], 0, v[66:67]
	global_load_dwordx4 v[2:5], v[2:3], off offset:192
	s_waitcnt vmcnt(0)
	ds_write_b128 v88, v[2:5]
.LBB65_23:                              ;   in Loop: Header=BB65_10 Depth=1
	s_or_b64 exec, exec, s[12:13]
	s_and_saveexec_b64 s[12:13], s[10:11]
	s_cbranch_execz .LBB65_25
; %bb.24:                               ;   in Loop: Header=BB65_10 Depth=1
	v_lshl_add_u64 v[2:3], v[62:63], 2, v[0:1]
	v_lshl_add_u64 v[2:3], v[2:3], 0, v[42:43]
	global_load_dwordx4 v[2:5], v[2:3], off offset:128
	s_waitcnt vmcnt(0)
	ds_write_b128 v89, v[2:5]
.LBB65_25:                              ;   in Loop: Header=BB65_10 Depth=1
	s_or_b64 exec, exec, s[12:13]
	v_lshl_add_u64 v[0:1], v[58:59], 2, v[0:1]
	v_mov_b32_e32 v65, v43
	v_lshl_add_u64 v[0:1], v[0:1], 0, v[64:65]
	global_load_dwordx4 v[0:3], v[0:1], off
	v_sub_f32_e32 v95, v6, v81
	v_add_u32_e32 v94, 0x800, v70
	s_or_b32 s30, s39, 16
	s_mul_hi_i32 s31, s30, s2
	s_mul_i32 s30, s30, s2
	s_lshl_b64 s[30:31], s[30:31], 2
	v_cmp_ngt_f32_e32 vcc, s44, v95
	v_cmp_nlt_f32_e64 s[12:13], s45, v95
	v_lshl_add_u64 v[68:69], v[46:47], 0, s[30:31]
	s_waitcnt vmcnt(0)
	ds_write_b128 v90, v[0:3]
	s_waitcnt lgkmcnt(0)
	s_barrier
	ds_read2_b64 v[28:31], v70 offset1:28
	ds_read_b128 v[36:39], v57
	ds_read_b128 v[32:35], v57 offset:16
	ds_read2_b64 v[24:27], v70 offset0:56 offset1:84
	ds_read2_b64 v[20:23], v70 offset0:112 offset1:140
	;; [unrolled: 1-line block ×7, first 2 shown]
	s_waitcnt lgkmcnt(0)
	s_barrier
	s_and_saveexec_b64 s[30:31], s[8:9]
	s_cbranch_execz .LBB65_27
; %bb.26:                               ;   in Loop: Header=BB65_10 Depth=1
	v_lshl_add_u64 v[96:97], v[60:61], 2, v[68:69]
	v_mov_b32_e32 v67, v43
	v_lshl_add_u64 v[66:67], v[96:97], 0, v[66:67]
	global_load_dwordx4 v[96:99], v[66:67], off offset:192
	s_waitcnt vmcnt(0)
	ds_write_b128 v88, v[96:99]
.LBB65_27:                              ;   in Loop: Header=BB65_10 Depth=1
	s_or_b64 exec, exec, s[30:31]
	s_and_saveexec_b64 s[30:31], s[10:11]
	s_cbranch_execz .LBB65_29
; %bb.28:                               ;   in Loop: Header=BB65_10 Depth=1
	v_lshl_add_u64 v[66:67], v[62:63], 2, v[68:69]
	v_lshl_add_u64 v[66:67], v[66:67], 0, v[42:43]
	global_load_dwordx4 v[96:99], v[66:67], off offset:128
	s_waitcnt vmcnt(0)
	ds_write_b128 v89, v[96:99]
.LBB65_29:                              ;   in Loop: Header=BB65_10 Depth=1
	s_or_b64 exec, exec, s[30:31]
	v_lshl_add_u64 v[66:67], v[58:59], 2, v[68:69]
	v_mov_b32_e32 v65, v43
	v_lshl_add_u64 v[66:67], v[66:67], 0, v[64:65]
	global_load_dwordx4 v[66:69], v[66:67], off
	v_mul_f32_e32 v65, 0x3fb8aa3b, v95
	v_fma_f32 v103, v95, s43, -v65
	v_rndne_f32_e32 v104, v65
	v_fmac_f32_e32 v103, 0x32a5705f, v95
	v_sub_f32_e32 v65, v65, v104
	v_add_f32_e32 v65, v65, v103
	v_cvt_i32_f32_e32 v95, v104
	v_exp_f32_e32 v65, v65
	v_mul_u32_u24_sdwa v96, v36, s46 dst_sel:DWORD dst_unused:UNUSED_PAD src0_sel:WORD_0 src1_sel:DWORD
	v_pk_mul_f16 v28, v28, v96
	v_pk_mul_f16 v29, v29, v96
	v_ldexp_f32 v65, v65, v95
	v_cndmask_b32_e32 v65, 0, v65, vcc
	v_cndmask_b32_e64 v65, v92, v65, s[12:13]
	v_cvt_f16_f32_e32 v95, v65
	v_fmac_f32_e32 v79, v93, v65
	v_mul_u32_u24_sdwa v36, v36, s46 dst_sel:DWORD dst_unused:UNUSED_PAD src0_sel:WORD_1 src1_sel:DWORD
	v_mul_u32_u24_sdwa v97, v37, s46 dst_sel:DWORD dst_unused:UNUSED_PAD src0_sel:WORD_0 src1_sel:DWORD
	v_mul_u32_u24_e32 v65, 0x10001, v95
	v_pk_fma_f16 v28, v72, v65, v28
	v_pk_fma_f16 v29, v71, v65, v29
	;; [unrolled: 1-line block ×4, first 2 shown]
	v_mul_u32_u24_sdwa v37, v37, s46 dst_sel:DWORD dst_unused:UNUSED_PAD src0_sel:WORD_1 src1_sel:DWORD
	v_pk_fma_f16 v24, v24, v97, v28
	v_pk_fma_f16 v25, v25, v97, v29
	v_mul_u32_u24_sdwa v98, v38, s46 dst_sel:DWORD dst_unused:UNUSED_PAD src0_sel:WORD_0 src1_sel:DWORD
	v_pk_fma_f16 v24, v26, v37, v24
	v_pk_fma_f16 v25, v27, v37, v25
	v_mul_u32_u24_sdwa v38, v38, s46 dst_sel:DWORD dst_unused:UNUSED_PAD src0_sel:WORD_1 src1_sel:DWORD
	v_pk_fma_f16 v20, v20, v98, v24
	v_pk_fma_f16 v21, v21, v98, v25
	v_mul_u32_u24_sdwa v99, v39, s46 dst_sel:DWORD dst_unused:UNUSED_PAD src0_sel:WORD_0 src1_sel:DWORD
	v_pk_fma_f16 v20, v22, v38, v20
	v_pk_fma_f16 v21, v23, v38, v21
	;; [unrolled: 6-line block ×6, first 2 shown]
	v_mul_u32_u24_sdwa v35, v35, s46 dst_sel:DWORD dst_unused:UNUSED_PAD src0_sel:WORD_1 src1_sel:DWORD
	v_pk_fma_f16 v0, v0, v103, v4
	v_pk_fma_f16 v1, v1, v103, v5
	;; [unrolled: 1-line block ×4, first 2 shown]
	s_waitcnt vmcnt(0)
	ds_write_b128 v90, v[66:69]
	s_waitcnt lgkmcnt(0)
	s_barrier
	ds_read2_b64 v[0:3], v70 offset1:28
	ds_read_b128 v[4:7], v57 offset:32
	ds_read_b128 v[8:11], v57 offset:48
	ds_read2_b64 v[12:15], v70 offset0:56 offset1:84
	ds_read2_b64 v[16:19], v70 offset0:112 offset1:140
	;; [unrolled: 1-line block ×3, first 2 shown]
	s_waitcnt lgkmcnt(4)
	v_mul_u32_u24_sdwa v26, v4, s46 dst_sel:DWORD dst_unused:UNUSED_PAD src0_sel:WORD_0 src1_sel:DWORD
	v_mul_u32_u24_sdwa v4, v4, s46 dst_sel:DWORD dst_unused:UNUSED_PAD src0_sel:WORD_1 src1_sel:DWORD
	v_pk_fma_f16 v0, v0, v26, v24
	v_pk_fma_f16 v1, v1, v26, v25
	v_mul_u32_u24_sdwa v27, v5, s46 dst_sel:DWORD dst_unused:UNUSED_PAD src0_sel:WORD_0 src1_sel:DWORD
	v_pk_fma_f16 v0, v2, v4, v0
	v_pk_fma_f16 v1, v3, v4, v1
	v_mul_u32_u24_sdwa v5, v5, s46 dst_sel:DWORD dst_unused:UNUSED_PAD src0_sel:WORD_1 src1_sel:DWORD
	s_waitcnt lgkmcnt(2)
	v_pk_fma_f16 v0, v12, v27, v0
	v_pk_fma_f16 v1, v13, v27, v1
	v_mul_u32_u24_sdwa v28, v6, s46 dst_sel:DWORD dst_unused:UNUSED_PAD src0_sel:WORD_0 src1_sel:DWORD
	v_pk_fma_f16 v0, v14, v5, v0
	v_pk_fma_f16 v1, v15, v5, v1
	s_waitcnt lgkmcnt(1)
	v_pk_fma_f16 v0, v16, v28, v0
	v_pk_fma_f16 v1, v17, v28, v1
	v_mul_u32_u24_sdwa v2, v6, s46 dst_sel:DWORD dst_unused:UNUSED_PAD src0_sel:WORD_1 src1_sel:DWORD
	v_pk_fma_f16 v0, v18, v2, v0
	v_pk_fma_f16 v1, v19, v2, v1
	v_mul_u32_u24_sdwa v2, v7, s46 dst_sel:DWORD dst_unused:UNUSED_PAD src0_sel:WORD_0 src1_sel:DWORD
	s_waitcnt lgkmcnt(0)
	v_pk_fma_f16 v4, v20, v2, v0
	v_pk_fma_f16 v5, v21, v2, v1
	ds_read2_b64 v[0:3], v70 offset0:224 offset1:252
	v_mul_u32_u24_sdwa v6, v7, s46 dst_sel:DWORD dst_unused:UNUSED_PAD src0_sel:WORD_1 src1_sel:DWORD
	v_pk_fma_f16 v4, v22, v6, v4
	v_pk_fma_f16 v5, v23, v6, v5
	v_mul_u32_u24_sdwa v6, v8, s46 dst_sel:DWORD dst_unused:UNUSED_PAD src0_sel:WORD_0 src1_sel:DWORD
	s_waitcnt lgkmcnt(0)
	v_pk_fma_f16 v0, v0, v6, v4
	v_pk_fma_f16 v1, v1, v6, v5
	ds_read2_b64 v[4:7], v94 offset0:24 offset1:52
	;; [unrolled: 8-line block ×3, first 2 shown]
	v_mul_u32_u24_sdwa v8, v9, s46 dst_sel:DWORD dst_unused:UNUSED_PAD src0_sel:WORD_1 src1_sel:DWORD
	v_pk_fma_f16 v4, v6, v8, v4
	v_pk_fma_f16 v5, v7, v8, v5
	v_mul_u32_u24_sdwa v6, v10, s46 dst_sel:DWORD dst_unused:UNUSED_PAD src0_sel:WORD_0 src1_sel:DWORD
	s_waitcnt lgkmcnt(0)
	v_pk_fma_f16 v0, v0, v6, v4
	v_pk_fma_f16 v1, v1, v6, v5
	v_mul_u32_u24_sdwa v4, v10, s46 dst_sel:DWORD dst_unused:UNUSED_PAD src0_sel:WORD_1 src1_sel:DWORD
	v_pk_fma_f16 v5, v2, v4, v0
	v_pk_fma_f16 v4, v3, v4, v1
	ds_read2_b64 v[0:3], v94 offset0:136 offset1:164
	s_waitcnt lgkmcnt(0)
	s_barrier
	s_load_dword s12, s[28:29], 0x4
	v_mul_u32_u24_sdwa v6, v11, s46 dst_sel:DWORD dst_unused:UNUSED_PAD src0_sel:WORD_0 src1_sel:DWORD
	v_pk_fma_f16 v0, v0, v6, v5
	v_pk_fma_f16 v1, v1, v6, v4
	v_mul_u32_u24_sdwa v4, v11, s46 dst_sel:DWORD dst_unused:UNUSED_PAD src0_sel:WORD_1 src1_sel:DWORD
	s_waitcnt lgkmcnt(0)
	s_lshl_b32 s12, s12, 5
	s_add_i32 s39, s12, s39
	v_pk_fma_f16 v72, v2, v4, v0
	s_cmp_lt_i32 s39, s42
	v_pk_fma_f16 v71, v3, v4, v1
	s_cbranch_scc0 .LBB65_32
; %bb.30:                               ;   in Loop: Header=BB65_10 Depth=1
	v_mov_b32_e32 v6, v81
	v_mov_b32_e32 v93, v79
	s_branch .LBB65_10
.LBB65_31:
	v_mov_b32_e32 v71, 0
	v_mov_b32_e32 v79, 0
	;; [unrolled: 1-line block ×4, first 2 shown]
.LBB65_32:
	s_cmp_gt_i32 s38, s39
	s_cbranch_scc1 .LBB65_35
; %bb.33:
	v_mbcnt_hi_u32_b32 v62, -1, v78
	v_and_b32_e32 v0, 0x60, v62
	v_add_u32_e32 v63, 32, v0
	v_xor_b32_e32 v64, 16, v62
	v_xor_b32_e32 v65, 8, v62
	v_xor_b32_e32 v66, 4, v62
	v_xor_b32_e32 v67, 2, v62
	v_xor_b32_e32 v68, 1, v62
	s_cbranch_execz .LBB65_36
; %bb.34:
	v_mov_b32_e32 v48, v81
	s_branch .LBB65_58
.LBB65_35:
                                        ; implicit-def: $vgpr62
                                        ; implicit-def: $vgpr63
                                        ; implicit-def: $vgpr64
                                        ; implicit-def: $vgpr65
                                        ; implicit-def: $vgpr66
                                        ; implicit-def: $vgpr67
                                        ; implicit-def: $vgpr68
.LBB65_36:
	s_mul_hi_i32 s5, s39, s41
	s_mul_i32 s4, s39, s41
	s_lshl_b64 s[4:5], s[4:5], 2
	v_mul_lo_u32 v0, s41, v83
	s_sub_i32 s38, s38, s39
	v_lshl_add_u64 v[8:9], v[40:41], 0, s[4:5]
	v_ashrrev_i32_e32 v1, 31, v0
	s_mov_b64 s[12:13], src_private_base
	v_cmp_gt_u32_e64 s[8:9], 32, v83
	v_or_b32_e32 v11, 0x60, v80
	v_cmp_gt_i32_e64 s[6:7], s38, v83
	v_lshl_add_u64 v[4:5], v[0:1], 2, v[8:9]
	s_and_saveexec_b64 s[4:5], s[8:9]
	s_cbranch_execz .LBB65_38
; %bb.37:
	v_mov_b32_e32 v0, 0
	v_mov_b32_e32 v1, v0
	v_mov_b32_e32 v2, v0
	s_mov_b64 s[10:11], 0x60
	scratch_store_dword off, v0, off
	scratch_store_dwordx3 off, v[0:2], off offset:4
	s_nop 1
	v_lshl_add_u64 v[0:1], v[4:5], 0, s[10:11]
	v_mov_b32_e32 v2, s13
	v_cndmask_b32_e64 v1, v2, v1, s[6:7]
	v_mov_b32_e32 v2, 0
	v_cndmask_b32_e64 v0, v2, v0, s[6:7]
	flat_load_dwordx4 v[0:3], v[0:1]
	s_waitcnt vmcnt(0) lgkmcnt(0)
	ds_write_b128 v11, v[0:3]
.LBB65_38:
	s_or_b64 exec, exec, s[4:5]
	v_lshl_add_u32 v49, v73, 4, v82
	v_and_b32_e32 v3, 4, v74
	v_lshlrev_b32_e32 v0, 7, v49
	v_lshlrev_b32_e32 v50, 2, v3
	v_or3_b32 v12, v0, v50, 64
	v_mul_lo_u32 v0, s41, v49
	v_ashrrev_i32_e32 v1, 31, v0
	s_mov_b64 s[18:19], src_private_base
	v_cmp_gt_u32_e64 s[10:11], 32, v49
	v_cmp_gt_i32_e32 vcc, s38, v49
	v_lshl_add_u64 v[6:7], v[0:1], 2, v[8:9]
	s_and_saveexec_b64 s[4:5], s[10:11]
	s_cbranch_execz .LBB65_40
; %bb.39:
	v_mov_b32_e32 v0, 0
	v_mov_b32_e32 v1, v0
	v_mov_b32_e32 v2, v0
	v_mov_b32_e32 v51, v0
	scratch_store_dword off, v0, off
	scratch_store_dwordx3 off, v[0:2], off offset:4
	s_nop 1
	v_lshl_add_u64 v[0:1], v[6:7], 0, v[50:51]
	v_lshl_add_u64 v[0:1], v[0:1], 0, 64
	v_mov_b32_e32 v2, s19
	v_cndmask_b32_e32 v1, v2, v1, vcc
	v_mov_b32_e32 v2, 0
	v_cndmask_b32_e32 v0, v2, v0, vcc
	flat_load_dwordx4 v[14:17], v[0:1]
	s_waitcnt vmcnt(0) lgkmcnt(0)
	ds_write_b128 v12, v[14:17]
.LBB65_40:
	s_or_b64 exec, exec, s[4:5]
	v_lshl_add_u32 v43, v73, 3, v53
	v_mul_lo_u32 v14, s41, v43
	v_ashrrev_i32_e32 v15, 31, v14
	v_mov_b32_e32 v0, 0
	v_and_b32_e32 v10, 12, v74
	s_mov_b64 s[28:29], src_private_base
	v_lshl_add_u64 v[8:9], v[14:15], 2, v[8:9]
	v_lshlrev_b32_e32 v52, 2, v10
	v_mov_b32_e32 v53, v0
	v_mov_b32_e32 v1, v0
	;; [unrolled: 1-line block ×3, first 2 shown]
	v_lshl_add_u64 v[8:9], v[8:9], 0, v[52:53]
	v_mov_b32_e32 v10, s29
	v_cmp_gt_i32_e64 s[4:5], s38, v43
	v_mov_b32_e32 v14, 0
	scratch_store_dword off, v0, off
	scratch_store_dwordx3 off, v[0:2], off offset:4
	v_cndmask_b32_e64 v17, v10, v9, s[4:5]
	v_cndmask_b32_e64 v16, v14, v8, s[4:5]
	flat_load_dwordx4 v[16:19], v[16:17]
	v_lshl_or_b32 v13, v43, 7, v52
	v_mov_b32_e32 v10, v0
	s_waitcnt vmcnt(0) lgkmcnt(0)
	ds_write_b128 v13, v[16:19]
	s_waitcnt lgkmcnt(0)
	s_barrier
	ds_read_b128 v[16:19], v80
	ds_read_b128 v[20:23], v77
	s_waitcnt lgkmcnt(0)
	;;#ASMSTART
	v_dot2_f32_f16 v10, v16, v20, v10
	;;#ASMEND
	s_nop 0
	;;#ASMSTART
	v_dot2_f32_f16 v10, v17, v21, v10
	;;#ASMEND
	s_nop 0
	;;#ASMSTART
	v_dot2_f32_f16 v10, v18, v22, v10
	;;#ASMEND
	s_nop 0
	;;#ASMSTART
	v_dot2_f32_f16 v10, v19, v23, v10
	;;#ASMEND
	ds_read_b128 v[16:19], v80 offset:16
	ds_read_b128 v[20:23], v77 offset:16
	s_waitcnt lgkmcnt(0)
	;;#ASMSTART
	v_dot2_f32_f16 v10, v16, v20, v10
	;;#ASMEND
	s_nop 0
	;;#ASMSTART
	v_dot2_f32_f16 v10, v17, v21, v10
	;;#ASMEND
	s_nop 0
	;;#ASMSTART
	v_dot2_f32_f16 v10, v18, v22, v10
	;;#ASMEND
	s_nop 0
	;;#ASMSTART
	v_dot2_f32_f16 v10, v19, v23, v10
	;;#ASMEND
	ds_read_b128 v[16:19], v80 offset:32
	ds_read_b128 v[20:23], v77 offset:32
	;; [unrolled: 18-line block ×6, first 2 shown]
	s_waitcnt lgkmcnt(0)
	;;#ASMSTART
	v_dot2_f32_f16 v10, v16, v20, v10
	;;#ASMEND
	s_nop 0
	;;#ASMSTART
	v_dot2_f32_f16 v10, v17, v21, v10
	;;#ASMEND
	s_nop 0
	;; [unrolled: 4-line block ×3, first 2 shown]
	;;#ASMSTART
	v_dot2_f32_f16 v10, v19, v23, v10
	;;#ASMEND
	s_barrier
	s_and_saveexec_b64 s[30:31], s[8:9]
	s_cbranch_execz .LBB65_42
; %bb.41:
	s_mov_b64 s[8:9], 0xd0
	scratch_store_dword off, v0, off
	scratch_store_dwordx3 off, v[0:2], off offset:4
	s_nop 1
	v_lshl_add_u64 v[0:1], v[4:5], 0, s[8:9]
	v_mov_b32_e32 v2, s13
	v_cndmask_b32_e64 v1, v2, v1, s[6:7]
	v_cndmask_b32_e64 v0, v14, v0, s[6:7]
	flat_load_dwordx4 v[14:17], v[0:1]
	s_waitcnt vmcnt(0) lgkmcnt(0)
	ds_write_b128 v11, v[14:17]
.LBB65_42:
	s_or_b64 exec, exec, s[30:31]
	s_and_saveexec_b64 s[6:7], s[10:11]
	s_cbranch_execz .LBB65_44
; %bb.43:
	v_mov_b32_e32 v0, 0
	v_mov_b32_e32 v1, v0
	;; [unrolled: 1-line block ×4, first 2 shown]
	scratch_store_dword off, v0, off
	scratch_store_dwordx3 off, v[0:2], off offset:4
	s_mov_b64 s[8:9], 0xb0
	s_nop 0
	v_lshl_add_u64 v[0:1], v[6:7], 0, v[50:51]
	v_lshl_add_u64 v[0:1], v[0:1], 0, s[8:9]
	v_mov_b32_e32 v2, s19
	v_cndmask_b32_e32 v1, v2, v1, vcc
	v_mov_b32_e32 v2, 0
	v_cndmask_b32_e32 v0, v2, v0, vcc
	flat_load_dwordx4 v[4:7], v[0:1]
	s_waitcnt vmcnt(0) lgkmcnt(0)
	ds_write_b128 v12, v[4:7]
.LBB65_44:
	s_or_b64 exec, exec, s[6:7]
	v_mov_b32_e32 v0, 0
	v_mov_b32_e32 v1, v0
	;; [unrolled: 1-line block ×3, first 2 shown]
	s_mov_b64 s[6:7], 0x70
	scratch_store_dword off, v0, off
	scratch_store_dwordx3 off, v[0:2], off offset:4
	s_nop 1
	v_lshl_add_u64 v[0:1], v[8:9], 0, s[6:7]
	v_mov_b32_e32 v2, s29
	v_cndmask_b32_e64 v1, v2, v1, s[4:5]
	v_mov_b32_e32 v2, 0
	v_cndmask_b32_e64 v0, v2, v0, s[4:5]
	flat_load_dwordx4 v[4:7], v[0:1]
	v_cmp_gt_i32_e64 s[6:7], s38, v44
	v_mov_b32_e32 v0, v81
	s_waitcnt vmcnt(0) lgkmcnt(0)
	ds_write_b128 v13, v[4:7]
	s_waitcnt lgkmcnt(0)
	s_barrier
	ds_read_b128 v[4:7], v80
	ds_read_b128 v[12:15], v77 offset:112
	s_waitcnt lgkmcnt(0)
	;;#ASMSTART
	v_dot2_f32_f16 v10, v4, v12, v10
	;;#ASMEND
	s_nop 0
	;;#ASMSTART
	v_dot2_f32_f16 v10, v5, v13, v10
	;;#ASMEND
	s_nop 0
	;;#ASMSTART
	v_dot2_f32_f16 v10, v6, v14, v10
	;;#ASMEND
	s_nop 0
	;;#ASMSTART
	v_dot2_f32_f16 v10, v7, v15, v10
	;;#ASMEND
	ds_read_b128 v[4:7], v80 offset:16
	ds_read_b128 v[12:15], v77 offset:128
	s_waitcnt lgkmcnt(0)
	;;#ASMSTART
	v_dot2_f32_f16 v10, v4, v12, v10
	;;#ASMEND
	s_nop 0
	;;#ASMSTART
	v_dot2_f32_f16 v10, v5, v13, v10
	;;#ASMEND
	s_nop 0
	;;#ASMSTART
	v_dot2_f32_f16 v10, v6, v14, v10
	;;#ASMEND
	s_nop 0
	;;#ASMSTART
	v_dot2_f32_f16 v10, v7, v15, v10
	;;#ASMEND
	ds_read_b128 v[4:7], v80 offset:32
	;; [unrolled: 18-line block ×6, first 2 shown]
	ds_read_b128 v[12:15], v77 offset:208
	s_waitcnt lgkmcnt(0)
	;;#ASMSTART
	v_dot2_f32_f16 v10, v4, v12, v10
	;;#ASMEND
	s_nop 0
	;;#ASMSTART
	v_dot2_f32_f16 v10, v5, v13, v10
	;;#ASMEND
	s_nop 0
	;; [unrolled: 4-line block ×3, first 2 shown]
	;;#ASMSTART
	v_dot2_f32_f16 v10, v7, v15, v10
	;;#ASMEND
	s_and_saveexec_b64 s[8:9], s[6:7]
	s_cbranch_execz .LBB65_49
; %bb.45:
	s_cmp_eq_u64 s[36:37], 0
	s_cbranch_scc1 .LBB65_47
; %bb.46:
	v_mul_hi_u32 v0, s24, v45
	v_add_u32_e32 v0, v45, v0
	v_lshrrev_b32_e32 v0, s25, v0
	v_mul_lo_u32 v0, v0, s26
	v_sub_u32_e32 v0, v45, v0
	v_mul_lo_u32 v0, v0, s40
	v_add3_u32 v0, v0, v44, s39
	v_ashrrev_i32_e32 v1, 31, v0
	v_lshl_add_u64 v[0:1], v[0:1], 1, s[36:37]
	global_load_ushort v0, v[0:1], off
	s_waitcnt vmcnt(0)
	v_cvt_f32_f16_e32 v0, v0
	v_mul_f32_e32 v0, v76, v0
	s_branch .LBB65_48
.LBB65_47:
	v_mov_b32_e32 v0, 0
.LBB65_48:
	v_add_f32_e32 v10, v10, v0
	v_add_f32_e32 v0, 0x40051340, v10
	v_max_f32_e32 v1, v81, v81
	v_max_f32_e32 v0, v1, v0
.LBB65_49:
	s_or_b64 exec, exec, s[8:9]
	v_mbcnt_hi_u32_b32 v62, -1, v78
	v_and_b32_e32 v1, 0x60, v62
	v_add_u32_e32 v63, 32, v1
	v_xor_b32_e32 v64, 16, v62
	v_cmp_lt_i32_e64 s[6:7], v64, v63
	v_xor_b32_e32 v65, 8, v62
	v_xor_b32_e32 v66, 4, v62
	v_cndmask_b32_e64 v1, v62, v64, s[6:7]
	v_lshlrev_b32_e32 v1, 2, v1
	ds_bpermute_b32 v1, v1, v0
	v_cmp_lt_i32_e64 s[6:7], v65, v63
	v_max_f32_e32 v0, v0, v0
	v_xor_b32_e32 v67, 2, v62
	v_cndmask_b32_e64 v2, v62, v65, s[6:7]
	s_waitcnt lgkmcnt(0)
	v_max_f32_e32 v1, v1, v1
	v_lshlrev_b32_e32 v2, 2, v2
	v_max_f32_e32 v0, v0, v1
	ds_bpermute_b32 v1, v2, v0
	v_cmp_lt_i32_e64 s[6:7], v66, v63
	v_xor_b32_e32 v68, 1, v62
	s_waitcnt lgkmcnt(0)
	v_cndmask_b32_e64 v2, v62, v66, s[6:7]
	v_max_f32_e32 v1, v1, v1
	v_lshlrev_b32_e32 v2, 2, v2
	v_max_f32_e32 v0, v0, v1
	ds_bpermute_b32 v1, v2, v0
	v_cmp_lt_i32_e64 s[6:7], v67, v63
	s_barrier
	s_waitcnt lgkmcnt(0)
	v_cndmask_b32_e64 v2, v62, v67, s[6:7]
	v_max_f32_e32 v1, v1, v1
	v_lshlrev_b32_e32 v2, 2, v2
	v_max_f32_e32 v0, v0, v1
	ds_bpermute_b32 v1, v2, v0
	v_cmp_lt_i32_e64 s[6:7], v68, v63
	s_mul_hi_i32 s11, s39, s2
	s_mul_i32 s10, s39, s2
	v_cndmask_b32_e64 v2, v62, v68, s[6:7]
	s_waitcnt lgkmcnt(0)
	v_max_f32_e32 v1, v1, v1
	v_lshlrev_b32_e32 v2, 2, v2
	v_max_f32_e32 v0, v0, v1
	ds_bpermute_b32 v1, v2, v0
	s_mov_b32 s6, 0x3fb8aa3b
	v_mul_lo_u32 v58, s2, v49
	s_lshl_b64 s[10:11], s[10:11], 2
	s_mov_b64 s[8:9], src_private_base
	s_waitcnt lgkmcnt(0)
	v_max_f32_e32 v1, v1, v1
	v_max_f32_e32 v48, v0, v1
	v_sub_f32_e32 v0, v10, v48
	v_mul_f32_e32 v1, 0x3fb8aa3b, v0
	v_fma_f32 v2, v0, s6, -v1
	v_rndne_f32_e32 v4, v1
	v_fmamk_f32 v2, v0, 0x32a5705f, v2
	v_sub_f32_e32 v1, v1, v4
	v_add_f32_e32 v1, v1, v2
	v_exp_f32_e32 v1, v1
	v_cvt_i32_f32_e32 v2, v4
	s_mov_b32 s6, 0xc2ce8ed0
	v_cmp_ngt_f32_e64 s[6:7], s6, v0
	v_ashrrev_i32_e32 v59, 31, v58
	v_ldexp_f32 v1, v1, v2
	v_cndmask_b32_e64 v1, 0, v1, s[6:7]
	s_mov_b32 s6, 0x42b17218
	v_mov_b32_e32 v2, 0x7f800000
	v_cmp_nlt_f32_e64 s[6:7], s6, v0
	s_nop 1
	v_cndmask_b32_e64 v0, v2, v1, s[6:7]
	v_cmp_gt_u32_e64 s[6:7], s38, v44
	v_mov_b32_e32 v1, 0x13c0
	v_lshl_add_u32 v76, v73, 6, v1
	v_cndmask_b32_e64 v69, 0, v0, s[6:7]
	v_cvt_f16_f32_e32 v0, v69
	v_lshl_add_u32 v1, v44, 1, v76
	v_cmp_gt_u32_e64 s[6:7], 16, v49
	ds_write_b16 v1, v0
	v_mul_u32_u24_e32 v0, 0xe0, v49
	v_lshl_or_b32 v0, v3, 2, v0
	v_add_u32_e32 v78, 0xc0, v0
	v_lshl_add_u64 v[0:1], v[46:47], 0, s[10:11]
	s_and_saveexec_b64 s[10:11], s[6:7]
	s_cbranch_execz .LBB65_51
; %bb.50:
	v_mov_b32_e32 v2, 0
	v_mov_b32_e32 v3, v2
	;; [unrolled: 1-line block ×3, first 2 shown]
	scratch_store_dwordx3 off, v[2:4], off offset:4
	v_mov_b32_e32 v51, v2
	scratch_store_dword off, v2, off
	v_lshl_add_u64 v[4:5], v[58:59], 2, v[0:1]
	v_lshl_add_u64 v[2:3], v[4:5], 0, v[50:51]
	s_mov_b64 s[12:13], 0xc0
	v_lshl_add_u64 v[2:3], v[2:3], 0, s[12:13]
	v_mov_b32_e32 v4, s9
	v_cndmask_b32_e32 v3, v4, v3, vcc
	v_mov_b32_e32 v4, 0
	v_cndmask_b32_e32 v2, v4, v2, vcc
	flat_load_dwordx4 v[2:5], v[2:3]
	s_waitcnt vmcnt(0) lgkmcnt(0)
	ds_write_b128 v78, v[2:5]
.LBB65_51:
	s_or_b64 exec, exec, s[10:11]
	v_mul_u32_u24_e32 v2, 0xe0, v43
	s_movk_i32 s8, 0x80
	v_mul_lo_u32 v56, s2, v43
	s_mov_b64 s[12:13], src_private_base
	v_cmp_gt_u32_e32 vcc, 16, v43
	v_add3_u32 v77, v2, v52, s8
	v_ashrrev_i32_e32 v57, 31, v56
	s_and_saveexec_b64 s[10:11], vcc
	s_cbranch_execz .LBB65_53
; %bb.52:
	v_mov_b32_e32 v2, 0
	v_mov_b32_e32 v3, v2
	;; [unrolled: 1-line block ×3, first 2 shown]
	scratch_store_dwordx3 off, v[2:4], off offset:4
	v_mov_b32_e32 v53, v2
	scratch_store_dword off, v2, off
	v_lshl_add_u64 v[4:5], v[56:57], 2, v[0:1]
	v_lshl_add_u64 v[2:3], v[4:5], 0, v[52:53]
	s_mov_b64 s[18:19], 0x80
	v_lshl_add_u64 v[2:3], v[2:3], 0, s[18:19]
	v_mov_b32_e32 v4, s13
	v_cndmask_b32_e64 v3, v4, v3, s[4:5]
	v_mov_b32_e32 v4, 0
	v_cndmask_b32_e64 v2, v4, v2, s[4:5]
	flat_load_dwordx4 v[2:5], v[2:3]
	s_waitcnt vmcnt(0) lgkmcnt(0)
	ds_write_b128 v77, v[2:5]
.LBB65_53:
	s_or_b64 exec, exec, s[10:11]
	v_lshl_add_u32 v75, v73, 2, v75
	v_mul_lo_u32 v54, s2, v75
	v_ashrrev_i32_e32 v55, 31, v54
	v_mov_b32_e32 v40, 0
	v_and_b32_e32 v2, 28, v74
	s_mov_b64 s[10:11], src_private_base
	v_lshl_add_u64 v[0:1], v[54:55], 2, v[0:1]
	v_lshlrev_b32_e32 v60, 2, v2
	v_mov_b32_e32 v61, v40
	v_mov_b32_e32 v41, v40
	;; [unrolled: 1-line block ×3, first 2 shown]
	v_lshl_add_u64 v[0:1], v[0:1], 0, v[60:61]
	v_mov_b32_e32 v2, s11
	v_cmp_gt_i32_e64 s[4:5], s38, v75
	v_mov_b32_e32 v53, 0
	scratch_store_dword off, v40, off
	scratch_store_dwordx3 off, v[40:42], off offset:4
	v_cndmask_b32_e64 v1, v2, v1, s[4:5]
	v_cndmask_b32_e64 v0, v53, v0, s[4:5]
	flat_load_dwordx4 v[0:3], v[0:1]
	v_sub_f32_e32 v4, v81, v48
	s_mov_b32 s4, 0x3fb8aa3b
	v_mul_f32_e32 v6, 0x3fb8aa3b, v4
	v_fma_f32 v7, v4, s4, -v6
	v_rndne_f32_e32 v8, v6
	v_fmamk_f32 v7, v4, 0x32a5705f, v7
	v_sub_f32_e32 v6, v6, v8
	v_add_f32_e32 v6, v6, v7
	v_cvt_i32_f32_e32 v8, v8
	v_exp_f32_e32 v6, v6
	s_mov_b32 s5, 0xc2ce8ed0
	s_mov_b32 s10, 0x42b17218
	s_movk_i32 s12, 0xe0
	v_ldexp_f32 v6, v6, v8
	v_cmp_ngt_f32_e64 s[4:5], s5, v4
	v_mov_b32_e32 v5, 0x7f800000
	v_mad_u32_u24 v73, v75, s12, v60
	v_cndmask_b32_e64 v6, 0, v6, s[4:5]
	v_cmp_nlt_f32_e64 s[4:5], s10, v4
	v_add_u32_e32 v51, 0x800, v70
	s_or_b32 s18, s39, 16
	v_cndmask_b32_e64 v80, v5, v6, s[4:5]
	v_cvt_f16_f32_e32 v61, v80
	s_mul_hi_i32 s5, s18, s2
	s_mul_i32 s4, s18, s2
	s_lshl_b64 s[4:5], s[4:5], 2
	s_mov_b32 s8, 0x10001
	v_lshl_add_u64 v[46:47], v[46:47], 0, s[4:5]
	s_add_i32 s38, s38, -16
	s_waitcnt vmcnt(0) lgkmcnt(0)
	ds_write_b128 v73, v[0:3]
	s_waitcnt lgkmcnt(0)
	s_barrier
	ds_read2_b64 v[28:31], v70 offset1:28
	ds_read_b128 v[36:39], v76
	ds_read_b128 v[32:35], v76 offset:16
	ds_read2_b64 v[24:27], v70 offset0:56 offset1:84
	ds_read2_b64 v[20:23], v70 offset0:112 offset1:140
	;; [unrolled: 1-line block ×7, first 2 shown]
	s_waitcnt lgkmcnt(0)
	s_barrier
	s_and_saveexec_b64 s[18:19], s[6:7]
	s_cbranch_execz .LBB65_55
; %bb.54:
	v_lshl_add_u64 v[58:59], v[58:59], 2, v[46:47]
	v_mov_b32_e32 v51, v40
	scratch_store_dword off, v40, off
	scratch_store_dwordx3 off, v[40:42], off offset:4
	s_mov_b64 s[4:5], 0xc0
	s_nop 0
	v_lshl_add_u64 v[40:41], v[58:59], 0, v[50:51]
	v_lshl_add_u64 v[40:41], v[40:41], 0, s[4:5]
	v_mov_b32_e32 v42, s9
	v_cmp_gt_i32_e64 s[4:5], s38, v49
	s_nop 1
	v_cndmask_b32_e64 v41, v42, v41, s[4:5]
	v_cndmask_b32_e64 v40, v53, v40, s[4:5]
	flat_load_dwordx4 v[82:85], v[40:41]
	s_waitcnt vmcnt(0) lgkmcnt(0)
	ds_write_b128 v78, v[82:85]
.LBB65_55:
	s_or_b64 exec, exec, s[18:19]
	v_mul_u32_u24_e32 v59, 0x10001, v61
	v_mul_u32_u24_sdwa v78, v36, s8 dst_sel:DWORD dst_unused:UNUSED_PAD src0_sel:WORD_0 src1_sel:DWORD
	v_mul_u32_u24_sdwa v74, v36, s8 dst_sel:DWORD dst_unused:UNUSED_PAD src0_sel:WORD_1 src1_sel:DWORD
	v_mul_u32_u24_sdwa v58, v37, s8 dst_sel:DWORD dst_unused:UNUSED_PAD src0_sel:WORD_0 src1_sel:DWORD
	v_mul_u32_u24_sdwa v51, v37, s8 dst_sel:DWORD dst_unused:UNUSED_PAD src0_sel:WORD_1 src1_sel:DWORD
	;; [unrolled: 2-line block ×8, first 2 shown]
	s_and_saveexec_b64 s[4:5], vcc
	s_cbranch_execz .LBB65_57
; %bb.56:
	v_mov_b32_e32 v82, 0
	v_lshl_add_u64 v[56:57], v[56:57], 2, v[46:47]
	v_mov_b32_e32 v53, v82
	v_lshl_add_u64 v[52:53], v[56:57], 0, v[52:53]
	s_mov_b64 s[6:7], 0x80
	v_lshl_add_u64 v[52:53], v[52:53], 0, s[6:7]
	v_mov_b32_e32 v35, s13
	v_cmp_gt_i32_e32 vcc, s38, v43
	v_mov_b32_e32 v83, v82
	v_mov_b32_e32 v84, v82
	v_cndmask_b32_e32 v53, v35, v53, vcc
	v_mov_b32_e32 v35, 0
	scratch_store_dword off, v82, off
	scratch_store_dwordx3 off, v[82:84], off offset:4
	v_cndmask_b32_e32 v52, v35, v52, vcc
	flat_load_dwordx4 v[82:85], v[52:53]
	s_waitcnt vmcnt(0) lgkmcnt(0)
	ds_write_b128 v77, v[82:85]
.LBB65_57:
	s_or_b64 exec, exec, s[4:5]
	v_mov_b32_e32 v82, 0
	v_lshl_add_u64 v[46:47], v[54:55], 2, v[46:47]
	v_mov_b32_e32 v61, v82
	v_lshl_add_u64 v[46:47], v[46:47], 0, v[60:61]
	v_mov_b32_e32 v35, s11
	v_cmp_gt_i32_e32 vcc, s38, v75
	v_mov_b32_e32 v83, v82
	v_mov_b32_e32 v84, v82
	v_cndmask_b32_e32 v47, v35, v47, vcc
	v_mov_b32_e32 v35, 0
	scratch_store_dword off, v82, off
	scratch_store_dwordx3 off, v[82:84], off offset:4
	v_cndmask_b32_e32 v46, v35, v46, vcc
	flat_load_dwordx4 v[52:55], v[46:47]
	v_pk_mul_f16 v28, v28, v78
	v_pk_mul_f16 v29, v29, v78
	v_pk_fma_f16 v28, v72, v59, v28
	v_pk_fma_f16 v29, v71, v59, v29
	;; [unrolled: 1-line block ×28, first 2 shown]
	s_mov_b32 s2, 0x10001
	v_pk_fma_f16 v0, v0, v33, v4
	v_pk_fma_f16 v1, v1, v33, v5
	v_add_u32_e32 v43, 0x800, v70
	v_pk_fma_f16 v36, v2, v32, v0
	v_pk_fma_f16 v37, v3, v32, v1
	v_fmac_f32_e32 v69, v79, v80
	v_mov_b32_e32 v79, v69
	s_waitcnt vmcnt(0) lgkmcnt(0)
	ds_write_b128 v73, v[52:55]
	s_waitcnt lgkmcnt(0)
	s_barrier
	ds_read2_b64 v[0:3], v70 offset1:28
	ds_read_b128 v[4:7], v76 offset:32
	ds_read_b128 v[8:11], v76 offset:48
	ds_read2_b64 v[12:15], v70 offset0:56 offset1:84
	ds_read2_b64 v[16:19], v70 offset0:112 offset1:140
	;; [unrolled: 1-line block ×6, first 2 shown]
	s_waitcnt lgkmcnt(7)
	v_mul_u32_u24_sdwa v38, v4, s2 dst_sel:DWORD dst_unused:UNUSED_PAD src0_sel:WORD_0 src1_sel:DWORD
	v_mul_u32_u24_sdwa v4, v4, s2 dst_sel:DWORD dst_unused:UNUSED_PAD src0_sel:WORD_1 src1_sel:DWORD
	v_pk_fma_f16 v0, v0, v38, v36
	v_pk_fma_f16 v1, v1, v38, v37
	v_mul_u32_u24_sdwa v39, v5, s2 dst_sel:DWORD dst_unused:UNUSED_PAD src0_sel:WORD_0 src1_sel:DWORD
	v_pk_fma_f16 v0, v2, v4, v0
	v_pk_fma_f16 v1, v3, v4, v1
	v_mul_u32_u24_sdwa v5, v5, s2 dst_sel:DWORD dst_unused:UNUSED_PAD src0_sel:WORD_1 src1_sel:DWORD
	s_waitcnt lgkmcnt(5)
	v_pk_fma_f16 v0, v12, v39, v0
	v_pk_fma_f16 v1, v13, v39, v1
	v_mul_u32_u24_sdwa v40, v6, s2 dst_sel:DWORD dst_unused:UNUSED_PAD src0_sel:WORD_0 src1_sel:DWORD
	v_pk_fma_f16 v0, v14, v5, v0
	v_pk_fma_f16 v1, v15, v5, v1
	v_mul_u32_u24_sdwa v6, v6, s2 dst_sel:DWORD dst_unused:UNUSED_PAD src0_sel:WORD_1 src1_sel:DWORD
	s_waitcnt lgkmcnt(4)
	;; [unrolled: 7-line block ×5, first 2 shown]
	v_pk_fma_f16 v0, v28, v46, v0
	v_pk_fma_f16 v1, v29, v46, v1
	v_mul_u32_u24_sdwa v47, v10, s2 dst_sel:DWORD dst_unused:UNUSED_PAD src0_sel:WORD_0 src1_sel:DWORD
	v_pk_fma_f16 v0, v30, v9, v0
	v_pk_fma_f16 v1, v31, v9, v1
	s_waitcnt lgkmcnt(0)
	v_pk_fma_f16 v4, v32, v47, v0
	v_pk_fma_f16 v5, v33, v47, v1
	ds_read2_b64 v[0:3], v43 offset0:136 offset1:164
	v_mul_u32_u24_sdwa v6, v10, s2 dst_sel:DWORD dst_unused:UNUSED_PAD src0_sel:WORD_1 src1_sel:DWORD
	v_pk_fma_f16 v4, v34, v6, v4
	v_pk_fma_f16 v5, v35, v6, v5
	v_mul_u32_u24_sdwa v6, v11, s2 dst_sel:DWORD dst_unused:UNUSED_PAD src0_sel:WORD_0 src1_sel:DWORD
	s_waitcnt lgkmcnt(0)
	v_pk_fma_f16 v0, v0, v6, v4
	v_pk_fma_f16 v1, v1, v6, v5
	v_mul_u32_u24_sdwa v4, v11, s2 dst_sel:DWORD dst_unused:UNUSED_PAD src0_sel:WORD_1 src1_sel:DWORD
	v_pk_fma_f16 v72, v2, v4, v0
	v_pk_fma_f16 v71, v3, v4, v1
	s_barrier
.LBB65_58:
	v_cmp_lt_i32_e32 vcc, v64, v63
	s_cmp_eq_u64 s[16:17], 0
	s_cselect_b64 s[4:5], -1, 0
	v_cndmask_b32_e32 v0, v62, v64, vcc
	v_lshlrev_b32_e32 v0, 2, v0
	ds_bpermute_b32 v0, v0, v79
	v_cmp_lt_i32_e32 vcc, v65, v63
	s_cmp_lg_u32 s3, 0
	s_cselect_b64 s[6:7], -1, 0
	v_cndmask_b32_e32 v1, v62, v65, vcc
	v_lshlrev_b32_e32 v1, 2, v1
	s_waitcnt lgkmcnt(0)
	v_add_f32_e32 v0, v79, v0
	ds_bpermute_b32 v1, v1, v0
	v_cmp_lt_i32_e32 vcc, v66, v63
	s_or_b64 s[4:5], s[6:7], s[4:5]
	s_waitcnt lgkmcnt(0)
	v_add_f32_e32 v0, v0, v1
	v_cndmask_b32_e32 v2, v62, v66, vcc
	v_lshlrev_b32_e32 v2, 2, v2
	ds_bpermute_b32 v1, v2, v0
	v_cmp_lt_i32_e32 vcc, v67, v63
	s_waitcnt lgkmcnt(0)
	v_add_f32_e32 v0, v0, v1
	v_cndmask_b32_e32 v2, v62, v67, vcc
	v_lshlrev_b32_e32 v2, 2, v2
	ds_bpermute_b32 v1, v2, v0
	v_cmp_lt_i32_e32 vcc, v68, v63
	s_waitcnt lgkmcnt(0)
	v_add_f32_e32 v0, v0, v1
	v_cndmask_b32_e32 v2, v62, v68, vcc
	v_lshlrev_b32_e32 v2, 2, v2
	ds_bpermute_b32 v1, v2, v0
	s_and_b64 vcc, exec, s[4:5]
	s_waitcnt lgkmcnt(0)
	v_add_f32_e32 v49, v0, v1
	s_cbranch_vccnz .LBB65_61
; %bb.59:
	s_lshl_b64 s[4:5], s[34:35], 2
	s_add_u32 s4, s16, s4
	s_addc_u32 s5, s17, s5
	v_mov_b32_e32 v0, 0
	global_load_dword v1, v0, s[4:5]
	v_max_f32_e32 v0, v48, v48
	s_mov_b32 s2, 0x3fb8aa3b
	s_mov_b32 s4, 0xc2ce8ed0
	s_waitcnt vmcnt(0)
	v_max_f32_e32 v2, v1, v1
	v_max_f32_e32 v0, v0, v2
	v_sub_f32_e32 v2, v48, v0
	v_sub_f32_e32 v1, v1, v0
	v_mul_f32_e32 v3, 0x3fb8aa3b, v2
	v_mul_f32_e32 v4, 0x3fb8aa3b, v1
	v_fma_f32 v5, v2, s2, -v3
	v_rndne_f32_e32 v6, v3
	v_fma_f32 v7, v1, s2, -v4
	v_rndne_f32_e32 v8, v4
	v_fmac_f32_e32 v5, 0x32a5705f, v2
	v_sub_f32_e32 v3, v3, v6
	v_fmac_f32_e32 v7, 0x32a5705f, v1
	v_sub_f32_e32 v4, v4, v8
	v_add_f32_e32 v3, v3, v5
	v_cvt_i32_f32_e32 v6, v6
	v_add_f32_e32 v4, v4, v7
	v_exp_f32_e32 v3, v3
	v_cvt_i32_f32_e32 v8, v8
	v_exp_f32_e32 v4, v4
	v_cmp_ngt_f32_e32 vcc, s4, v2
	v_ldexp_f32 v3, v3, v6
	s_mov_b32 s2, 0x42b17218
	v_ldexp_f32 v4, v4, v8
	v_cndmask_b32_e32 v3, 0, v3, vcc
	v_cmp_ngt_f32_e32 vcc, s4, v1
	v_mov_b32_e32 v5, 0x7f800000
	s_nop 0
	v_cndmask_b32_e32 v4, 0, v4, vcc
	v_cmp_nlt_f32_e32 vcc, s2, v2
	s_nop 1
	v_cndmask_b32_e32 v2, v5, v3, vcc
	v_cvt_f16_f32_e32 v3, v2
	v_cmp_nlt_f32_e32 vcc, s2, v1
	s_nop 1
	v_cndmask_b32_e32 v1, v5, v4, vcc
	v_fmac_f32_e32 v1, v49, v2
	v_mul_u32_u24_e32 v2, 0x10001, v3
	v_pk_mul_f16 v72, v72, v2
	v_pk_mul_f16 v71, v71, v2
	v_mov_b64_e32 v[48:49], v[0:1]
	v_cmp_gt_i32_e32 vcc, s26, v45
	s_and_saveexec_b64 s[4:5], vcc
	s_cbranch_execnz .LBB65_62
.LBB65_60:
	s_endpgm
.LBB65_61:
	v_mov_b32_e32 v1, v49
	v_cmp_gt_i32_e32 vcc, s26, v45
	s_and_saveexec_b64 s[4:5], vcc
	s_cbranch_execz .LBB65_60
.LBB65_62:
	s_load_dword s2, s[0:1], 0xd4
	s_mul_i32 s33, s33, s26
	v_add_u32_e32 v0, s33, v45
	v_mul_lo_u32 v0, v0, s27
	v_add_u32_e32 v0, s34, v0
	s_waitcnt lgkmcnt(0)
	s_cmp_lg_u32 s2, 1
	v_mul_lo_u32 v0, s2, v0
	s_cselect_b64 s[0:1], -1, 0
	v_add_u32_e32 v0, s3, v0
	s_and_saveexec_b64 s[2:3], s[14:15]
	s_cbranch_execz .LBB65_64
; %bb.63:
	v_div_scale_f32 v4, s[4:5], v1, v1, 1.0
	v_rcp_f32_e32 v5, v4
	v_cvt_f32_f16_sdwa v9, v72 dst_sel:DWORD dst_unused:UNUSED_PAD src0_sel:WORD_1
	v_cvt_f32_f16_sdwa v11, v71 dst_sel:DWORD dst_unused:UNUSED_PAD src0_sel:WORD_1
	v_cvt_f32_f16_e32 v10, v71
	v_fma_f32 v6, -v4, v5, 1.0
	v_fmac_f32_e32 v5, v6, v5
	v_div_scale_f32 v6, vcc, 1.0, v1, 1.0
	v_mul_f32_e32 v7, v6, v5
	v_fma_f32 v8, -v4, v7, v6
	v_fmac_f32_e32 v7, v8, v5
	v_fma_f32 v4, -v4, v7, v6
	v_div_fmas_f32 v4, v4, v5, v7
	v_cvt_f32_f16_e32 v8, v72
	v_div_fixup_f32 v1, v4, v1, 1.0
	s_movk_i32 s4, 0x70
	v_cndmask_b32_e64 v4, v1, 1.0, s[0:1]
	v_mul_lo_u32 v1, v0, s4
	v_mov_b32_e32 v2, s20
	v_mov_b32_e32 v3, s21
	v_lshl_add_u32 v6, v44, 2, v1
	v_mov_b32_e32 v7, 0
	v_lshl_add_u64 v[6:7], v[6:7], 2, v[2:3]
	v_pk_mul_f32 v[2:3], v[4:5], v[8:9] op_sel_hi:[0,1]
	v_pk_mul_f32 v[4:5], v[4:5], v[10:11] op_sel_hi:[0,1]
	global_store_dwordx4 v[6:7], v[2:5], off
.LBB65_64:
	s_or_b64 exec, exec, s[2:3]
	v_cmp_eq_u32_e32 vcc, 0, v44
	s_and_b64 s[0:1], vcc, s[0:1]
	s_and_b64 exec, exec, s[0:1]
	s_cbranch_execz .LBB65_60
; %bb.65:
	v_mov_b32_e32 v2, s22
	v_mov_b32_e32 v3, s23
	v_ashrrev_i32_e32 v1, 31, v0
	v_lshl_add_u64 v[0:1], v[0:1], 3, v[2:3]
	global_store_dwordx2 v[0:1], v[48:49], off
	s_endpgm
	.section	.rodata,"a",@progbits
	.p2align	6, 0x0
	.amdhsa_kernel _ZL15flash_attn_tileILi112ELi112ELi4ELi1ELb0EEvPKcS1_S1_S1_S1_PKiPfP15HIP_vector_typeIfLj2EEffffjfiS5_IjLj3EEiiiiiiiiiiiliiliiiiil
		.amdhsa_group_segment_fixed_size 5312
		.amdhsa_private_segment_fixed_size 32
		.amdhsa_kernarg_size 464
		.amdhsa_user_sgpr_count 2
		.amdhsa_user_sgpr_dispatch_ptr 0
		.amdhsa_user_sgpr_queue_ptr 0
		.amdhsa_user_sgpr_kernarg_segment_ptr 1
		.amdhsa_user_sgpr_dispatch_id 0
		.amdhsa_user_sgpr_kernarg_preload_length 0
		.amdhsa_user_sgpr_kernarg_preload_offset 0
		.amdhsa_user_sgpr_private_segment_size 0
		.amdhsa_uses_dynamic_stack 0
		.amdhsa_enable_private_segment 1
		.amdhsa_system_sgpr_workgroup_id_x 1
		.amdhsa_system_sgpr_workgroup_id_y 1
		.amdhsa_system_sgpr_workgroup_id_z 1
		.amdhsa_system_sgpr_workgroup_info 0
		.amdhsa_system_vgpr_workitem_id 1
		.amdhsa_next_free_vgpr 105
		.amdhsa_next_free_sgpr 48
		.amdhsa_accum_offset 108
		.amdhsa_reserve_vcc 1
		.amdhsa_float_round_mode_32 0
		.amdhsa_float_round_mode_16_64 0
		.amdhsa_float_denorm_mode_32 3
		.amdhsa_float_denorm_mode_16_64 3
		.amdhsa_dx10_clamp 1
		.amdhsa_ieee_mode 1
		.amdhsa_fp16_overflow 0
		.amdhsa_tg_split 0
		.amdhsa_exception_fp_ieee_invalid_op 0
		.amdhsa_exception_fp_denorm_src 0
		.amdhsa_exception_fp_ieee_div_zero 0
		.amdhsa_exception_fp_ieee_overflow 0
		.amdhsa_exception_fp_ieee_underflow 0
		.amdhsa_exception_fp_ieee_inexact 0
		.amdhsa_exception_int_div_zero 0
	.end_amdhsa_kernel
	.section	.text._ZL15flash_attn_tileILi112ELi112ELi4ELi1ELb0EEvPKcS1_S1_S1_S1_PKiPfP15HIP_vector_typeIfLj2EEffffjfiS5_IjLj3EEiiiiiiiiiiiliiliiiiil,"axG",@progbits,_ZL15flash_attn_tileILi112ELi112ELi4ELi1ELb0EEvPKcS1_S1_S1_S1_PKiPfP15HIP_vector_typeIfLj2EEffffjfiS5_IjLj3EEiiiiiiiiiiiliiliiiiil,comdat
.Lfunc_end65:
	.size	_ZL15flash_attn_tileILi112ELi112ELi4ELi1ELb0EEvPKcS1_S1_S1_S1_PKiPfP15HIP_vector_typeIfLj2EEffffjfiS5_IjLj3EEiiiiiiiiiiiliiliiiiil, .Lfunc_end65-_ZL15flash_attn_tileILi112ELi112ELi4ELi1ELb0EEvPKcS1_S1_S1_S1_PKiPfP15HIP_vector_typeIfLj2EEffffjfiS5_IjLj3EEiiiiiiiiiiiliiliiiiil
                                        ; -- End function
	.set _ZL15flash_attn_tileILi112ELi112ELi4ELi1ELb0EEvPKcS1_S1_S1_S1_PKiPfP15HIP_vector_typeIfLj2EEffffjfiS5_IjLj3EEiiiiiiiiiiiliiliiiiil.num_vgpr, 105
	.set _ZL15flash_attn_tileILi112ELi112ELi4ELi1ELb0EEvPKcS1_S1_S1_S1_PKiPfP15HIP_vector_typeIfLj2EEffffjfiS5_IjLj3EEiiiiiiiiiiiliiliiiiil.num_agpr, 0
	.set _ZL15flash_attn_tileILi112ELi112ELi4ELi1ELb0EEvPKcS1_S1_S1_S1_PKiPfP15HIP_vector_typeIfLj2EEffffjfiS5_IjLj3EEiiiiiiiiiiiliiliiiiil.numbered_sgpr, 48
	.set _ZL15flash_attn_tileILi112ELi112ELi4ELi1ELb0EEvPKcS1_S1_S1_S1_PKiPfP15HIP_vector_typeIfLj2EEffffjfiS5_IjLj3EEiiiiiiiiiiiliiliiiiil.num_named_barrier, 0
	.set _ZL15flash_attn_tileILi112ELi112ELi4ELi1ELb0EEvPKcS1_S1_S1_S1_PKiPfP15HIP_vector_typeIfLj2EEffffjfiS5_IjLj3EEiiiiiiiiiiiliiliiiiil.private_seg_size, 32
	.set _ZL15flash_attn_tileILi112ELi112ELi4ELi1ELb0EEvPKcS1_S1_S1_S1_PKiPfP15HIP_vector_typeIfLj2EEffffjfiS5_IjLj3EEiiiiiiiiiiiliiliiiiil.uses_vcc, 1
	.set _ZL15flash_attn_tileILi112ELi112ELi4ELi1ELb0EEvPKcS1_S1_S1_S1_PKiPfP15HIP_vector_typeIfLj2EEffffjfiS5_IjLj3EEiiiiiiiiiiiliiliiiiil.uses_flat_scratch, 0
	.set _ZL15flash_attn_tileILi112ELi112ELi4ELi1ELb0EEvPKcS1_S1_S1_S1_PKiPfP15HIP_vector_typeIfLj2EEffffjfiS5_IjLj3EEiiiiiiiiiiiliiliiiiil.has_dyn_sized_stack, 0
	.set _ZL15flash_attn_tileILi112ELi112ELi4ELi1ELb0EEvPKcS1_S1_S1_S1_PKiPfP15HIP_vector_typeIfLj2EEffffjfiS5_IjLj3EEiiiiiiiiiiiliiliiiiil.has_recursion, 0
	.set _ZL15flash_attn_tileILi112ELi112ELi4ELi1ELb0EEvPKcS1_S1_S1_S1_PKiPfP15HIP_vector_typeIfLj2EEffffjfiS5_IjLj3EEiiiiiiiiiiiliiliiiiil.has_indirect_call, 0
	.section	.AMDGPU.csdata,"",@progbits
; Kernel info:
; codeLenInByte = 11584
; TotalNumSgprs: 54
; NumVgprs: 105
; NumAgprs: 0
; TotalNumVgprs: 105
; ScratchSize: 32
; MemoryBound: 0
; FloatMode: 240
; IeeeMode: 1
; LDSByteSize: 5312 bytes/workgroup (compile time only)
; SGPRBlocks: 6
; VGPRBlocks: 13
; NumSGPRsForWavesPerEU: 54
; NumVGPRsForWavesPerEU: 105
; AccumOffset: 108
; Occupancy: 4
; WaveLimiterHint : 1
; COMPUTE_PGM_RSRC2:SCRATCH_EN: 1
; COMPUTE_PGM_RSRC2:USER_SGPR: 2
; COMPUTE_PGM_RSRC2:TRAP_HANDLER: 0
; COMPUTE_PGM_RSRC2:TGID_X_EN: 1
; COMPUTE_PGM_RSRC2:TGID_Y_EN: 1
; COMPUTE_PGM_RSRC2:TGID_Z_EN: 1
; COMPUTE_PGM_RSRC2:TIDIG_COMP_CNT: 1
; COMPUTE_PGM_RSRC3_GFX90A:ACCUM_OFFSET: 26
; COMPUTE_PGM_RSRC3_GFX90A:TG_SPLIT: 0
	.section	.text._ZL33flash_attn_stream_k_fixup_uniformILi112ELi4ELi1EEvPfPK15HIP_vector_typeIfLj2EEiiiiiiS1_IjLj3EES5_S5_,"axG",@progbits,_ZL33flash_attn_stream_k_fixup_uniformILi112ELi4ELi1EEvPfPK15HIP_vector_typeIfLj2EEiiiiiiS1_IjLj3EES5_S5_,comdat
	.globl	_ZL33flash_attn_stream_k_fixup_uniformILi112ELi4ELi1EEvPfPK15HIP_vector_typeIfLj2EEiiiiiiS1_IjLj3EES5_S5_ ; -- Begin function _ZL33flash_attn_stream_k_fixup_uniformILi112ELi4ELi1EEvPfPK15HIP_vector_typeIfLj2EEiiiiiiS1_IjLj3EES5_S5_
	.p2align	8
	.type	_ZL33flash_attn_stream_k_fixup_uniformILi112ELi4ELi1EEvPfPK15HIP_vector_typeIfLj2EEiiiiiiS1_IjLj3EES5_S5_,@function
_ZL33flash_attn_stream_k_fixup_uniformILi112ELi4ELi1EEvPfPK15HIP_vector_typeIfLj2EEiiiiiiS1_IjLj3EES5_S5_: ; @_ZL33flash_attn_stream_k_fixup_uniformILi112ELi4ELi1EEvPfPK15HIP_vector_typeIfLj2EEiiiiiiS1_IjLj3EES5_S5_
; %bb.0:
	s_load_dwordx8 s[8:15], s[0:1], 0x1c
	s_load_dwordx2 s[6:7], s[0:1], 0x10
	s_load_dwordx4 s[16:19], s[0:1], 0x3c
	s_waitcnt lgkmcnt(0)
	s_mul_hi_u32 s5, s11, s2
	s_add_i32 s5, s2, s5
	s_lshr_b32 s5, s5, s12
	s_mul_i32 s11, s5, s13
	s_sub_i32 s12, s2, s11
	s_mul_hi_u32 s11, s12, s14
	s_add_i32 s11, s12, s11
	s_lshr_b32 s11, s11, s15
	s_mul_i32 s13, s11, s16
	s_sub_i32 s12, s12, s13
	;; [unrolled: 5-line block ×3, first 2 shown]
	s_lshl_b32 s12, s17, 2
	s_add_i32 s12, s12, s3
	s_cmp_lt_i32 s12, s6
	s_cselect_b64 s[12:13], -1, 0
	s_add_i32 s16, s16, s4
	s_cmp_lt_i32 s16, s9
	s_cselect_b64 s[14:15], -1, 0
	s_and_b64 s[12:13], s[12:13], s[14:15]
	s_andn2_b64 vcc, exec, s[12:13]
	s_cbranch_vccnz .LBB66_6
; %bb.1:
	s_load_dwordx4 s[12:15], s[0:1], 0x0
	s_mul_i32 s0, s5, s6
	s_mul_i32 s11, s11, s9
	s_add_i32 s0, s0, s3
	s_mul_i32 s0, s0, s7
	s_add_i32 s5, s16, s11
	;; [unrolled: 2-line block ×3, first 2 shown]
	s_mulk_i32 s1, 0x1c0
	s_mulk_i32 s0, 0x70
	s_add_i32 s0, s0, s1
	v_add_u32_e32 v4, s0, v0
	s_waitcnt lgkmcnt(0)
	v_mov_b32_e32 v2, s12
	v_mov_b32_e32 v3, s13
	v_ashrrev_i32_e32 v5, 31, v4
	v_lshl_add_u64 v[2:3], v[4:5], 2, v[2:3]
	global_load_dword v5, v[2:3], off
	s_mul_i32 s6, s10, s2
	s_add_i32 s7, s6, s10
	s_add_i32 s3, s3, s4
	s_lshl_b32 s0, s7, 2
	s_add_i32 s0, s3, s0
	s_add_i32 s0, s0, -4
	s_ashr_i32 s1, s0, 31
	s_lshl_b64 s[0:1], s[0:1], 3
	s_add_u32 s0, s14, s0
	s_addc_u32 s1, s15, s1
	s_load_dword s9, s[0:1], 0x4
	s_add_i32 s4, s7, -2
	s_cmp_lt_i32 s4, s6
	s_cbranch_scc1 .LBB66_4
; %bb.2:
	s_lshl_b32 s4, s8, 4
	s_ashr_i32 s5, s4, 31
	s_lshl_b64 s[4:5], s[4:5], 2
	s_add_u32 s4, s14, s4
	s_addc_u32 s5, s15, s5
	s_load_dword s0, s[0:1], 0x0
	s_add_i32 s2, s2, 1
	s_mul_i32 s10, s10, s2
	s_mul_i32 s1, s3, 0x70
	s_lshl_b32 s2, s10, 2
	s_mulk_i32 s10, 0x1c0
	s_add_i32 s2, s3, s2
	s_lshl_b32 s3, s8, 2
	s_add_i32 s1, s1, s10
	s_add_i32 s2, s2, s3
	v_add_u32_e32 v0, s1, v0
	s_add_i32 s7, s7, -1
	s_add_i32 s2, s2, -8
	v_add_u32_e32 v0, 0xfffffc80, v0
	s_waitcnt lgkmcnt(0)
	v_mov_b32_e32 v7, s0
	v_mov_b32_e32 v4, s9
	s_mov_b32 s8, 0x3fb8aa3b
	s_mov_b32 s9, 0xc2ce8ed0
	;; [unrolled: 1-line block ×3, first 2 shown]
	v_mov_b32_e32 v6, 0x7f800000
	s_mov_b32 s11, 0xc1a00000
.LBB66_3:                               ; =>This Inner Loop Header: Depth=1
	v_ashrrev_i32_e32 v1, 31, v0
	v_lshl_add_u64 v[8:9], v[0:1], 2, s[4:5]
	global_load_dword v9, v[8:9], off
	s_ashr_i32 s3, s2, 31
	s_lshl_b64 s[0:1], s[2:3], 3
	s_add_u32 s0, s14, s0
	s_addc_u32 s1, s15, s1
	s_load_dwordx2 s[0:1], s[0:1], 0x0
	v_max_f32_e32 v1, v7, v7
	s_add_i32 s7, s7, -1
	s_add_i32 s2, s2, -4
	v_add_u32_e32 v0, 0xfffffe40, v0
	s_waitcnt lgkmcnt(0)
	v_max_f32_e64 v10, s0, s0
	v_max_f32_e32 v1, v1, v10
	v_sub_f32_e32 v11, s0, v1
	v_sub_f32_e32 v10, v7, v1
	v_mul_f32_e32 v12, 0x3fb8aa3b, v11
	v_mov_b32_e32 v7, v1
	v_mul_f32_e32 v1, 0x3fb8aa3b, v10
	v_fma_f32 v15, v11, s8, -v12
	v_rndne_f32_e32 v16, v12
	v_fma_f32 v13, v10, s8, -v1
	v_rndne_f32_e32 v14, v1
	v_fmac_f32_e32 v15, 0x32a5705f, v11
	v_sub_f32_e32 v12, v12, v16
	v_fmac_f32_e32 v13, 0x32a5705f, v10
	v_sub_f32_e32 v1, v1, v14
	v_add_f32_e32 v12, v12, v15
	v_cvt_i32_f32_e32 v16, v16
	v_add_f32_e32 v1, v1, v13
	v_exp_f32_e32 v12, v12
	v_cvt_i32_f32_e32 v14, v14
	v_exp_f32_e32 v1, v1
	v_cmp_ngt_f32_e32 vcc, s9, v11
	v_ldexp_f32 v12, v12, v16
	v_mov_b32_e32 v8, s1
	v_ldexp_f32 v1, v1, v14
	v_cmp_ngt_f32_e64 s[0:1], s9, v10
	v_cndmask_b32_e32 v12, 0, v12, vcc
	v_cmp_nlt_f32_e32 vcc, s10, v11
	v_cndmask_b32_e64 v1, 0, v1, s[0:1]
	v_cmp_nlt_f32_e64 s[0:1], s10, v10
	v_cndmask_b32_e32 v12, v6, v12, vcc
	v_cmp_le_f32_e32 vcc, s11, v11
	v_cndmask_b32_e64 v1, v6, v1, s[0:1]
	v_cmp_le_f32_e64 s[0:1], s11, v10
	v_cndmask_b32_e32 v12, 0, v12, vcc
	s_cmp_le_i32 s7, s6
	v_cndmask_b32_e64 v10, 0, v1, s[0:1]
	s_waitcnt vmcnt(0)
	v_pk_mul_f32 v[8:9], v[8:9], v[12:13] op_sel_hi:[1,0]
	s_nop 0
	v_pk_fma_f32 v[4:5], v[4:5], v[10:11], v[8:9] op_sel_hi:[1,0,1]
	s_cbranch_scc0 .LBB66_3
	s_branch .LBB66_5
.LBB66_4:
	s_waitcnt lgkmcnt(0)
	v_mov_b32_e32 v4, s9
.LBB66_5:
	s_waitcnt vmcnt(0)
	v_div_scale_f32 v0, s[0:1], v4, v4, v5
	v_rcp_f32_e32 v1, v0
	v_div_scale_f32 v6, vcc, v5, v4, v5
	v_fma_f32 v7, -v0, v1, 1.0
	v_fmac_f32_e32 v1, v7, v1
	v_mul_f32_e32 v7, v6, v1
	v_fma_f32 v8, -v0, v7, v6
	v_fmac_f32_e32 v7, v8, v1
	v_fma_f32 v0, -v0, v7, v6
	v_div_fmas_f32 v0, v0, v1, v7
	v_div_fixup_f32 v0, v0, v4, v5
	global_store_dword v[2:3], v0, off
.LBB66_6:
	s_endpgm
	.section	.rodata,"a",@progbits
	.p2align	6, 0x0
	.amdhsa_kernel _ZL33flash_attn_stream_k_fixup_uniformILi112ELi4ELi1EEvPfPK15HIP_vector_typeIfLj2EEiiiiiiS1_IjLj3EES5_S5_
		.amdhsa_group_segment_fixed_size 0
		.amdhsa_private_segment_fixed_size 0
		.amdhsa_kernarg_size 76
		.amdhsa_user_sgpr_count 2
		.amdhsa_user_sgpr_dispatch_ptr 0
		.amdhsa_user_sgpr_queue_ptr 0
		.amdhsa_user_sgpr_kernarg_segment_ptr 1
		.amdhsa_user_sgpr_dispatch_id 0
		.amdhsa_user_sgpr_kernarg_preload_length 0
		.amdhsa_user_sgpr_kernarg_preload_offset 0
		.amdhsa_user_sgpr_private_segment_size 0
		.amdhsa_uses_dynamic_stack 0
		.amdhsa_enable_private_segment 0
		.amdhsa_system_sgpr_workgroup_id_x 1
		.amdhsa_system_sgpr_workgroup_id_y 1
		.amdhsa_system_sgpr_workgroup_id_z 1
		.amdhsa_system_sgpr_workgroup_info 0
		.amdhsa_system_vgpr_workitem_id 0
		.amdhsa_next_free_vgpr 17
		.amdhsa_next_free_sgpr 20
		.amdhsa_accum_offset 20
		.amdhsa_reserve_vcc 1
		.amdhsa_float_round_mode_32 0
		.amdhsa_float_round_mode_16_64 0
		.amdhsa_float_denorm_mode_32 3
		.amdhsa_float_denorm_mode_16_64 3
		.amdhsa_dx10_clamp 1
		.amdhsa_ieee_mode 1
		.amdhsa_fp16_overflow 0
		.amdhsa_tg_split 0
		.amdhsa_exception_fp_ieee_invalid_op 0
		.amdhsa_exception_fp_denorm_src 0
		.amdhsa_exception_fp_ieee_div_zero 0
		.amdhsa_exception_fp_ieee_overflow 0
		.amdhsa_exception_fp_ieee_underflow 0
		.amdhsa_exception_fp_ieee_inexact 0
		.amdhsa_exception_int_div_zero 0
	.end_amdhsa_kernel
	.section	.text._ZL33flash_attn_stream_k_fixup_uniformILi112ELi4ELi1EEvPfPK15HIP_vector_typeIfLj2EEiiiiiiS1_IjLj3EES5_S5_,"axG",@progbits,_ZL33flash_attn_stream_k_fixup_uniformILi112ELi4ELi1EEvPfPK15HIP_vector_typeIfLj2EEiiiiiiS1_IjLj3EES5_S5_,comdat
.Lfunc_end66:
	.size	_ZL33flash_attn_stream_k_fixup_uniformILi112ELi4ELi1EEvPfPK15HIP_vector_typeIfLj2EEiiiiiiS1_IjLj3EES5_S5_, .Lfunc_end66-_ZL33flash_attn_stream_k_fixup_uniformILi112ELi4ELi1EEvPfPK15HIP_vector_typeIfLj2EEiiiiiiS1_IjLj3EES5_S5_
                                        ; -- End function
	.set _ZL33flash_attn_stream_k_fixup_uniformILi112ELi4ELi1EEvPfPK15HIP_vector_typeIfLj2EEiiiiiiS1_IjLj3EES5_S5_.num_vgpr, 17
	.set _ZL33flash_attn_stream_k_fixup_uniformILi112ELi4ELi1EEvPfPK15HIP_vector_typeIfLj2EEiiiiiiS1_IjLj3EES5_S5_.num_agpr, 0
	.set _ZL33flash_attn_stream_k_fixup_uniformILi112ELi4ELi1EEvPfPK15HIP_vector_typeIfLj2EEiiiiiiS1_IjLj3EES5_S5_.numbered_sgpr, 20
	.set _ZL33flash_attn_stream_k_fixup_uniformILi112ELi4ELi1EEvPfPK15HIP_vector_typeIfLj2EEiiiiiiS1_IjLj3EES5_S5_.num_named_barrier, 0
	.set _ZL33flash_attn_stream_k_fixup_uniformILi112ELi4ELi1EEvPfPK15HIP_vector_typeIfLj2EEiiiiiiS1_IjLj3EES5_S5_.private_seg_size, 0
	.set _ZL33flash_attn_stream_k_fixup_uniformILi112ELi4ELi1EEvPfPK15HIP_vector_typeIfLj2EEiiiiiiS1_IjLj3EES5_S5_.uses_vcc, 1
	.set _ZL33flash_attn_stream_k_fixup_uniformILi112ELi4ELi1EEvPfPK15HIP_vector_typeIfLj2EEiiiiiiS1_IjLj3EES5_S5_.uses_flat_scratch, 0
	.set _ZL33flash_attn_stream_k_fixup_uniformILi112ELi4ELi1EEvPfPK15HIP_vector_typeIfLj2EEiiiiiiS1_IjLj3EES5_S5_.has_dyn_sized_stack, 0
	.set _ZL33flash_attn_stream_k_fixup_uniformILi112ELi4ELi1EEvPfPK15HIP_vector_typeIfLj2EEiiiiiiS1_IjLj3EES5_S5_.has_recursion, 0
	.set _ZL33flash_attn_stream_k_fixup_uniformILi112ELi4ELi1EEvPfPK15HIP_vector_typeIfLj2EEiiiiiiS1_IjLj3EES5_S5_.has_indirect_call, 0
	.section	.AMDGPU.csdata,"",@progbits
; Kernel info:
; codeLenInByte = 816
; TotalNumSgprs: 26
; NumVgprs: 17
; NumAgprs: 0
; TotalNumVgprs: 17
; ScratchSize: 0
; MemoryBound: 0
; FloatMode: 240
; IeeeMode: 1
; LDSByteSize: 0 bytes/workgroup (compile time only)
; SGPRBlocks: 3
; VGPRBlocks: 2
; NumSGPRsForWavesPerEU: 26
; NumVGPRsForWavesPerEU: 17
; AccumOffset: 20
; Occupancy: 8
; WaveLimiterHint : 0
; COMPUTE_PGM_RSRC2:SCRATCH_EN: 0
; COMPUTE_PGM_RSRC2:USER_SGPR: 2
; COMPUTE_PGM_RSRC2:TRAP_HANDLER: 0
; COMPUTE_PGM_RSRC2:TGID_X_EN: 1
; COMPUTE_PGM_RSRC2:TGID_Y_EN: 1
; COMPUTE_PGM_RSRC2:TGID_Z_EN: 1
; COMPUTE_PGM_RSRC2:TIDIG_COMP_CNT: 0
; COMPUTE_PGM_RSRC3_GFX90A:ACCUM_OFFSET: 4
; COMPUTE_PGM_RSRC3_GFX90A:TG_SPLIT: 0
	.section	.text._ZL33flash_attn_stream_k_fixup_generalILi112ELi4ELi1EEvPfPK15HIP_vector_typeIfLj2EEiiiiS1_IjLj3EES5_S5_S5_,"axG",@progbits,_ZL33flash_attn_stream_k_fixup_generalILi112ELi4ELi1EEvPfPK15HIP_vector_typeIfLj2EEiiiiS1_IjLj3EES5_S5_S5_,comdat
	.globl	_ZL33flash_attn_stream_k_fixup_generalILi112ELi4ELi1EEvPfPK15HIP_vector_typeIfLj2EEiiiiS1_IjLj3EES5_S5_S5_ ; -- Begin function _ZL33flash_attn_stream_k_fixup_generalILi112ELi4ELi1EEvPfPK15HIP_vector_typeIfLj2EEiiiiS1_IjLj3EES5_S5_S5_
	.p2align	8
	.type	_ZL33flash_attn_stream_k_fixup_generalILi112ELi4ELi1EEvPfPK15HIP_vector_typeIfLj2EEiiiiS1_IjLj3EES5_S5_S5_,@function
_ZL33flash_attn_stream_k_fixup_generalILi112ELi4ELi1EEvPfPK15HIP_vector_typeIfLj2EEiiiiS1_IjLj3EES5_S5_S5_: ; @_ZL33flash_attn_stream_k_fixup_generalILi112ELi4ELi1EEvPfPK15HIP_vector_typeIfLj2EEiiiiS1_IjLj3EES5_S5_S5_
; %bb.0:
	s_load_dwordx4 s[8:11], s[0:1], 0x10
	s_load_dword s22, s[0:1], 0x50
	s_mov_b32 s12, 0
	s_waitcnt lgkmcnt(0)
	s_mul_hi_i32 s13, s11, s2
	s_cmp_lg_u64 s[12:13], 0
	s_mul_i32 s5, s11, s2
	s_cbranch_scc0 .LBB67_20
; %bb.1:
	s_add_u32 s6, s22, 0
	s_addc_u32 s7, 0, 0
	s_xor_b64 s[6:7], s[6:7], 0
	v_cvt_f32_u32_e32 v1, s6
	v_cvt_f32_u32_e32 v2, s7
	s_sub_u32 s12, 0, s6
	s_subb_u32 s18, 0, s7
	v_fmamk_f32 v1, v2, 0x4f800000, v1
	v_rcp_f32_e32 v1, v1
	s_nop 0
	v_mul_f32_e32 v1, 0x5f7ffffc, v1
	v_mul_f32_e32 v2, 0x2f800000, v1
	v_trunc_f32_e32 v2, v2
	v_fmamk_f32 v1, v2, 0xcf800000, v1
	v_cvt_u32_f32_e32 v2, v2
	v_cvt_u32_f32_e32 v1, v1
	v_readfirstlane_b32 s19, v2
	v_readfirstlane_b32 s14, v1
	s_mul_i32 s15, s12, s19
	s_mul_hi_u32 s21, s12, s14
	s_mul_i32 s20, s18, s14
	s_add_i32 s15, s21, s15
	s_add_i32 s15, s15, s20
	s_mul_i32 s23, s12, s14
	s_mul_i32 s21, s14, s15
	s_mul_hi_u32 s24, s14, s23
	s_mul_hi_u32 s20, s14, s15
	s_add_u32 s21, s24, s21
	s_addc_u32 s20, 0, s20
	s_mul_hi_u32 s25, s19, s23
	s_mul_i32 s23, s19, s23
	s_add_u32 s21, s21, s23
	s_mul_hi_u32 s24, s19, s15
	s_addc_u32 s20, s20, s25
	s_addc_u32 s21, s24, 0
	s_mul_i32 s15, s19, s15
	s_add_u32 s15, s20, s15
	s_addc_u32 s20, 0, s21
	s_add_u32 s21, s14, s15
	s_cselect_b64 s[14:15], -1, 0
	s_cmp_lg_u64 s[14:15], 0
	s_addc_u32 s19, s19, s20
	s_mul_i32 s14, s12, s19
	s_mul_hi_u32 s15, s12, s21
	s_add_i32 s14, s15, s14
	s_mul_i32 s18, s18, s21
	s_add_i32 s14, s14, s18
	s_mul_i32 s12, s12, s21
	s_mul_hi_u32 s18, s19, s12
	s_mul_i32 s20, s19, s12
	s_mul_i32 s24, s21, s14
	s_mul_hi_u32 s12, s21, s12
	s_mul_hi_u32 s23, s21, s14
	s_add_u32 s12, s12, s24
	s_addc_u32 s23, 0, s23
	s_add_u32 s12, s12, s20
	s_mul_hi_u32 s15, s19, s14
	s_addc_u32 s12, s23, s18
	s_addc_u32 s15, s15, 0
	s_mul_i32 s14, s19, s14
	s_add_u32 s12, s12, s14
	s_addc_u32 s18, 0, s15
	s_add_u32 s20, s21, s12
	s_cselect_b64 s[14:15], -1, 0
	s_cmp_lg_u64 s[14:15], 0
	s_addc_u32 s18, s19, s18
	s_ashr_i32 s14, s13, 31
	s_add_u32 s12, s5, s14
	s_mov_b32 s15, s14
	s_addc_u32 s13, s13, s14
	s_xor_b64 s[12:13], s[12:13], s[14:15]
	s_mul_i32 s21, s12, s18
	s_mul_hi_u32 s23, s12, s20
	s_mul_hi_u32 s19, s12, s18
	s_add_u32 s21, s23, s21
	s_addc_u32 s19, 0, s19
	s_mul_hi_u32 s24, s13, s20
	s_mul_i32 s20, s13, s20
	s_add_u32 s20, s21, s20
	s_mul_hi_u32 s23, s13, s18
	s_addc_u32 s19, s19, s24
	s_addc_u32 s20, s23, 0
	s_mul_i32 s18, s13, s18
	s_add_u32 s23, s19, s18
	s_addc_u32 s24, 0, s20
	s_mul_i32 s18, s6, s24
	s_mul_hi_u32 s19, s6, s23
	s_add_i32 s18, s19, s18
	s_mul_i32 s19, s7, s23
	s_add_i32 s25, s18, s19
	s_sub_i32 s20, s13, s25
	s_mul_i32 s18, s6, s23
	s_sub_u32 s12, s12, s18
	s_cselect_b64 s[18:19], -1, 0
	s_cmp_lg_u64 s[18:19], 0
	s_subb_u32 s26, s20, s7
	s_sub_u32 s27, s12, s6
	s_cselect_b64 s[20:21], -1, 0
	s_cmp_lg_u64 s[20:21], 0
	s_subb_u32 s20, s26, 0
	s_cmp_ge_u32 s20, s7
	s_cselect_b32 s21, -1, 0
	s_cmp_ge_u32 s27, s6
	s_cselect_b32 s26, -1, 0
	s_cmp_eq_u32 s20, s7
	s_cselect_b32 s20, s26, s21
	s_add_u32 s21, s23, 1
	s_addc_u32 s26, s24, 0
	s_add_u32 s27, s23, 2
	s_addc_u32 s28, s24, 0
	s_cmp_lg_u32 s20, 0
	s_cselect_b32 s20, s27, s21
	s_cselect_b32 s21, s28, s26
	s_cmp_lg_u64 s[18:19], 0
	s_subb_u32 s13, s13, s25
	s_cmp_ge_u32 s13, s7
	s_cselect_b32 s18, -1, 0
	s_cmp_ge_u32 s12, s6
	s_cselect_b32 s6, -1, 0
	s_cmp_eq_u32 s13, s7
	s_cselect_b32 s6, s6, s18
	s_cmp_lg_u32 s6, 0
	s_cselect_b32 s7, s21, s24
	s_cselect_b32 s6, s20, s23
	s_xor_b64 s[12:13], s[14:15], 0
	s_xor_b64 s[6:7], s[6:7], s[12:13]
	s_sub_u32 s6, s6, s12
	s_load_dwordx4 s[12:15], s[0:1], 0x44
	s_cbranch_execnz .LBB67_3
.LBB67_2:
	v_cvt_f32_u32_e32 v1, s22
	s_sub_i32 s6, 0, s22
	v_rcp_iflag_f32_e32 v1, v1
	s_nop 0
	v_mul_f32_e32 v1, 0x4f7ffffe, v1
	v_cvt_u32_f32_e32 v1, v1
	s_nop 0
	v_readfirstlane_b32 s7, v1
	s_mul_i32 s6, s6, s7
	s_mul_hi_u32 s6, s7, s6
	s_add_i32 s7, s7, s6
	s_mul_hi_u32 s6, s5, s7
	s_waitcnt lgkmcnt(0)
	s_mul_i32 s15, s6, s22
	s_sub_i32 s5, s5, s15
	s_add_i32 s7, s6, 1
	s_sub_i32 s15, s5, s22
	s_cmp_ge_u32 s5, s22
	s_cselect_b32 s6, s7, s6
	s_cselect_b32 s5, s15, s5
	s_add_i32 s7, s6, 1
	s_cmp_ge_u32 s5, s22
	s_cselect_b32 s6, s7, s6
.LBB67_3:
	s_add_i32 s5, s2, 1
	s_mul_hi_i32 s21, s11, s5
	s_mov_b32 s20, 0
	s_cmp_lg_u64 s[20:21], 0
	s_mul_i32 s5, s11, s5
	s_cbranch_scc0 .LBB67_21
; %bb.4:
	s_add_u32 s16, s22, 0
	s_addc_u32 s17, 0, 0
	s_xor_b64 s[18:19], s[16:17], 0
	v_cvt_f32_u32_e32 v1, s18
	v_cvt_f32_u32_e32 v2, s19
	s_sub_u32 s7, 0, s18
	s_waitcnt lgkmcnt(0)
	s_subb_u32 s15, 0, s19
	v_fmamk_f32 v1, v2, 0x4f800000, v1
	v_rcp_f32_e32 v1, v1
	s_nop 0
	v_mul_f32_e32 v1, 0x5f7ffffc, v1
	v_mul_f32_e32 v2, 0x2f800000, v1
	v_trunc_f32_e32 v2, v2
	v_fmamk_f32 v1, v2, 0xcf800000, v1
	v_cvt_u32_f32_e32 v2, v2
	v_cvt_u32_f32_e32 v1, v1
	v_readfirstlane_b32 s20, v2
	v_readfirstlane_b32 s23, v1
	s_mul_i32 s24, s7, s20
	s_mul_hi_u32 s26, s7, s23
	s_mul_i32 s25, s15, s23
	s_add_i32 s24, s26, s24
	s_add_i32 s24, s24, s25
	s_mul_i32 s27, s7, s23
	s_mul_i32 s26, s23, s24
	s_mul_hi_u32 s28, s23, s27
	s_mul_hi_u32 s25, s23, s24
	s_add_u32 s26, s28, s26
	s_addc_u32 s25, 0, s25
	s_mul_hi_u32 s29, s20, s27
	s_mul_i32 s27, s20, s27
	s_add_u32 s26, s26, s27
	s_mul_hi_u32 s28, s20, s24
	s_addc_u32 s25, s25, s29
	s_addc_u32 s26, s28, 0
	s_mul_i32 s24, s20, s24
	s_add_u32 s24, s25, s24
	s_addc_u32 s26, 0, s26
	s_add_u32 s23, s23, s24
	s_cselect_b64 s[24:25], -1, 0
	s_cmp_lg_u64 s[24:25], 0
	s_addc_u32 s20, s20, s26
	s_mul_i32 s24, s7, s20
	s_mul_hi_u32 s25, s7, s23
	s_add_i32 s24, s25, s24
	s_mul_i32 s15, s15, s23
	s_add_i32 s24, s24, s15
	s_mul_i32 s7, s7, s23
	s_mul_hi_u32 s25, s20, s7
	s_mul_i32 s26, s20, s7
	s_mul_i32 s28, s23, s24
	s_mul_hi_u32 s7, s23, s7
	s_mul_hi_u32 s27, s23, s24
	s_add_u32 s7, s7, s28
	s_addc_u32 s27, 0, s27
	s_add_u32 s7, s7, s26
	s_mul_hi_u32 s15, s20, s24
	s_addc_u32 s7, s27, s25
	s_addc_u32 s15, s15, 0
	s_mul_i32 s24, s20, s24
	s_add_u32 s7, s7, s24
	s_addc_u32 s15, 0, s15
	s_add_u32 s7, s23, s7
	s_cselect_b64 s[24:25], -1, 0
	s_cmp_lg_u64 s[24:25], 0
	s_addc_u32 s15, s20, s15
	s_ashr_i32 s24, s21, 31
	s_add_u32 s20, s5, s24
	s_mov_b32 s25, s24
	s_addc_u32 s21, s21, s24
	s_xor_b64 s[20:21], s[20:21], s[24:25]
	s_mul_i32 s26, s20, s15
	s_mul_hi_u32 s27, s20, s7
	s_mul_hi_u32 s23, s20, s15
	s_add_u32 s26, s27, s26
	s_addc_u32 s23, 0, s23
	s_mul_hi_u32 s28, s21, s7
	s_mul_i32 s7, s21, s7
	s_add_u32 s7, s26, s7
	s_mul_hi_u32 s27, s21, s15
	s_addc_u32 s7, s23, s28
	s_addc_u32 s23, s27, 0
	s_mul_i32 s15, s21, s15
	s_add_u32 s7, s7, s15
	s_addc_u32 s15, 0, s23
	s_mul_i32 s23, s18, s15
	s_mul_hi_u32 s26, s18, s7
	s_add_i32 s23, s26, s23
	s_mul_i32 s26, s19, s7
	s_add_i32 s23, s23, s26
	s_sub_i32 s28, s21, s23
	s_mul_i32 s26, s18, s7
	s_sub_u32 s20, s20, s26
	s_cselect_b64 s[26:27], -1, 0
	s_cmp_lg_u64 s[26:27], 0
	s_subb_u32 s30, s28, s19
	s_sub_u32 s31, s20, s18
	s_cselect_b64 s[28:29], -1, 0
	s_cmp_lg_u64 s[28:29], 0
	s_subb_u32 s28, s30, 0
	s_cmp_ge_u32 s28, s19
	s_cselect_b32 s29, -1, 0
	s_cmp_ge_u32 s31, s18
	s_cselect_b32 s30, -1, 0
	s_cmp_eq_u32 s28, s19
	s_cselect_b32 s28, s30, s29
	s_add_u32 s29, s7, 1
	s_addc_u32 s30, s15, 0
	s_add_u32 s31, s7, 2
	s_addc_u32 s33, s15, 0
	s_cmp_lg_u32 s28, 0
	s_cselect_b32 s28, s31, s29
	s_cselect_b32 s29, s33, s30
	s_cmp_lg_u64 s[26:27], 0
	s_subb_u32 s21, s21, s23
	s_cmp_ge_u32 s21, s19
	s_cselect_b32 s23, -1, 0
	s_cmp_ge_u32 s20, s18
	s_cselect_b32 s18, -1, 0
	s_cmp_eq_u32 s21, s19
	s_cselect_b32 s18, s18, s23
	s_cmp_lg_u32 s18, 0
	s_cselect_b32 s19, s29, s15
	s_cselect_b32 s18, s28, s7
	s_xor_b64 s[20:21], s[24:25], 0
	s_xor_b64 s[18:19], s[18:19], s[20:21]
	s_sub_u32 s18, s18, s20
	s_cbranch_execnz .LBB67_6
.LBB67_5:
	v_cvt_f32_u32_e32 v1, s22
	s_sub_i32 s7, 0, s22
	v_rcp_iflag_f32_e32 v1, v1
	s_nop 0
	v_mul_f32_e32 v1, 0x4f7ffffe, v1
	v_cvt_u32_f32_e32 v1, v1
	s_waitcnt lgkmcnt(0)
	v_readfirstlane_b32 s15, v1
	s_mul_i32 s7, s7, s15
	s_mul_hi_u32 s7, s15, s7
	s_add_i32 s15, s15, s7
	s_mul_hi_u32 s7, s5, s15
	s_mul_i32 s16, s7, s22
	s_sub_i32 s5, s5, s16
	s_add_i32 s15, s7, 1
	s_sub_i32 s16, s5, s22
	s_cmp_ge_u32 s5, s22
	s_cselect_b32 s7, s15, s7
	s_cselect_b32 s5, s16, s5
	s_add_i32 s15, s7, 1
	s_cmp_ge_u32 s5, s22
	s_cselect_b32 s18, s15, s7
.LBB67_6:
	s_cmp_eq_u32 s6, s18
	s_waitcnt lgkmcnt(0)
	s_mul_hi_u32 s5, s6, s12
	s_cselect_b64 s[16:17], -1, 0
	s_add_i32 s5, s5, s6
	s_lshr_b32 s7, s5, s13
	s_mul_i32 s5, s7, s14
	s_cmp_eq_u32 s5, s6
	s_mul_hi_u32 s5, s18, s12
	s_cselect_b64 s[20:21], -1, 0
	s_add_i32 s5, s5, s18
	s_lshr_b32 s5, s5, s13
	s_cmp_eq_u32 s7, s5
	s_mul_i32 s5, s5, s14
	s_cselect_b64 s[24:25], -1, 0
	s_cmp_lg_u32 s5, s18
	s_cselect_b64 s[18:19], -1, 0
	s_and_b64 s[18:19], s[24:25], s[18:19]
	s_or_b64 s[16:17], s[16:17], s[20:21]
	s_or_b64 s[16:17], s[16:17], s[18:19]
	s_and_b64 vcc, exec, s[16:17]
	s_cbranch_vccnz .LBB67_23
; %bb.7:
	s_load_dwordx8 s[24:31], s[0:1], 0x20
	s_load_dword s5, s[0:1], 0x40
	s_waitcnt lgkmcnt(0)
	s_mul_hi_u32 s15, s6, s24
	s_add_i32 s15, s15, s6
	s_lshr_b32 s20, s15, s25
	s_mul_i32 s15, s20, s26
	s_sub_i32 s15, s6, s15
	s_mul_hi_u32 s16, s15, s27
	s_add_i32 s16, s15, s16
	s_lshr_b32 s21, s16, s28
	s_mul_i32 s16, s21, s29
	s_sub_i32 s15, s15, s16
	;; [unrolled: 5-line block ×3, first 2 shown]
	s_mul_hi_u32 s15, s5, s12
	s_add_i32 s5, s5, s15
	s_lshr_b32 s23, s5, s13
	s_lshl_b32 s5, s23, 2
	s_add_i32 s5, s5, s3
	s_cmp_lt_i32 s5, s8
	s_cselect_b64 s[16:17], -1, 0
	s_add_i32 s24, s24, s4
	s_cmp_lt_i32 s24, s10
	s_cselect_b64 s[18:19], -1, 0
	s_and_b64 s[16:17], s[16:17], s[18:19]
	s_andn2_b64 vcc, exec, s[16:17]
	s_cbranch_vccnz .LBB67_23
; %bb.8:
	s_load_dwordx4 s[16:19], s[0:1], 0x0
	s_mov_b32 s0, 0
	s_add_i32 s15, s3, s4
	s_lshl_b32 s4, s22, 4
	s_mov_b32 s5, s0
	s_lshl_b64 s[4:5], s[4:5], 2
	s_waitcnt lgkmcnt(0)
	s_add_u32 s4, s18, s4
	s_mul_i32 s1, s20, s8
	s_addc_u32 s5, s19, s5
	s_mul_i32 s21, s21, s10
	s_add_i32 s1, s1, s3
	s_mul_i32 s1, s1, s9
	s_add_i32 s3, s24, s21
	;; [unrolled: 2-line block ×3, first 2 shown]
	s_mulk_i32 s8, 0x1c0
	s_mulk_i32 s1, 0x70
	s_add_i32 s8, s8, s1
	v_add_u32_e32 v4, s8, v0
	v_mov_b32_e32 v2, s16
	v_mov_b32_e32 v3, s17
	v_ashrrev_i32_e32 v5, 31, v4
	v_lshl_add_u64 v[2:3], v[4:5], 2, v[2:3]
	global_load_dword v1, v[2:3], off
	v_cvt_f32_u32_e32 v4, s22
	s_lshl_b32 s1, s2, 2
	s_add_i32 s8, s1, s15
	s_ashr_i32 s9, s8, 31
	s_lshl_b64 s[8:9], s[8:9], 3
	v_rcp_iflag_f32_e32 v4, v4
	s_add_u32 s8, s18, s8
	s_addc_u32 s9, s19, s9
	s_load_dwordx2 s[8:9], s[8:9], 0x0
	v_mul_f32_e32 v4, 0x4f7ffffe, v4
	v_cvt_u32_f32_e32 v7, v4
	s_mul_i32 s1, s15, 0x70
	s_add_i32 s21, s2, -1
	v_add_u32_e32 v6, s1, v0
	s_waitcnt lgkmcnt(0)
	v_mov_b32_e32 v0, s9
	v_mov_b32_e32 v9, s8
	s_mov_b32 s10, 0x3fb8aa3b
	s_mov_b32 s20, 0xc2ce8ed0
	;; [unrolled: 1-line block ×4, first 2 shown]
	v_mov_b32_e32 v8, 0x7f800000
	s_mul_hi_i32 s1, s21, s11
	s_cmp_lg_u64 s[0:1], 0
	s_mul_i32 s16, s21, s11
	s_cbranch_scc0 .LBB67_19
.LBB67_9:
	s_add_u32 s2, s22, 0
	s_addc_u32 s3, 0, 0
	s_xor_b64 s[2:3], s[2:3], 0
	v_cvt_f32_u32_e32 v4, s2
	v_cvt_f32_u32_e32 v5, s3
	s_sub_u32 s17, 0, s2
	s_subb_u32 s25, 0, s3
	v_fmac_f32_e32 v4, 0x4f800000, v5
	v_rcp_f32_e32 v4, v4
	s_nop 0
	v_mul_f32_e32 v4, 0x5f7ffffc, v4
	v_mul_f32_e32 v5, 0x2f800000, v4
	v_trunc_f32_e32 v5, v5
	v_fmac_f32_e32 v4, 0xcf800000, v5
	v_cvt_u32_f32_e32 v5, v5
	v_cvt_u32_f32_e32 v4, v4
	v_readfirstlane_b32 s26, v5
	v_readfirstlane_b32 s8, v4
	s_mul_i32 s9, s17, s26
	s_mul_hi_u32 s28, s17, s8
	s_mul_i32 s27, s25, s8
	s_add_i32 s9, s28, s9
	s_mul_i32 s29, s17, s8
	s_add_i32 s9, s9, s27
	s_mul_i32 s28, s8, s9
	s_mul_hi_u32 s30, s8, s29
	s_mul_hi_u32 s27, s8, s9
	s_add_u32 s28, s30, s28
	s_addc_u32 s27, 0, s27
	s_mul_hi_u32 s31, s26, s29
	s_mul_i32 s29, s26, s29
	s_add_u32 s28, s28, s29
	s_mul_hi_u32 s30, s26, s9
	s_addc_u32 s27, s27, s31
	s_addc_u32 s28, s30, 0
	s_mul_i32 s9, s26, s9
	s_add_u32 s9, s27, s9
	s_addc_u32 s27, 0, s28
	s_add_u32 s28, s8, s9
	s_cselect_b64 s[8:9], -1, 0
	s_cmp_lg_u64 s[8:9], 0
	s_addc_u32 s26, s26, s27
	s_mul_i32 s8, s17, s26
	s_mul_hi_u32 s9, s17, s28
	s_add_i32 s8, s9, s8
	s_mul_i32 s25, s25, s28
	s_add_i32 s8, s8, s25
	s_mul_i32 s17, s17, s28
	s_mul_hi_u32 s25, s26, s17
	s_mul_i32 s27, s26, s17
	s_mul_i32 s30, s28, s8
	s_mul_hi_u32 s17, s28, s17
	s_mul_hi_u32 s29, s28, s8
	s_add_u32 s17, s17, s30
	s_addc_u32 s29, 0, s29
	s_add_u32 s17, s17, s27
	s_mul_hi_u32 s9, s26, s8
	s_addc_u32 s17, s29, s25
	s_addc_u32 s9, s9, 0
	s_mul_i32 s8, s26, s8
	s_add_u32 s8, s17, s8
	s_addc_u32 s17, 0, s9
	s_add_u32 s25, s28, s8
	s_cselect_b64 s[8:9], -1, 0
	s_cmp_lg_u64 s[8:9], 0
	s_addc_u32 s17, s26, s17
	s_ashr_i32 s8, s1, 31
	s_add_u32 s26, s16, s8
	s_mov_b32 s9, s8
	s_addc_u32 s27, s1, s8
	s_xor_b64 s[26:27], s[26:27], s[8:9]
	s_mul_i32 s28, s26, s17
	s_mul_hi_u32 s29, s26, s25
	s_mul_hi_u32 s1, s26, s17
	s_add_u32 s28, s29, s28
	s_addc_u32 s1, 0, s1
	s_mul_hi_u32 s30, s27, s25
	s_mul_i32 s25, s27, s25
	s_add_u32 s25, s28, s25
	s_mul_hi_u32 s29, s27, s17
	s_addc_u32 s1, s1, s30
	s_addc_u32 s25, s29, 0
	s_mul_i32 s17, s27, s17
	s_add_u32 s1, s1, s17
	s_addc_u32 s17, 0, s25
	s_mul_i32 s25, s2, s17
	s_mul_hi_u32 s28, s2, s1
	s_add_i32 s25, s28, s25
	s_mul_i32 s28, s3, s1
	s_add_i32 s25, s25, s28
	s_sub_i32 s30, s27, s25
	s_mul_i32 s28, s2, s1
	s_sub_u32 s26, s26, s28
	s_cselect_b64 s[28:29], -1, 0
	s_cmp_lg_u64 s[28:29], 0
	s_subb_u32 s33, s30, s3
	s_sub_u32 s34, s26, s2
	s_cselect_b64 s[30:31], -1, 0
	s_cmp_lg_u64 s[30:31], 0
	s_subb_u32 s30, s33, 0
	s_cmp_ge_u32 s30, s3
	s_cselect_b32 s31, -1, 0
	s_cmp_ge_u32 s34, s2
	s_cselect_b32 s33, -1, 0
	s_cmp_eq_u32 s30, s3
	s_cselect_b32 s30, s33, s31
	s_add_u32 s31, s1, 1
	s_addc_u32 s33, s17, 0
	s_add_u32 s34, s1, 2
	s_addc_u32 s35, s17, 0
	s_cmp_lg_u32 s30, 0
	s_cselect_b32 s30, s34, s31
	s_cselect_b32 s31, s35, s33
	s_cmp_lg_u64 s[28:29], 0
	s_subb_u32 s25, s27, s25
	s_cmp_ge_u32 s25, s3
	s_cselect_b32 s27, -1, 0
	s_cmp_ge_u32 s26, s2
	s_cselect_b32 s2, -1, 0
	s_cmp_eq_u32 s25, s3
	s_cselect_b32 s2, s2, s27
	s_cmp_lg_u32 s2, 0
	s_cselect_b32 s3, s31, s17
	s_cselect_b32 s2, s30, s1
	s_xor_b64 s[8:9], s[8:9], 0
	s_xor_b64 s[2:3], s[2:3], s[8:9]
	s_sub_u32 s8, s2, s8
	s_cbranch_execnz .LBB67_11
.LBB67_10:
	s_sub_i32 s1, 0, s22
	v_readfirstlane_b32 s2, v7
	s_mul_i32 s1, s1, s2
	s_mul_hi_u32 s1, s2, s1
	s_add_i32 s2, s2, s1
	s_mul_hi_u32 s1, s16, s2
	s_mul_i32 s3, s1, s22
	s_sub_i32 s3, s16, s3
	s_add_i32 s2, s1, 1
	s_sub_i32 s8, s3, s22
	s_cmp_ge_u32 s3, s22
	s_cselect_b32 s1, s2, s1
	s_cselect_b32 s3, s8, s3
	s_add_i32 s2, s1, 1
	s_cmp_ge_u32 s3, s22
	s_cselect_b32 s8, s2, s1
.LBB67_11:
	s_cmp_lg_u32 s6, s8
	s_cbranch_scc0 .LBB67_15
; %bb.12:
	s_add_i32 s1, s21, s22
	s_lshl_b32 s1, s1, 2
	s_add_i32 s2, s1, s15
	s_mov_b32 s3, s0
	s_lshl_b64 s[2:3], s[2:3], 3
	s_add_u32 s16, s18, s2
	s_mul_hi_u32 s1, s8, s12
	s_addc_u32 s17, s19, s3
	s_add_i32 s1, s1, s8
	s_lshr_b32 s1, s1, s13
	s_mul_i32 s2, s1, s14
	s_cmp_eq_u32 s2, s8
	s_cselect_b64 s[2:3], -1, 0
	s_cmp_lt_u32 s1, s7
	s_cselect_b64 s[26:27], -1, 0
	s_or_b64 s[26:27], s[26:27], s[2:3]
	s_mov_b64 s[2:3], -1
	s_and_b64 vcc, exec, s[26:27]
	s_mov_b32 s1, s21
	s_mov_b32 s25, s6
	s_cbranch_vccnz .LBB67_14
; %bb.13:
	s_add_i32 s1, s21, -1
	s_mov_b64 s[2:3], 0
	s_mov_b32 s25, s8
.LBB67_14:
	s_mul_i32 s8, s21, 0x1c0
	v_add_u32_e32 v4, s8, v6
	v_ashrrev_i32_e32 v5, 31, v4
	v_lshl_add_u64 v[4:5], v[4:5], 2, s[4:5]
	global_load_dword v5, v[4:5], off
	s_load_dwordx2 s[8:9], s[16:17], 0x0
	v_max_f32_e32 v4, v9, v9
	s_waitcnt lgkmcnt(0)
	v_max_f32_e64 v10, s8, s8
	v_max_f32_e32 v10, v4, v10
	v_sub_f32_e32 v11, v9, v10
	v_sub_f32_e32 v13, s8, v10
	v_mul_f32_e32 v4, 0x3fb8aa3b, v11
	v_mul_f32_e32 v12, 0x3fb8aa3b, v13
	v_fma_f32 v14, v11, s10, -v4
	v_rndne_f32_e32 v15, v4
	v_fma_f32 v16, v13, s10, -v12
	v_rndne_f32_e32 v17, v12
	v_fmac_f32_e32 v14, 0x32a5705f, v11
	v_sub_f32_e32 v4, v4, v15
	v_fmac_f32_e32 v16, 0x32a5705f, v13
	v_sub_f32_e32 v12, v12, v17
	v_add_f32_e32 v4, v4, v14
	v_cvt_i32_f32_e32 v15, v15
	v_add_f32_e32 v12, v12, v16
	v_exp_f32_e32 v14, v4
	v_cvt_i32_f32_e32 v17, v17
	v_exp_f32_e32 v12, v12
	v_cmp_ngt_f32_e32 vcc, s20, v11
	v_ldexp_f32 v14, v14, v15
	v_mov_b32_e32 v4, s9
	v_ldexp_f32 v12, v12, v17
	v_cndmask_b32_e32 v14, 0, v14, vcc
	v_cmp_ngt_f32_e32 vcc, s20, v13
	s_nop 1
	v_cndmask_b32_e32 v12, 0, v12, vcc
	v_cmp_nlt_f32_e32 vcc, s23, v11
	s_nop 1
	v_cndmask_b32_e32 v14, v8, v14, vcc
	v_cmp_nlt_f32_e32 vcc, s23, v13
	s_nop 1
	v_cndmask_b32_e32 v15, v8, v12, vcc
	v_cmp_le_f32_e32 vcc, s24, v11
	s_nop 1
	v_cndmask_b32_e32 v12, 0, v14, vcc
	v_cmp_le_f32_e32 vcc, s24, v13
	s_nop 1
	v_cndmask_b32_e32 v14, 0, v15, vcc
	s_waitcnt vmcnt(0)
	v_pk_mul_f32 v[4:5], v[4:5], v[14:15] op_sel_hi:[1,0]
	s_nop 0
	v_pk_fma_f32 v[4:5], v[0:1], v[12:13], v[4:5] op_sel_hi:[1,0,1]
	s_cbranch_execz .LBB67_16
	s_branch .LBB67_17
.LBB67_15:
                                        ; implicit-def: $vgpr4_vgpr5
                                        ; implicit-def: $sgpr2_sgpr3
                                        ; implicit-def: $vgpr10
                                        ; implicit-def: $sgpr1
                                        ; implicit-def: $sgpr25
.LBB67_16:
	s_add_i32 s1, s21, -1
	s_mov_b64 s[2:3], 0
	s_mov_b32 s25, s6
	v_mov_b32_e32 v10, v9
	s_waitcnt vmcnt(0)
	v_mov_b64_e32 v[4:5], v[0:1]
.LBB67_17:
	s_andn2_b64 vcc, exec, s[2:3]
	s_cbranch_vccz .LBB67_22
; %bb.18:
	s_mov_b32 s6, s25
	s_mov_b32 s21, s1
	v_mov_b32_e32 v9, v10
	s_waitcnt vmcnt(0)
	v_mov_b64_e32 v[0:1], v[4:5]
	s_mul_hi_i32 s1, s21, s11
	s_cmp_lg_u64 s[0:1], 0
	s_mul_i32 s16, s21, s11
	s_cbranch_scc1 .LBB67_9
.LBB67_19:
                                        ; implicit-def: $sgpr8_sgpr9
	s_branch .LBB67_10
.LBB67_20:
                                        ; implicit-def: $sgpr6_sgpr7
	s_load_dwordx4 s[12:15], s[0:1], 0x44
	s_branch .LBB67_2
.LBB67_21:
                                        ; implicit-def: $sgpr18_sgpr19
	s_branch .LBB67_5
.LBB67_22:
	v_div_scale_f32 v0, s[0:1], v4, v4, v5
	s_waitcnt vmcnt(0)
	v_rcp_f32_e32 v1, v0
	v_div_scale_f32 v6, vcc, v5, v4, v5
	v_fma_f32 v7, -v0, v1, 1.0
	v_fmac_f32_e32 v1, v7, v1
	v_mul_f32_e32 v7, v6, v1
	v_fma_f32 v8, -v0, v7, v6
	v_fmac_f32_e32 v7, v8, v1
	v_fma_f32 v0, -v0, v7, v6
	v_div_fmas_f32 v0, v0, v1, v7
	v_div_fixup_f32 v0, v0, v4, v5
	global_store_dword v[2:3], v0, off
.LBB67_23:
	s_endpgm
	.section	.rodata,"a",@progbits
	.p2align	6, 0x0
	.amdhsa_kernel _ZL33flash_attn_stream_k_fixup_generalILi112ELi4ELi1EEvPfPK15HIP_vector_typeIfLj2EEiiiiS1_IjLj3EES5_S5_S5_
		.amdhsa_group_segment_fixed_size 0
		.amdhsa_private_segment_fixed_size 0
		.amdhsa_kernarg_size 336
		.amdhsa_user_sgpr_count 2
		.amdhsa_user_sgpr_dispatch_ptr 0
		.amdhsa_user_sgpr_queue_ptr 0
		.amdhsa_user_sgpr_kernarg_segment_ptr 1
		.amdhsa_user_sgpr_dispatch_id 0
		.amdhsa_user_sgpr_kernarg_preload_length 0
		.amdhsa_user_sgpr_kernarg_preload_offset 0
		.amdhsa_user_sgpr_private_segment_size 0
		.amdhsa_uses_dynamic_stack 0
		.amdhsa_enable_private_segment 0
		.amdhsa_system_sgpr_workgroup_id_x 1
		.amdhsa_system_sgpr_workgroup_id_y 1
		.amdhsa_system_sgpr_workgroup_id_z 1
		.amdhsa_system_sgpr_workgroup_info 0
		.amdhsa_system_vgpr_workitem_id 0
		.amdhsa_next_free_vgpr 18
		.amdhsa_next_free_sgpr 36
		.amdhsa_accum_offset 20
		.amdhsa_reserve_vcc 1
		.amdhsa_float_round_mode_32 0
		.amdhsa_float_round_mode_16_64 0
		.amdhsa_float_denorm_mode_32 3
		.amdhsa_float_denorm_mode_16_64 3
		.amdhsa_dx10_clamp 1
		.amdhsa_ieee_mode 1
		.amdhsa_fp16_overflow 0
		.amdhsa_tg_split 0
		.amdhsa_exception_fp_ieee_invalid_op 0
		.amdhsa_exception_fp_denorm_src 0
		.amdhsa_exception_fp_ieee_div_zero 0
		.amdhsa_exception_fp_ieee_overflow 0
		.amdhsa_exception_fp_ieee_underflow 0
		.amdhsa_exception_fp_ieee_inexact 0
		.amdhsa_exception_int_div_zero 0
	.end_amdhsa_kernel
	.section	.text._ZL33flash_attn_stream_k_fixup_generalILi112ELi4ELi1EEvPfPK15HIP_vector_typeIfLj2EEiiiiS1_IjLj3EES5_S5_S5_,"axG",@progbits,_ZL33flash_attn_stream_k_fixup_generalILi112ELi4ELi1EEvPfPK15HIP_vector_typeIfLj2EEiiiiS1_IjLj3EES5_S5_S5_,comdat
.Lfunc_end67:
	.size	_ZL33flash_attn_stream_k_fixup_generalILi112ELi4ELi1EEvPfPK15HIP_vector_typeIfLj2EEiiiiS1_IjLj3EES5_S5_S5_, .Lfunc_end67-_ZL33flash_attn_stream_k_fixup_generalILi112ELi4ELi1EEvPfPK15HIP_vector_typeIfLj2EEiiiiS1_IjLj3EES5_S5_S5_
                                        ; -- End function
	.set _ZL33flash_attn_stream_k_fixup_generalILi112ELi4ELi1EEvPfPK15HIP_vector_typeIfLj2EEiiiiS1_IjLj3EES5_S5_S5_.num_vgpr, 18
	.set _ZL33flash_attn_stream_k_fixup_generalILi112ELi4ELi1EEvPfPK15HIP_vector_typeIfLj2EEiiiiS1_IjLj3EES5_S5_S5_.num_agpr, 0
	.set _ZL33flash_attn_stream_k_fixup_generalILi112ELi4ELi1EEvPfPK15HIP_vector_typeIfLj2EEiiiiS1_IjLj3EES5_S5_S5_.numbered_sgpr, 36
	.set _ZL33flash_attn_stream_k_fixup_generalILi112ELi4ELi1EEvPfPK15HIP_vector_typeIfLj2EEiiiiS1_IjLj3EES5_S5_S5_.num_named_barrier, 0
	.set _ZL33flash_attn_stream_k_fixup_generalILi112ELi4ELi1EEvPfPK15HIP_vector_typeIfLj2EEiiiiS1_IjLj3EES5_S5_S5_.private_seg_size, 0
	.set _ZL33flash_attn_stream_k_fixup_generalILi112ELi4ELi1EEvPfPK15HIP_vector_typeIfLj2EEiiiiS1_IjLj3EES5_S5_S5_.uses_vcc, 1
	.set _ZL33flash_attn_stream_k_fixup_generalILi112ELi4ELi1EEvPfPK15HIP_vector_typeIfLj2EEiiiiS1_IjLj3EES5_S5_S5_.uses_flat_scratch, 0
	.set _ZL33flash_attn_stream_k_fixup_generalILi112ELi4ELi1EEvPfPK15HIP_vector_typeIfLj2EEiiiiS1_IjLj3EES5_S5_S5_.has_dyn_sized_stack, 0
	.set _ZL33flash_attn_stream_k_fixup_generalILi112ELi4ELi1EEvPfPK15HIP_vector_typeIfLj2EEiiiiS1_IjLj3EES5_S5_S5_.has_recursion, 0
	.set _ZL33flash_attn_stream_k_fixup_generalILi112ELi4ELi1EEvPfPK15HIP_vector_typeIfLj2EEiiiiS1_IjLj3EES5_S5_S5_.has_indirect_call, 0
	.section	.AMDGPU.csdata,"",@progbits
; Kernel info:
; codeLenInByte = 2936
; TotalNumSgprs: 42
; NumVgprs: 18
; NumAgprs: 0
; TotalNumVgprs: 18
; ScratchSize: 0
; MemoryBound: 0
; FloatMode: 240
; IeeeMode: 1
; LDSByteSize: 0 bytes/workgroup (compile time only)
; SGPRBlocks: 5
; VGPRBlocks: 2
; NumSGPRsForWavesPerEU: 42
; NumVGPRsForWavesPerEU: 18
; AccumOffset: 20
; Occupancy: 8
; WaveLimiterHint : 0
; COMPUTE_PGM_RSRC2:SCRATCH_EN: 0
; COMPUTE_PGM_RSRC2:USER_SGPR: 2
; COMPUTE_PGM_RSRC2:TRAP_HANDLER: 0
; COMPUTE_PGM_RSRC2:TGID_X_EN: 1
; COMPUTE_PGM_RSRC2:TGID_Y_EN: 1
; COMPUTE_PGM_RSRC2:TGID_Z_EN: 1
; COMPUTE_PGM_RSRC2:TIDIG_COMP_CNT: 0
; COMPUTE_PGM_RSRC3_GFX90A:ACCUM_OFFSET: 4
; COMPUTE_PGM_RSRC3_GFX90A:TG_SPLIT: 0
	.section	.text._ZL15flash_attn_tileILi112ELi112ELi2ELi1ELb0EEvPKcS1_S1_S1_S1_PKiPfP15HIP_vector_typeIfLj2EEffffjfiS5_IjLj3EEiiiiiiiiiiiliiliiiiil,"axG",@progbits,_ZL15flash_attn_tileILi112ELi112ELi2ELi1ELb0EEvPKcS1_S1_S1_S1_PKiPfP15HIP_vector_typeIfLj2EEffffjfiS5_IjLj3EEiiiiiiiiiiiliiliiiiil,comdat
	.globl	_ZL15flash_attn_tileILi112ELi112ELi2ELi1ELb0EEvPKcS1_S1_S1_S1_PKiPfP15HIP_vector_typeIfLj2EEffffjfiS5_IjLj3EEiiiiiiiiiiiliiliiiiil ; -- Begin function _ZL15flash_attn_tileILi112ELi112ELi2ELi1ELb0EEvPKcS1_S1_S1_S1_PKiPfP15HIP_vector_typeIfLj2EEffffjfiS5_IjLj3EEiiiiiiiiiiiliiliiiiil
	.p2align	8
	.type	_ZL15flash_attn_tileILi112ELi112ELi2ELi1ELb0EEvPKcS1_S1_S1_S1_PKiPfP15HIP_vector_typeIfLj2EEffffjfiS5_IjLj3EEiiiiiiiiiiiliiliiiiil,@function
_ZL15flash_attn_tileILi112ELi112ELi2ELi1ELb0EEvPKcS1_S1_S1_S1_PKiPfP15HIP_vector_typeIfLj2EEffffjfiS5_IjLj3EEiiiiiiiiiiiliiliiiiil: ; @_ZL15flash_attn_tileILi112ELi112ELi2ELi1ELb0EEvPKcS1_S1_S1_S1_PKiPfP15HIP_vector_typeIfLj2EEffffjfiS5_IjLj3EEiiiiiiiiiiiliiliiiiil
; %bb.0:
	s_load_dwordx4 s[36:39], s[0:1], 0x5c
	s_load_dwordx2 s[40:41], s[0:1], 0x80
	s_load_dwordx16 s[16:31], s[0:1], 0x0
	s_load_dwordx2 s[42:43], s[0:1], 0xb8
	s_mov_b64 s[34:35], 0
	s_waitcnt lgkmcnt(0)
	v_cvt_f32_u32_e32 v1, s39
	s_sub_i32 s5, 0, s39
	v_rcp_iflag_f32_e32 v1, v1
	s_nop 0
	v_mul_f32_e32 v1, 0x4f7ffffe, v1
	v_cvt_u32_f32_e32 v1, v1
	s_nop 0
	v_readfirstlane_b32 s6, v1
	s_mul_i32 s5, s5, s6
	s_mul_hi_u32 s5, s6, s5
	s_add_i32 s6, s6, s5
	s_mul_hi_u32 s5, s4, s6
	s_mul_i32 s6, s5, s39
	s_sub_i32 s6, s4, s6
	s_add_i32 s7, s5, 1
	s_sub_i32 s8, s6, s39
	s_cmp_ge_u32 s6, s39
	s_cselect_b32 s5, s7, s5
	s_cselect_b32 s6, s8, s6
	s_add_i32 s7, s5, 1
	s_cmp_ge_u32 s6, s39
	s_cselect_b32 s33, s7, s5
	s_abs_i32 s5, s41
	v_cvt_f32_u32_e32 v1, s5
	s_sub_i32 s8, 0, s5
	s_abs_i32 s7, s39
	s_xor_b32 s6, s39, s41
	v_rcp_iflag_f32_e32 v1, v1
	s_ashr_i32 s6, s6, 31
	v_mul_f32_e32 v1, 0x4f7ffffe, v1
	v_cvt_u32_f32_e32 v1, v1
	v_mul_lo_u32 v2, s8, v1
	v_mul_hi_u32 v2, v1, v2
	v_add_u32_e32 v1, v1, v2
	v_mul_hi_u32 v1, s7, v1
	v_mul_lo_u32 v2, v1, s5
	v_sub_u32_e32 v2, s7, v2
	v_add_u32_e32 v3, 1, v1
	v_subrev_u32_e32 v4, s5, v2
	v_cmp_le_u32_e32 vcc, s5, v2
	s_nop 1
	v_cndmask_b32_e32 v1, v1, v3, vcc
	v_cndmask_b32_e32 v2, v2, v4, vcc
	v_add_u32_e32 v3, 1, v1
	v_cmp_le_u32_e32 vcc, s5, v2
	s_mul_i32 s5, s33, s39
	s_sub_i32 s14, s4, s5
	v_cndmask_b32_e32 v1, v1, v3, vcc
	v_xor_b32_e32 v1, s6, v1
	v_subrev_u32_e32 v2, s6, v1
	v_sub_u32_e32 v1, 0, v2
	v_max_i32_e32 v1, v2, v1
	v_cvt_f32_u32_e32 v3, v1
	v_sub_u32_e32 v4, 0, v1
	s_cmp_eq_u64 s[22:23], 0
	v_rcp_iflag_f32_e32 v3, v3
	s_nop 0
	v_mul_f32_e32 v3, 0x4f7ffffe, v3
	v_cvt_u32_f32_e32 v3, v3
	v_mul_lo_u32 v4, v4, v3
	v_mul_hi_u32 v4, v3, v4
	s_cbranch_scc1 .LBB68_2
; %bb.1:
	s_abs_i32 s6, s42
	v_cvt_f32_u32_e32 v5, s6
	s_sub_i32 s9, 0, s6
	s_abs_i32 s8, s33
	s_ashr_i32 s7, s33, 31
	v_rcp_iflag_f32_e32 v5, v5
	s_load_dwordx2 s[4:5], s[0:1], 0xc8
	v_mul_f32_e32 v5, 0x4f7ffffe, v5
	v_cvt_u32_f32_e32 v5, v5
	s_nop 0
	v_readfirstlane_b32 s10, v5
	s_mul_i32 s9, s9, s10
	s_mul_hi_u32 s9, s10, s9
	s_add_i32 s10, s10, s9
	s_mul_hi_u32 s9, s8, s10
	s_mul_i32 s9, s9, s6
	s_sub_i32 s8, s8, s9
	s_sub_i32 s9, s8, s6
	s_cmp_ge_u32 s8, s6
	s_cselect_b32 s8, s9, s8
	s_sub_i32 s9, s8, s6
	s_cmp_ge_u32 s8, s6
	s_cselect_b32 s6, s9, s8
	s_xor_b32 s6, s6, s7
	s_sub_i32 s6, s6, s7
	s_ashr_i32 s7, s6, 31
	s_waitcnt lgkmcnt(0)
	s_mul_hi_u32 s8, s4, s6
	s_mul_i32 s7, s4, s7
	s_mul_i32 s5, s5, s6
	s_add_i32 s7, s8, s7
	s_add_i32 s7, s7, s5
	s_mul_i32 s4, s4, s6
	s_add_u32 s34, s22, s4
	s_addc_u32 s35, s23, s7
.LBB68_2:
	s_load_dwordx4 s[8:11], s[0:1], 0x40
	s_load_dword s4, s[0:1], 0x50
	s_abs_i32 s23, s14
	v_add_u32_e32 v3, v3, v4
	v_mov_b32_e32 v77, 1.0
	s_waitcnt lgkmcnt(0)
	v_cmp_le_f32_e64 s[6:7], s9, 0
	s_and_b64 vcc, exec, s[6:7]
	s_cbranch_vccnz .LBB68_4
; %bb.3:
	v_mov_b32_e32 v4, s4
	v_sub_co_u32_e32 v4, vcc, s14, v4
	v_mov_b32_e32 v5, s11
	v_mov_b32_e32 v6, s10
	s_add_i32 s4, s14, 1
	v_lshlrev_b32_e32 v4, 1, v4
	v_cndmask_b32_e32 v5, v5, v6, vcc
	v_or_b32_e32 v4, 1, v4
	v_mov_b32_e32 v6, s4
	v_cndmask_b32_e32 v4, v4, v6, vcc
	v_cvt_f32_i32_e32 v4, v4
	v_cmp_neq_f32_e32 vcc, 1.0, v5
	s_mov_b32 s4, 0x3f2aaaab
	s_movk_i32 s6, 0x204
	v_cndmask_b32_e32 v20, 1.0, v4, vcc
	v_cmp_neq_f32_e32 vcc, 0, v20
	s_mov_b32 s5, 0x42b17218
	s_mov_b32 s7, 0x3fb8aa3b
	v_cndmask_b32_e32 v21, 1.0, v5, vcc
	v_frexp_mant_f32_e64 v4, |v21|
	v_cmp_gt_f32_e32 vcc, s4, v4
	s_mov_b32 s4, 0x3f317218
	s_brev_b32 s12, -2
	v_cndmask_b32_e64 v5, 1.0, 2.0, vcc
	v_mul_f32_e32 v4, v4, v5
	v_add_f32_e32 v7, 1.0, v4
	v_rcp_f32_e32 v12, v7
	v_add_f32_e32 v5, -1.0, v7
	v_sub_f32_e32 v9, v4, v5
	v_add_f32_e32 v5, -1.0, v4
	v_mul_f32_e32 v13, v5, v12
	v_mul_f32_e32 v6, v7, v13
	v_fma_f32 v8, v13, v7, -v6
	v_fmac_f32_e32 v8, v13, v9
	v_add_f32_e32 v4, v6, v8
	v_sub_f32_e32 v7, v5, v4
	v_pk_add_f32 v[10:11], v[4:5], v[6:7] neg_lo:[0,1] neg_hi:[0,1]
	v_mov_b32_e32 v9, v4
	v_pk_add_f32 v[4:5], v[10:11], v[8:9] neg_lo:[0,1] neg_hi:[0,1]
	v_mov_b32_e32 v8, 0x3e91f4c4
	v_add_f32_e32 v4, v4, v5
	v_add_f32_e32 v4, v7, v4
	v_mul_f32_e32 v5, v12, v4
	v_add_f32_e32 v4, v13, v5
	v_sub_f32_e32 v6, v4, v13
	v_sub_f32_e32 v14, v5, v6
	v_mul_f32_e32 v5, v4, v4
	v_fma_f32 v7, v4, v4, -v5
	v_add_f32_e32 v6, v14, v14
	v_fmac_f32_e32 v7, v4, v6
	v_add_f32_e32 v6, v5, v7
	v_fmac_f32_e32 v8, 0x3e76c4e1, v6
	v_fmaak_f32 v8, v6, v8, 0x3ecccdef
	v_sub_f32_e32 v5, v6, v5
	v_sub_f32_e32 v15, v7, v5
	v_mul_f32_e32 v5, v6, v8
	v_fma_f32 v7, v6, v8, -v5
	v_fmac_f32_e32 v7, v15, v8
	v_add_f32_e32 v8, v5, v7
	v_add_f32_e32 v9, 0x3f2aaaaa, v8
	v_sub_f32_e32 v5, v8, v5
	v_sub_f32_e32 v5, v7, v5
	v_add_f32_e32 v7, 0xbf2aaaaa, v9
	v_add_f32_e32 v5, 0x31739010, v5
	v_sub_f32_e32 v7, v8, v7
	v_pk_mul_f32 v[10:11], v[4:5], v[6:7]
	v_pk_add_f32 v[12:13], v[4:5], v[6:7]
	v_fma_f32 v8, v6, v4, -v10
	v_fmac_f32_e32 v8, v6, v14
	v_mov_b32_e32 v11, v13
	v_fmac_f32_e32 v8, v15, v4
	v_pk_add_f32 v[6:7], v[10:11], v[8:9]
	v_ldexp_f32 v16, v14, 1
	v_sub_f32_e32 v5, v6, v10
	v_sub_f32_e32 v5, v8, v5
	v_sub_f32_e32 v8, v9, v7
	v_add_f32_e32 v11, v13, v8
	v_pk_mul_f32 v[8:9], v[6:7], v[6:7] op_sel:[0,1] op_sel_hi:[1,0]
	v_cvt_f64_f32_e64 v[12:13], |v21|
	v_frexp_exp_i32_f64_e32 v9, v[12:13]
	v_subbrev_co_u32_e32 v9, vcc, 0, v9, vcc
	v_cvt_f32_i32_e32 v9, v9
	v_fma_f32 v10, v6, v7, -v8
	v_fmac_f32_e32 v10, v6, v11
	v_fmac_f32_e32 v10, v5, v7
	v_mul_f32_e32 v6, 0x3f317218, v9
	v_fma_f32 v5, v9, s4, -v6
	v_fmamk_f32 v12, v9, 0xb102e308, v5
	v_ldexp_f32 v13, v4, 1
	v_add_f32_e32 v7, v8, v10
	v_pk_add_f32 v[4:5], v[6:7], v[12:13]
	v_mov_b32_e32 v14, v7
	v_mov_b32_e32 v15, v5
	;; [unrolled: 1-line block ×3, first 2 shown]
	v_pk_add_f32 v[8:9], v[14:15], v[8:9] neg_lo:[0,1] neg_hi:[0,1]
	v_mov_b32_e32 v11, v7
	v_pk_add_f32 v[8:9], v[10:11], v[8:9] neg_lo:[0,1] neg_hi:[0,1]
	v_mov_b32_e32 v13, v4
	v_add_f32_e32 v7, v16, v8
	v_add_f32_e32 v7, v7, v9
	v_pk_add_f32 v[8:9], v[4:5], v[6:7] neg_lo:[0,1] neg_hi:[0,1]
	v_pk_add_f32 v[10:11], v[4:5], v[6:7]
	v_mov_b32_e32 v18, v5
	v_mov_b32_e32 v9, v11
	v_pk_add_f32 v[14:15], v[12:13], v[8:9] neg_lo:[0,1] neg_hi:[0,1]
	v_pk_add_f32 v[8:9], v[12:13], v[8:9]
	v_mov_b32_e32 v6, v7
	v_pk_add_f32 v[12:13], v[8:9], v[4:5] op_sel:[1,0] op_sel_hi:[0,1] neg_lo:[0,1] neg_hi:[0,1]
	v_pk_add_f32 v[16:17], v[10:11], v[12:13] op_sel_hi:[1,0] neg_lo:[0,1] neg_hi:[0,1]
	v_mov_b32_e32 v10, v11
	v_mov_b32_e32 v11, v9
	;; [unrolled: 1-line block ×3, first 2 shown]
	v_pk_add_f32 v[10:11], v[10:11], v[18:19] neg_lo:[0,1] neg_hi:[0,1]
	v_mov_b32_e32 v7, v4
	v_pk_add_f32 v[4:5], v[6:7], v[10:11] neg_lo:[0,1] neg_hi:[0,1]
	v_mov_b32_e32 v16, v14
	v_pk_add_f32 v[6:7], v[16:17], v[4:5]
	v_mov_b32_e32 v15, v9
	v_pk_add_f32 v[10:11], v[6:7], v[6:7] op_sel:[0,1] op_sel_hi:[1,0]
	s_mov_b32 s4, 0x7f800000
	v_pk_add_f32 v[8:9], v[8:9], v[10:11] op_sel:[1,0] op_sel_hi:[0,1]
	v_mov_b32_e32 v7, v8
	v_pk_add_f32 v[12:13], v[6:7], v[14:15] neg_lo:[0,1] neg_hi:[0,1]
	v_mov_b32_e32 v5, v10
	v_sub_f32_e32 v6, v6, v12
	v_pk_add_f32 v[4:5], v[4:5], v[12:13] neg_lo:[0,1] neg_hi:[0,1]
	v_sub_f32_e32 v6, v14, v6
	v_add_f32_e32 v4, v4, v6
	v_add_f32_e32 v4, v4, v5
	;; [unrolled: 1-line block ×3, first 2 shown]
	v_sub_f32_e32 v6, v5, v8
	v_sub_f32_e32 v4, v4, v6
	v_mul_f32_e32 v6, v20, v5
	v_fma_f32 v5, v20, v5, -v6
	v_fmac_f32_e32 v5, v20, v4
	v_add_f32_e32 v4, v6, v5
	v_cmp_class_f32_e64 vcc, v6, s6
	v_sub_f32_e32 v7, v4, v6
	v_sub_f32_e32 v5, v5, v7
	v_cndmask_b32_e32 v4, v4, v6, vcc
	v_mov_b32_e32 v6, 0x37000000
	v_cmp_eq_f32_e32 vcc, s5, v4
	v_cmp_class_f32_e64 s[10:11], v21, s6
	s_nop 0
	v_cndmask_b32_e32 v6, 0, v6, vcc
	v_sub_f32_e32 v7, v4, v6
	v_mul_f32_e32 v8, 0x3fb8aa3b, v7
	v_fma_f32 v9, v7, s7, -v8
	v_rndne_f32_e32 v10, v8
	v_fmamk_f32 v9, v7, 0x32a5705f, v9
	v_sub_f32_e32 v8, v8, v10
	v_add_f32_e32 v8, v8, v9
	v_exp_f32_e32 v8, v8
	v_cvt_i32_f32_e32 v9, v10
	v_cmp_neq_f32_e64 vcc, |v4|, s4
	s_mov_b32 s4, 0xc2ce8ed0
	s_nop 0
	v_cndmask_b32_e32 v4, 0, v5, vcc
	v_ldexp_f32 v5, v8, v9
	v_cmp_ngt_f32_e32 vcc, s4, v7
	v_add_f32_e32 v4, v6, v4
	v_mov_b32_e32 v6, 0x7f800000
	v_cndmask_b32_e32 v5, 0, v5, vcc
	v_cmp_nlt_f32_e32 vcc, s5, v7
	v_mov_b32_e32 v7, 0x7fc00000
	s_nop 0
	v_cndmask_b32_e32 v5, v6, v5, vcc
	v_fma_f32 v4, v5, v4, v5
	v_cmp_class_f32_e64 vcc, v5, s6
	v_cmp_gt_f32_e64 s[6:7], 0, v20
	s_nop 0
	v_cndmask_b32_e32 v4, v4, v5, vcc
	v_trunc_f32_e32 v5, v20
	v_cmp_eq_f32_e32 vcc, v5, v20
	v_mul_f32_e32 v5, 0.5, v20
	v_trunc_f32_e32 v8, v5
	v_cmp_neq_f32_e64 s[4:5], v8, v5
	s_and_b64 s[4:5], vcc, s[4:5]
	s_nop 0
	v_cndmask_b32_e64 v5, 1.0, v21, s[4:5]
	v_bfi_b32 v4, s12, v4, v5
	v_cndmask_b32_e32 v5, v7, v4, vcc
	v_cmp_gt_f32_e32 vcc, 0, v21
	s_nop 1
	v_cndmask_b32_e32 v4, v4, v5, vcc
	v_cmp_eq_f32_e32 vcc, 0, v21
	s_xor_b64 s[6:7], s[6:7], vcc
	v_cndmask_b32_e64 v5, v6, 0, s[6:7]
	v_cndmask_b32_e64 v6, 0, v21, s[4:5]
	v_bfi_b32 v5, s12, v5, v6
	s_or_b64 vcc, vcc, s[10:11]
	v_cndmask_b32_e32 v4, v4, v5, vcc
	v_cmp_o_f32_e32 vcc, v21, v21
	s_nop 1
	v_cndmask_b32_e32 v77, v7, v4, vcc
.LBB68_4:
	s_lshl_b32 s4, s2, 1
	v_bfe_u32 v74, v0, 10, 10
	v_and_b32_e32 v40, 0x3ff, v0
	s_movk_i32 s5, 0xe0
	v_mov_b32_e32 v0, 0x1040
	v_mul_hi_u32 v3, s23, v3
	v_cmp_gt_u32_e64 s[12:13], 28, v40
	v_mad_u32_u24 v78, v74, s5, v0
	v_lshlrev_b32_e32 v72, 3, v40
	v_add_u32_e32 v41, s4, v74
	s_and_saveexec_b64 s[4:5], s[12:13]
	s_cbranch_execz .LBB68_6
; %bb.5:
	s_load_dwordx4 s[44:47], s[0:1], 0x70
	v_mul_hi_u32 v0, s36, v41
	v_add_u32_e32 v0, v41, v0
	v_lshrrev_b32_e32 v0, s37, v0
	v_mul_lo_u32 v0, v0, s38
	s_waitcnt lgkmcnt(0)
	s_mul_i32 s6, s33, s46
	s_ashr_i32 s10, s6, 31
	s_mul_i32 s7, s14, s45
	s_add_u32 s6, s16, s6
	s_addc_u32 s10, s17, s10
	s_ashr_i32 s11, s7, 31
	s_add_u32 s6, s6, s7
	s_addc_u32 s7, s10, s11
	s_ashr_i32 s45, s44, 31
	s_lshr_b64 s[10:11], s[44:45], 2
	v_sub_u32_e32 v6, v41, v0
	v_mad_u64_u32 v[4:5], s[10:11], s10, v6, 0
	v_mov_b32_e32 v0, v5
	s_lshr_b32 s10, s45, 2
	v_mad_u64_u32 v[6:7], s[10:11], s10, v6, v[0:1]
	v_mov_b32_e32 v5, v6
	v_lshl_add_u64 v[4:5], v[4:5], 2, s[6:7]
	v_lshlrev_b32_e32 v6, 4, v40
	v_mov_b32_e32 v7, 0
	v_lshl_add_u64 v[4:5], v[4:5], 0, v[6:7]
	global_load_dwordx4 v[4:7], v[4:5], off
	v_add_u32_e32 v0, v78, v72
	s_waitcnt vmcnt(0)
	v_fma_mixlo_f16 v8, s8, v4, 0
	v_mov_b32_e32 v4, v7
	v_pk_mul_f32 v[4:5], s[8:9], v[4:5] op_sel_hi:[0,1]
	v_cvt_pk_f16_f32 v4, v4, v5
	v_fma_mixlo_f16 v6, s8, v6, 0
	v_and_b32_e32 v7, 0xffff, v8
	v_lshlrev_b32_e32 v5, 16, v4
	v_and_b32_e32 v4, 0xffff0000, v4
	v_and_b32_e32 v6, 0xffff, v6
	v_or_b32_e32 v4, v4, v7
	v_or3_b32 v5, v5, v6, 0
	v_or3_b32 v4, 0, 0, v4
	ds_write_b64 v0, v[4:5]
.LBB68_6:
	s_or_b64 exec, exec, s[4:5]
	s_ashr_i32 s15, s14, 31
	v_ashrrev_i32_e32 v0, 31, v2
	s_cmp_eq_u64 s[26:27], 0
	s_waitcnt lgkmcnt(0)
	; wave barrier
	s_cbranch_scc1 .LBB68_8
; %bb.7:
	s_load_dword s4, s[0:1], 0xd0
	s_mov_b32 s5, 0
	s_waitcnt lgkmcnt(0)
	s_mul_i32 s4, s4, s33
	s_add_i32 s4, s4, s2
	s_lshl_b64 s[4:5], s[4:5], 2
	s_add_u32 s4, s26, s4
	s_addc_u32 s5, s27, s5
	s_load_dword s40, s[4:5], 0x0
.LBB68_8:
	s_load_dwordx2 s[8:9], s[0:1], 0x8c
	s_nop 0
	s_load_dwordx4 s[4:7], s[0:1], 0x98
	s_load_dwordx2 s[10:11], s[0:1], 0xa8
	v_mul_lo_u32 v2, v3, v1
	v_sub_u32_e32 v2, s23, v2
	v_add_u32_e32 v4, 1, v3
	v_sub_u32_e32 v5, v2, v1
	v_cmp_ge_u32_e32 vcc, v2, v1
	s_waitcnt lgkmcnt(0)
	s_ashr_i32 s2, s6, 2
	s_ashr_i32 s6, s33, 31
	v_cndmask_b32_e32 v3, v3, v4, vcc
	v_cndmask_b32_e32 v2, v2, v5, vcc
	v_add_u32_e32 v4, 1, v3
	v_cmp_ge_u32_e32 vcc, v2, v1
	s_ashr_i32 s22, s8, 2
	s_mul_hi_u32 s8, s4, s33
	s_mul_i32 s16, s4, s6
	v_xor_b32_e32 v0, s15, v0
	v_cndmask_b32_e32 v1, v3, v4, vcc
	s_add_i32 s8, s8, s16
	s_mul_i32 s5, s5, s33
	v_xor_b32_e32 v1, v1, v0
	s_ashr_i32 s27, s43, 1
	s_add_i32 s8, s8, s5
	s_mul_i32 s4, s4, s33
	v_sub_u32_e32 v2, v1, v0
	s_add_u32 s4, s18, s4
	v_mul_lo_u32 v0, v2, s9
	s_addc_u32 s5, s19, s8
	v_ashrrev_i32_e32 v1, 31, v0
	v_lshl_add_u64 v[44:45], s[4:5], 0, v[0:1]
	s_mul_hi_u32 s4, s10, s33
	s_mul_i32 s5, s10, s6
	s_add_i32 s4, s4, s5
	s_mul_i32 s5, s11, s33
	s_add_i32 s5, s4, s5
	s_mul_i32 s4, s10, s33
	s_add_u32 s4, s20, s4
	v_mul_lo_u32 v0, v2, s7
	s_addc_u32 s5, s21, s5
	v_ashrrev_i32_e32 v1, 31, v0
	s_lshl_b32 s26, s3, 5
	s_sub_i32 s20, s40, 32
	v_lshl_add_u64 v[42:43], s[4:5], 0, v[0:1]
	s_cmp_ge_i32 s26, s20
	v_lshl_add_u32 v85, v74, 5, v40
	v_lshlrev_b32_e32 v81, 7, v40
	v_lshrrev_b32_e32 v84, 1, v40
	v_lshlrev_b32_e32 v75, 2, v40
	v_lshrrev_b32_e32 v83, 2, v40
	v_lshrrev_b32_e32 v76, 3, v40
	v_mbcnt_lo_u32_b32 v79, -1, 0
	s_cbranch_scc1 .LBB68_23
; %bb.9:
	v_mul_hi_u32 v6, s36, v41
	v_add_u32_e32 v6, v41, v6
	v_lshl_add_u32 v1, v74, 4, v84
	v_and_b32_e32 v0, 4, v75
	v_lshrrev_b32_e32 v6, s37, v6
	v_lshlrev_b32_e32 v2, 7, v1
	v_lshlrev_b32_e32 v3, 2, v0
	v_mul_lo_u32 v6, v6, s38
	v_or3_b32 v86, v2, v3, 64
	v_and_b32_e32 v2, 12, v75
	v_sub_u32_e32 v6, v41, v6
	v_lshl_add_u32 v4, v74, 3, v83
	v_lshlrev_b32_e32 v5, 2, v2
	v_mad_u64_u32 v[56:57], s[6:7], v6, s27, v[40:41]
	v_mov_b32_e32 v6, 0x1200
	v_lshl_or_b32 v87, v4, 7, v5
	v_mul_lo_u32 v50, s22, v4
	v_lshl_add_u32 v90, v74, 6, v6
	v_mul_u32_u24_e32 v6, 0xe0, v4
	v_mul_lo_u32 v58, s2, v4
	v_mul_u32_u24_e32 v4, 0xe0, v1
	v_lshl_add_u32 v7, v74, 2, v76
	v_or_b32_e32 v3, v4, v3
	v_and_b32_e32 v4, 28, v75
	v_mul_lo_u32 v46, s22, v1
	s_cmp_lg_u64 s[34:35], 0
	v_cmp_gt_u32_e64 s[6:7], 16, v1
	s_movk_i32 s8, 0xe0
	v_mul_lo_u32 v60, s2, v7
	v_mul_lo_u32 v64, s2, v1
	v_lshlrev_b32_e32 v1, 2, v4
	v_mov_b32_e32 v49, 0
	v_lshl_add_u32 v52, s22, 4, v50
	v_mul_lo_u32 v54, s22, v85
	s_cselect_b64 s[10:11], -1, 0
	v_lshl_add_u32 v62, s2, 3, v60
	s_movk_i32 s9, 0x80
	v_mad_u32_u24 v94, v7, s8, v1
	s_add_u32 s16, s0, 0xd0
	v_cmp_gt_u32_e64 s[4:5], 32, v85
	v_ashrrev_i32_e32 v47, 31, v46
	v_ashrrev_i32_e32 v51, 31, v50
	v_add_u32_e32 v88, 0x800, v87
	v_ashrrev_i32_e32 v53, 31, v52
	v_ashrrev_i32_e32 v55, 31, v54
	v_or_b32_e32 v89, 0x60, v81
	v_lshl_add_u32 v91, v40, 1, v90
	v_ashrrev_i32_e32 v59, 31, v58
	v_ashrrev_i32_e32 v61, 31, v60
	;; [unrolled: 1-line block ×3, first 2 shown]
	v_add_u32_e32 v92, 0xc0, v3
	v_ashrrev_i32_e32 v65, 31, v64
	v_add3_u32 v93, v6, v5, s9
	v_add_u32_e32 v95, 0x700, v94
	s_addc_u32 s17, s1, 0
	v_mov_b32_e32 v8, 0xfeffffff
	v_lshlrev_b32_e32 v66, 2, v0
	v_lshlrev_b32_e32 v48, 2, v2
	s_mov_b32 s21, 0x3fb8aa3b
	s_mov_b32 s23, 0xc2ce8ed0
	;; [unrolled: 1-line block ×4, first 2 shown]
	v_lshlrev_b32_e32 v68, 2, v4
	v_mbcnt_hi_u32_b32 v96, -1, v79
	v_mov_b32_e32 v97, 0x7f800000
	v_mov_b32_e32 v73, v49
	;; [unrolled: 1-line block ×4, first 2 shown]
.LBB68_10:                              ; =>This Inner Loop Header: Depth=1
	s_mul_hi_i32 s9, s26, s22
	s_mul_i32 s8, s26, s22
	s_lshl_b64 s[8:9], s[8:9], 2
	v_lshl_add_u64 v[6:7], v[44:45], 0, s[8:9]
	v_lshl_add_u64 v[0:1], v[54:55], 2, v[6:7]
	s_and_saveexec_b64 s[8:9], s[4:5]
	s_cbranch_execz .LBB68_12
; %bb.11:                               ;   in Loop: Header=BB68_10 Depth=1
	global_load_dwordx4 v[2:5], v[0:1], off offset:96
	s_waitcnt vmcnt(0)
	ds_write_b128 v89, v[2:5]
.LBB68_12:                              ;   in Loop: Header=BB68_10 Depth=1
	s_or_b64 exec, exec, s[8:9]
	v_lshl_add_u64 v[2:3], v[46:47], 2, v[6:7]
	v_mov_b32_e32 v67, v49
	v_lshl_add_u64 v[2:3], v[2:3], 0, v[66:67]
	v_lshl_add_u64 v[4:5], v[50:51], 2, v[6:7]
	v_lshl_add_u64 v[4:5], v[4:5], 0, v[48:49]
	global_load_dwordx4 v[10:13], v[2:3], off offset:64
	global_load_dwordx4 v[14:17], v[4:5], off
	v_lshl_add_u64 v[6:7], v[52:53], 2, v[6:7]
	v_lshl_add_u64 v[6:7], v[6:7], 0, v[48:49]
	global_load_dwordx4 v[18:21], v[6:7], off
	v_mov_b32_e32 v9, v49
	s_waitcnt vmcnt(2)
	ds_write_b128 v86, v[10:13]
	s_waitcnt vmcnt(1)
	ds_write_b128 v87, v[14:17]
	;; [unrolled: 2-line block ×3, first 2 shown]
	s_waitcnt lgkmcnt(0)
	; wave barrier
	ds_read_b128 v[10:13], v81
	ds_read_b128 v[14:17], v78
	s_waitcnt lgkmcnt(0)
	;;#ASMSTART
	v_dot2_f32_f16 v9, v10, v14, v9
	;;#ASMEND
	s_nop 0
	;;#ASMSTART
	v_dot2_f32_f16 v9, v11, v15, v9
	;;#ASMEND
	s_nop 0
	;;#ASMSTART
	v_dot2_f32_f16 v9, v12, v16, v9
	;;#ASMEND
	s_nop 0
	;;#ASMSTART
	v_dot2_f32_f16 v9, v13, v17, v9
	;;#ASMEND
	ds_read_b128 v[10:13], v81 offset:16
	ds_read_b128 v[14:17], v78 offset:16
	s_waitcnt lgkmcnt(0)
	;;#ASMSTART
	v_dot2_f32_f16 v9, v10, v14, v9
	;;#ASMEND
	s_nop 0
	;;#ASMSTART
	v_dot2_f32_f16 v9, v11, v15, v9
	;;#ASMEND
	s_nop 0
	;;#ASMSTART
	v_dot2_f32_f16 v9, v12, v16, v9
	;;#ASMEND
	s_nop 0
	;;#ASMSTART
	v_dot2_f32_f16 v9, v13, v17, v9
	;;#ASMEND
	ds_read_b128 v[10:13], v81 offset:32
	ds_read_b128 v[14:17], v78 offset:32
	;; [unrolled: 18-line block ×6, first 2 shown]
	s_waitcnt lgkmcnt(0)
	;;#ASMSTART
	v_dot2_f32_f16 v9, v10, v14, v9
	;;#ASMEND
	s_nop 0
	;;#ASMSTART
	v_dot2_f32_f16 v9, v11, v15, v9
	;;#ASMEND
	s_nop 0
	;;#ASMSTART
	v_dot2_f32_f16 v9, v12, v16, v9
	;;#ASMEND
	s_nop 0
	;;#ASMSTART
	v_dot2_f32_f16 v9, v13, v17, v9
	;;#ASMEND
	; wave barrier
	s_and_saveexec_b64 s[8:9], s[4:5]
	s_cbranch_execz .LBB68_14
; %bb.13:                               ;   in Loop: Header=BB68_10 Depth=1
	global_load_dwordx4 v[10:13], v[0:1], off offset:208
	s_waitcnt vmcnt(0)
	ds_write_b128 v89, v[10:13]
.LBB68_14:                              ;   in Loop: Header=BB68_10 Depth=1
	s_or_b64 exec, exec, s[8:9]
	global_load_dwordx4 v[10:13], v[2:3], off offset:176
	global_load_dwordx4 v[14:17], v[4:5], off offset:112
	;; [unrolled: 1-line block ×3, first 2 shown]
	s_andn2_b64 vcc, exec, s[10:11]
	s_waitcnt vmcnt(2)
	ds_write_b128 v86, v[10:13]
	s_waitcnt vmcnt(1)
	ds_write_b128 v87, v[14:17]
	;; [unrolled: 2-line block ×3, first 2 shown]
	s_waitcnt lgkmcnt(0)
	; wave barrier
	ds_read_b128 v[0:3], v81
	ds_read_b128 v[4:7], v78 offset:112
	s_waitcnt lgkmcnt(0)
	;;#ASMSTART
	v_dot2_f32_f16 v9, v0, v4, v9
	;;#ASMEND
	s_nop 0
	;;#ASMSTART
	v_dot2_f32_f16 v9, v1, v5, v9
	;;#ASMEND
	s_nop 0
	;;#ASMSTART
	v_dot2_f32_f16 v9, v2, v6, v9
	;;#ASMEND
	s_nop 0
	;;#ASMSTART
	v_dot2_f32_f16 v9, v3, v7, v9
	;;#ASMEND
	ds_read_b128 v[0:3], v81 offset:16
	ds_read_b128 v[4:7], v78 offset:128
	s_waitcnt lgkmcnt(0)
	;;#ASMSTART
	v_dot2_f32_f16 v9, v0, v4, v9
	;;#ASMEND
	s_nop 0
	;;#ASMSTART
	v_dot2_f32_f16 v9, v1, v5, v9
	;;#ASMEND
	s_nop 0
	;;#ASMSTART
	v_dot2_f32_f16 v9, v2, v6, v9
	;;#ASMEND
	s_nop 0
	;;#ASMSTART
	v_dot2_f32_f16 v9, v3, v7, v9
	;;#ASMEND
	ds_read_b128 v[0:3], v81 offset:32
	;; [unrolled: 18-line block ×6, first 2 shown]
	ds_read_b128 v[4:7], v78 offset:208
	s_waitcnt lgkmcnt(0)
	;;#ASMSTART
	v_dot2_f32_f16 v9, v0, v4, v9
	;;#ASMEND
	s_nop 0
	;;#ASMSTART
	v_dot2_f32_f16 v9, v1, v5, v9
	;;#ASMEND
	s_nop 0
	;; [unrolled: 4-line block ×3, first 2 shown]
	;;#ASMSTART
	v_dot2_f32_f16 v9, v3, v7, v9
	;;#ASMEND
	s_cbranch_vccnz .LBB68_16
; %bb.15:                               ;   in Loop: Header=BB68_10 Depth=1
	v_add_u32_e32 v0, s26, v56
	v_ashrrev_i32_e32 v1, 31, v0
	v_lshl_add_u64 v[0:1], v[0:1], 1, s[34:35]
	global_load_ushort v0, v[0:1], off
	s_waitcnt vmcnt(0)
	v_cvt_f32_f16_e32 v0, v0
	v_mul_f32_e32 v0, v77, v0
	s_branch .LBB68_17
.LBB68_16:                              ;   in Loop: Header=BB68_10 Depth=1
	v_mov_b32_e32 v0, 0
.LBB68_17:                              ;   in Loop: Header=BB68_10 Depth=1
	v_and_b32_e32 v1, 0x60, v96
	v_add_u32_e32 v1, 32, v1
	v_xor_b32_e32 v2, 16, v96
	v_cmp_lt_i32_e32 vcc, v2, v1
	v_add_f32_e32 v0, v9, v0
	v_add_f32_e32 v3, 0x40051340, v0
	v_cndmask_b32_e32 v2, v96, v2, vcc
	v_max_f32_e32 v4, v8, v8
	v_lshlrev_b32_e32 v2, 2, v2
	v_max_f32_e32 v3, v4, v3
	ds_bpermute_b32 v2, v2, v3
	v_xor_b32_e32 v4, 8, v96
	v_cmp_lt_i32_e32 vcc, v4, v1
	s_mul_hi_i32 s9, s26, s2
	s_mul_i32 s8, s26, s2
	v_cndmask_b32_e32 v4, v96, v4, vcc
	s_waitcnt lgkmcnt(0)
	v_max_f32_e32 v2, v2, v2
	v_lshlrev_b32_e32 v4, 2, v4
	v_max_f32_e32 v2, v3, v2
	ds_bpermute_b32 v3, v4, v2
	v_xor_b32_e32 v4, 4, v96
	v_cmp_lt_i32_e32 vcc, v4, v1
	s_lshl_b64 s[8:9], s[8:9], 2
	s_waitcnt lgkmcnt(0)
	v_cndmask_b32_e32 v4, v96, v4, vcc
	v_max_f32_e32 v3, v3, v3
	v_lshlrev_b32_e32 v4, 2, v4
	v_max_f32_e32 v2, v2, v3
	ds_bpermute_b32 v3, v4, v2
	v_xor_b32_e32 v4, 2, v96
	v_cmp_lt_i32_e32 vcc, v4, v1
	; wave barrier
	s_waitcnt lgkmcnt(0)
	v_max_f32_e32 v3, v3, v3
	v_cndmask_b32_e32 v4, v96, v4, vcc
	v_lshlrev_b32_e32 v4, 2, v4
	v_max_f32_e32 v2, v2, v3
	ds_bpermute_b32 v3, v4, v2
	v_xor_b32_e32 v4, 1, v96
	v_cmp_lt_i32_e32 vcc, v4, v1
	s_waitcnt lgkmcnt(0)
	v_max_f32_e32 v3, v3, v3
	v_cndmask_b32_e32 v1, v96, v4, vcc
	v_lshlrev_b32_e32 v1, 2, v1
	v_max_f32_e32 v2, v2, v3
	ds_bpermute_b32 v1, v1, v2
	s_waitcnt lgkmcnt(0)
	v_max_f32_e32 v1, v1, v1
	v_max_f32_e32 v82, v2, v1
	v_sub_f32_e32 v0, v0, v82
	v_mul_f32_e32 v1, 0x3fb8aa3b, v0
	v_fma_f32 v2, v0, s21, -v1
	v_rndne_f32_e32 v3, v1
	v_fmac_f32_e32 v2, 0x32a5705f, v0
	v_sub_f32_e32 v1, v1, v3
	v_add_f32_e32 v1, v1, v2
	v_exp_f32_e32 v1, v1
	v_cvt_i32_f32_e32 v2, v3
	v_cmp_ngt_f32_e32 vcc, s23, v0
	v_ldexp_f32 v1, v1, v2
	s_nop 0
	v_cndmask_b32_e32 v1, 0, v1, vcc
	v_cmp_nlt_f32_e32 vcc, s41, v0
	s_nop 1
	v_cndmask_b32_e32 v80, v97, v1, vcc
	v_cvt_f16_f32_e32 v0, v80
	ds_write_b16 v91, v0
	v_lshl_add_u64 v[0:1], v[42:43], 0, s[8:9]
	s_and_saveexec_b64 s[8:9], s[6:7]
	s_cbranch_execz .LBB68_19
; %bb.18:                               ;   in Loop: Header=BB68_10 Depth=1
	v_lshl_add_u64 v[2:3], v[64:65], 2, v[0:1]
	v_mov_b32_e32 v67, v49
	v_lshl_add_u64 v[2:3], v[2:3], 0, v[66:67]
	global_load_dwordx4 v[2:5], v[2:3], off offset:192
	s_waitcnt vmcnt(0)
	ds_write_b128 v92, v[2:5]
.LBB68_19:                              ;   in Loop: Header=BB68_10 Depth=1
	s_or_b64 exec, exec, s[8:9]
	v_lshl_add_u64 v[2:3], v[58:59], 2, v[0:1]
	v_lshl_add_u64 v[6:7], v[2:3], 0, v[48:49]
	;; [unrolled: 1-line block ×3, first 2 shown]
	v_mov_b32_e32 v69, v49
	v_lshl_add_u64 v[14:15], v[2:3], 0, v[68:69]
	global_load_dwordx4 v[2:5], v[6:7], off offset:128
	global_load_dwordx4 v[10:13], v[14:15], off
	v_lshl_add_u64 v[0:1], v[62:63], 2, v[0:1]
	v_lshl_add_u64 v[0:1], v[0:1], 0, v[68:69]
	global_load_dwordx4 v[14:17], v[0:1], off
	v_sub_f32_e32 v100, v8, v82
	v_add_u32_e32 v99, 0x800, v72
	s_or_b32 s18, s26, 16
	s_mul_hi_i32 s19, s18, s2
	s_mul_i32 s18, s18, s2
	s_lshl_b64 s[18:19], s[18:19], 2
	v_cmp_ngt_f32_e32 vcc, s23, v100
	v_cmp_nlt_f32_e64 s[8:9], s41, v100
	v_lshl_add_u64 v[70:71], v[42:43], 0, s[18:19]
	s_waitcnt vmcnt(2)
	ds_write_b128 v93, v[2:5]
	s_waitcnt vmcnt(1)
	ds_write_b128 v94, v[10:13]
	;; [unrolled: 2-line block ×3, first 2 shown]
	s_waitcnt lgkmcnt(0)
	; wave barrier
	ds_read2_b64 v[28:31], v72 offset1:28
	ds_read_b128 v[36:39], v90
	ds_read_b128 v[32:35], v90 offset:16
	ds_read2_b64 v[24:27], v72 offset0:56 offset1:84
	ds_read2_b64 v[20:23], v72 offset0:112 offset1:140
	ds_read2_b64 v[16:19], v72 offset0:168 offset1:196
	ds_read2_b64 v[12:15], v72 offset0:224 offset1:252
	ds_read2_b64 v[8:11], v99 offset0:24 offset1:52
	ds_read2_b64 v[4:7], v99 offset0:80 offset1:108
	ds_read2_b64 v[0:3], v99 offset0:136 offset1:164
	s_waitcnt lgkmcnt(0)
	; wave barrier
	s_and_saveexec_b64 s[18:19], s[6:7]
	s_cbranch_execz .LBB68_21
; %bb.20:                               ;   in Loop: Header=BB68_10 Depth=1
	v_lshl_add_u64 v[102:103], v[64:65], 2, v[70:71]
	v_mov_b32_e32 v67, v49
	v_lshl_add_u64 v[102:103], v[102:103], 0, v[66:67]
	global_load_dwordx4 v[102:105], v[102:103], off offset:192
	s_waitcnt vmcnt(0)
	ds_write_b128 v92, v[102:105]
.LBB68_21:                              ;   in Loop: Header=BB68_10 Depth=1
	s_or_b64 exec, exec, s[18:19]
	v_lshl_add_u64 v[102:103], v[58:59], 2, v[70:71]
	v_lshl_add_u64 v[110:111], v[102:103], 0, v[48:49]
	;; [unrolled: 1-line block ×4, first 2 shown]
	global_load_dwordx4 v[102:105], v[110:111], off offset:128
	global_load_dwordx4 v[106:109], v[112:113], off
	v_lshl_add_u64 v[70:71], v[62:63], 2, v[70:71]
	v_lshl_add_u64 v[70:71], v[70:71], 0, v[68:69]
	global_load_dwordx4 v[110:113], v[70:71], off
	v_mul_f32_e32 v67, 0x3fb8aa3b, v100
	v_fma_f32 v117, v100, s21, -v67
	v_rndne_f32_e32 v118, v67
	v_fmac_f32_e32 v117, 0x32a5705f, v100
	v_sub_f32_e32 v67, v67, v118
	v_add_f32_e32 v67, v67, v117
	v_cvt_i32_f32_e32 v100, v118
	v_exp_f32_e32 v67, v67
	v_mul_u32_u24_sdwa v69, v36, s42 dst_sel:DWORD dst_unused:UNUSED_PAD src0_sel:WORD_0 src1_sel:DWORD
	v_pk_mul_f16 v28, v28, v69
	v_pk_mul_f16 v29, v29, v69
	v_ldexp_f32 v67, v67, v100
	v_cndmask_b32_e32 v67, 0, v67, vcc
	v_cndmask_b32_e64 v67, v97, v67, s[8:9]
	v_cvt_f16_f32_e32 v100, v67
	v_fmac_f32_e32 v80, v98, v67
	v_mul_u32_u24_sdwa v36, v36, s42 dst_sel:DWORD dst_unused:UNUSED_PAD src0_sel:WORD_1 src1_sel:DWORD
	v_mul_u32_u24_sdwa v70, v37, s42 dst_sel:DWORD dst_unused:UNUSED_PAD src0_sel:WORD_0 src1_sel:DWORD
	v_mul_u32_u24_e32 v67, 0x10001, v100
	v_pk_fma_f16 v28, v73, v67, v28
	v_pk_fma_f16 v29, v57, v67, v29
	;; [unrolled: 1-line block ×4, first 2 shown]
	v_mul_u32_u24_sdwa v37, v37, s42 dst_sel:DWORD dst_unused:UNUSED_PAD src0_sel:WORD_1 src1_sel:DWORD
	v_pk_fma_f16 v24, v24, v70, v28
	v_pk_fma_f16 v25, v25, v70, v29
	v_mul_u32_u24_sdwa v71, v38, s42 dst_sel:DWORD dst_unused:UNUSED_PAD src0_sel:WORD_0 src1_sel:DWORD
	v_pk_fma_f16 v24, v26, v37, v24
	v_pk_fma_f16 v25, v27, v37, v25
	v_mul_u32_u24_sdwa v38, v38, s42 dst_sel:DWORD dst_unused:UNUSED_PAD src0_sel:WORD_1 src1_sel:DWORD
	v_pk_fma_f16 v20, v20, v71, v24
	v_pk_fma_f16 v21, v21, v71, v25
	v_mul_u32_u24_sdwa v101, v39, s42 dst_sel:DWORD dst_unused:UNUSED_PAD src0_sel:WORD_0 src1_sel:DWORD
	v_pk_fma_f16 v20, v22, v38, v20
	v_pk_fma_f16 v21, v23, v38, v21
	;; [unrolled: 6-line block ×6, first 2 shown]
	v_pk_fma_f16 v0, v0, v117, v4
	v_pk_fma_f16 v1, v1, v117, v5
	v_mul_u32_u24_sdwa v35, v35, s42 dst_sel:DWORD dst_unused:UNUSED_PAD src0_sel:WORD_1 src1_sel:DWORD
	v_pk_fma_f16 v16, v2, v35, v0
	v_pk_fma_f16 v17, v3, v35, v1
	s_waitcnt vmcnt(2)
	ds_write_b128 v93, v[102:105]
	s_waitcnt vmcnt(1)
	ds_write_b128 v94, v[106:109]
	s_waitcnt vmcnt(0)
	ds_write_b128 v95, v[110:113]
	s_waitcnt lgkmcnt(0)
	; wave barrier
	ds_read_b128 v[4:7], v90 offset:32
	ds_read2_b64 v[0:3], v72 offset1:28
	ds_read_b128 v[8:11], v90 offset:48
	ds_read2_b64 v[12:15], v72 offset0:56 offset1:84
	s_waitcnt lgkmcnt(3)
	v_mul_u32_u24_sdwa v18, v4, s42 dst_sel:DWORD dst_unused:UNUSED_PAD src0_sel:WORD_0 src1_sel:DWORD
	v_mul_u32_u24_sdwa v4, v4, s42 dst_sel:DWORD dst_unused:UNUSED_PAD src0_sel:WORD_1 src1_sel:DWORD
	s_waitcnt lgkmcnt(2)
	v_pk_fma_f16 v0, v0, v18, v16
	v_pk_fma_f16 v1, v1, v18, v17
	v_mul_u32_u24_sdwa v19, v5, s42 dst_sel:DWORD dst_unused:UNUSED_PAD src0_sel:WORD_0 src1_sel:DWORD
	v_pk_fma_f16 v0, v2, v4, v0
	v_pk_fma_f16 v1, v3, v4, v1
	s_waitcnt lgkmcnt(0)
	v_pk_fma_f16 v4, v12, v19, v0
	v_pk_fma_f16 v12, v13, v19, v1
	ds_read2_b64 v[0:3], v72 offset0:112 offset1:140
	v_mul_u32_u24_sdwa v5, v5, s42 dst_sel:DWORD dst_unused:UNUSED_PAD src0_sel:WORD_1 src1_sel:DWORD
	v_pk_fma_f16 v4, v14, v5, v4
	v_pk_fma_f16 v5, v15, v5, v12
	v_mul_u32_u24_sdwa v12, v6, s42 dst_sel:DWORD dst_unused:UNUSED_PAD src0_sel:WORD_0 src1_sel:DWORD
	s_waitcnt lgkmcnt(0)
	v_pk_fma_f16 v0, v0, v12, v4
	v_pk_fma_f16 v1, v1, v12, v5
	ds_read2_b64 v[12:15], v72 offset0:168 offset1:196
	v_mul_u32_u24_sdwa v4, v6, s42 dst_sel:DWORD dst_unused:UNUSED_PAD src0_sel:WORD_1 src1_sel:DWORD
	v_pk_fma_f16 v0, v2, v4, v0
	v_pk_fma_f16 v1, v3, v4, v1
	v_mul_u32_u24_sdwa v2, v7, s42 dst_sel:DWORD dst_unused:UNUSED_PAD src0_sel:WORD_0 src1_sel:DWORD
	;; [unrolled: 8-line block ×5, first 2 shown]
	s_waitcnt lgkmcnt(0)
	v_pk_fma_f16 v0, v0, v6, v4
	v_pk_fma_f16 v1, v1, v6, v5
	v_mul_u32_u24_sdwa v4, v10, s42 dst_sel:DWORD dst_unused:UNUSED_PAD src0_sel:WORD_1 src1_sel:DWORD
	v_pk_fma_f16 v5, v2, v4, v0
	v_pk_fma_f16 v4, v3, v4, v1
	ds_read2_b64 v[0:3], v99 offset0:136 offset1:164
	s_waitcnt lgkmcnt(0)
	; wave barrier
	s_load_dword s8, s[16:17], 0x4
	v_mul_u32_u24_sdwa v6, v11, s42 dst_sel:DWORD dst_unused:UNUSED_PAD src0_sel:WORD_0 src1_sel:DWORD
	v_pk_fma_f16 v0, v0, v6, v5
	v_pk_fma_f16 v1, v1, v6, v4
	v_mul_u32_u24_sdwa v4, v11, s42 dst_sel:DWORD dst_unused:UNUSED_PAD src0_sel:WORD_1 src1_sel:DWORD
	s_waitcnt lgkmcnt(0)
	s_lshl_b32 s8, s8, 5
	s_add_i32 s26, s8, s26
	v_pk_fma_f16 v73, v2, v4, v0
	s_cmp_lt_i32 s26, s20
	v_pk_fma_f16 v57, v3, v4, v1
	s_cbranch_scc0 .LBB68_24
; %bb.22:                               ;   in Loop: Header=BB68_10 Depth=1
	v_mov_b32_e32 v8, v82
	v_mov_b32_e32 v98, v80
	s_branch .LBB68_10
.LBB68_23:
	v_mov_b32_e32 v57, 0
	v_mov_b32_e32 v80, 0
	;; [unrolled: 1-line block ×4, first 2 shown]
.LBB68_24:
	s_cmp_gt_i32 s40, s26
	s_cbranch_scc1 .LBB68_27
; %bb.25:
	v_mbcnt_hi_u32_b32 v53, -1, v79
	v_and_b32_e32 v0, 0x60, v53
	v_add_u32_e32 v54, 32, v0
	v_xor_b32_e32 v55, 16, v53
	v_xor_b32_e32 v56, 8, v53
	;; [unrolled: 1-line block ×5, first 2 shown]
	s_cbranch_execz .LBB68_28
; %bb.26:
	v_mov_b32_e32 v34, v82
	s_branch .LBB68_42
.LBB68_27:
                                        ; implicit-def: $vgpr53
                                        ; implicit-def: $vgpr54
                                        ; implicit-def: $vgpr55
                                        ; implicit-def: $vgpr56
                                        ; implicit-def: $vgpr58
                                        ; implicit-def: $vgpr59
                                        ; implicit-def: $vgpr60
.LBB68_28:
	s_mul_hi_i32 s5, s26, s22
	s_mul_i32 s4, s26, s22
	s_lshl_b64 s[4:5], s[4:5], 2
	v_mul_lo_u32 v0, s22, v85
	s_sub_i32 s40, s40, s26
	v_lshl_add_u64 v[6:7], v[44:45], 0, s[4:5]
	v_ashrrev_i32_e32 v1, 31, v0
	s_mov_b64 s[18:19], src_private_base
	v_cmp_gt_u32_e64 s[8:9], 32, v85
	v_or_b32_e32 v10, 0x60, v81
	v_cmp_gt_i32_e64 s[6:7], s40, v85
	v_lshl_add_u64 v[0:1], v[0:1], 2, v[6:7]
	s_and_saveexec_b64 s[4:5], s[8:9]
	s_cbranch_execz .LBB68_30
; %bb.29:
	v_mov_b32_e32 v2, 0
	v_mov_b32_e32 v3, v2
	;; [unrolled: 1-line block ×3, first 2 shown]
	s_mov_b64 s[10:11], 0x60
	scratch_store_dword off, v2, off
	scratch_store_dwordx3 off, v[2:4], off offset:4
	s_nop 1
	v_lshl_add_u64 v[2:3], v[0:1], 0, s[10:11]
	v_mov_b32_e32 v4, s19
	v_cndmask_b32_e64 v3, v4, v3, s[6:7]
	v_mov_b32_e32 v4, 0
	v_cndmask_b32_e64 v2, v4, v2, s[6:7]
	flat_load_dwordx4 v[2:5], v[2:3]
	s_waitcnt vmcnt(0) lgkmcnt(0)
	ds_write_b128 v10, v[2:5]
.LBB68_30:
	s_or_b64 exec, exec, s[4:5]
	v_lshl_add_u32 v52, v74, 4, v84
	v_mul_lo_u32 v2, s22, v52
	v_and_b32_e32 v8, 4, v75
	v_ashrrev_i32_e32 v3, 31, v2
	s_mov_b32 s16, 0
	v_lshlrev_b32_e32 v36, 2, v8
	v_mov_b32_e32 v37, 0
	s_mov_b32 s18, s16
	v_lshl_add_u64 v[2:3], v[2:3], 2, v[6:7]
	s_mov_b64 s[20:21], src_private_base
	s_mov_b32 s17, s16
	v_mov_b32_e32 v22, s18
	v_lshl_add_u64 v[2:3], v[2:3], 0, v[36:37]
	v_mov_b32_e32 v21, s17
	v_mov_b32_e32 v20, s16
	v_lshl_add_u64 v[4:5], v[2:3], 0, 64
	v_mov_b32_e32 v9, s21
	v_cmp_gt_i32_e64 s[4:5], s40, v52
	v_mov_b32_e32 v11, 0
	scratch_store_dword off, v37, off
	scratch_store_dwordx3 off, v[20:22], off offset:4
	v_cndmask_b32_e64 v5, v9, v5, s[4:5]
	v_cndmask_b32_e64 v4, v11, v4, s[4:5]
	flat_load_dwordx4 v[12:15], v[4:5]
	v_lshl_add_u32 v35, v74, 3, v83
	v_mul_lo_u32 v18, s22, v35
	v_and_b32_e32 v4, 12, v75
	v_ashrrev_i32_e32 v19, 31, v18
	v_lshlrev_b32_e32 v32, 2, v4
	v_mov_b32_e32 v33, v37
	v_lshl_add_u64 v[4:5], v[18:19], 2, v[6:7]
	v_lshl_or_b32 v24, v52, 7, v36
	v_lshl_add_u64 v[4:5], v[4:5], 0, v[32:33]
	v_cmp_gt_i32_e32 vcc, s40, v35
	scratch_store_dword off, v37, off
	scratch_store_dwordx3 off, v[20:22], off offset:4
	v_cndmask_b32_e32 v17, v9, v5, vcc
	v_cndmask_b32_e32 v16, v11, v4, vcc
	v_lshl_add_u32 v18, s22, 4, v18
	v_ashrrev_i32_e32 v19, 31, v18
	v_lshl_add_u64 v[6:7], v[18:19], 2, v[6:7]
	v_lshl_add_u64 v[6:7], v[6:7], 0, v[32:33]
	s_waitcnt vmcnt(0) lgkmcnt(0)
	ds_write_b128 v24, v[12:15] offset:64
	flat_load_dwordx4 v[14:17], v[16:17]
	v_add_u32_e32 v13, 16, v35
	v_lshl_or_b32 v12, v35, 7, v32
	v_cmp_gt_i32_e64 s[10:11], s40, v13
	scratch_store_dword off, v37, off
	scratch_store_dwordx3 off, v[20:22], off offset:4
	v_cndmask_b32_e64 v19, v9, v7, s[10:11]
	v_cndmask_b32_e64 v18, v11, v6, s[10:11]
	v_lshl_or_b32 v13, v13, 7, v32
	v_mov_b32_e32 v9, v37
	s_waitcnt vmcnt(0) lgkmcnt(0)
	ds_write_b128 v12, v[14:17]
	flat_load_dwordx4 v[14:17], v[18:19]
	s_waitcnt vmcnt(0) lgkmcnt(0)
	ds_write_b128 v13, v[14:17]
	s_waitcnt lgkmcnt(0)
	; wave barrier
	ds_read_b128 v[14:17], v81
	ds_read_b128 v[18:21], v78
	s_waitcnt lgkmcnt(0)
	;;#ASMSTART
	v_dot2_f32_f16 v9, v14, v18, v9
	;;#ASMEND
	s_nop 0
	;;#ASMSTART
	v_dot2_f32_f16 v9, v15, v19, v9
	;;#ASMEND
	s_nop 0
	;;#ASMSTART
	v_dot2_f32_f16 v9, v16, v20, v9
	;;#ASMEND
	s_nop 0
	;;#ASMSTART
	v_dot2_f32_f16 v9, v17, v21, v9
	;;#ASMEND
	ds_read_b128 v[14:17], v81 offset:16
	ds_read_b128 v[18:21], v78 offset:16
	s_waitcnt lgkmcnt(0)
	;;#ASMSTART
	v_dot2_f32_f16 v9, v14, v18, v9
	;;#ASMEND
	s_nop 0
	;;#ASMSTART
	v_dot2_f32_f16 v9, v15, v19, v9
	;;#ASMEND
	s_nop 0
	;;#ASMSTART
	v_dot2_f32_f16 v9, v16, v20, v9
	;;#ASMEND
	s_nop 0
	;;#ASMSTART
	v_dot2_f32_f16 v9, v17, v21, v9
	;;#ASMEND
	ds_read_b128 v[14:17], v81 offset:32
	ds_read_b128 v[18:21], v78 offset:32
	;; [unrolled: 18-line block ×5, first 2 shown]
	s_waitcnt lgkmcnt(0)
	;;#ASMSTART
	v_dot2_f32_f16 v9, v14, v18, v9
	;;#ASMEND
	s_nop 0
	;;#ASMSTART
	v_dot2_f32_f16 v9, v15, v19, v9
	;;#ASMEND
	v_or_b32_e32 v14, 64, v24
	;;#ASMSTART
	v_dot2_f32_f16 v9, v16, v20, v9
	;;#ASMEND
	s_nop 0
	;;#ASMSTART
	v_dot2_f32_f16 v9, v17, v21, v9
	;;#ASMEND
	ds_read_b128 v[16:19], v81 offset:96
	ds_read_b128 v[20:23], v78 offset:96
	s_waitcnt lgkmcnt(0)
	;;#ASMSTART
	v_dot2_f32_f16 v9, v16, v20, v9
	;;#ASMEND
	s_nop 0
	;;#ASMSTART
	v_dot2_f32_f16 v9, v17, v21, v9
	;;#ASMEND
	s_nop 0
	;; [unrolled: 4-line block ×3, first 2 shown]
	;;#ASMSTART
	v_dot2_f32_f16 v9, v19, v23, v9
	;;#ASMEND
	; wave barrier
	s_and_saveexec_b64 s[22:23], s[8:9]
	s_cbranch_execz .LBB68_32
; %bb.31:
	s_mov_b64 s[8:9], 0xd0
	v_mov_b32_e32 v16, v37
	v_mov_b32_e32 v17, v37
	;; [unrolled: 1-line block ×3, first 2 shown]
	v_lshl_add_u64 v[0:1], v[0:1], 0, s[8:9]
	v_mov_b32_e32 v15, s19
	scratch_store_dword off, v37, off
	scratch_store_dwordx3 off, v[16:18], off offset:4
	v_cndmask_b32_e64 v1, v15, v1, s[6:7]
	v_cndmask_b32_e64 v0, v11, v0, s[6:7]
	flat_load_dwordx4 v[16:19], v[0:1]
	s_waitcnt vmcnt(0) lgkmcnt(0)
	ds_write_b128 v10, v[16:19]
.LBB68_32:
	s_or_b64 exec, exec, s[22:23]
	v_mov_b32_e32 v16, s16
	s_mov_b64 s[6:7], 0xb0
	v_mov_b32_e32 v17, s17
	v_mov_b32_e32 v18, s18
	v_lshl_add_u64 v[0:1], v[2:3], 0, s[6:7]
	v_mov_b32_e32 v2, s21
	scratch_store_dword off, v37, off
	scratch_store_dwordx3 off, v[16:18], off offset:4
	v_cndmask_b32_e64 v1, v2, v1, s[4:5]
	v_cndmask_b32_e64 v0, v11, v0, s[4:5]
	flat_load_dwordx4 v[0:3], v[0:1]
	s_mov_b64 s[6:7], 0x70
	v_mov_b32_e32 v10, s21
	v_lshl_add_u64 v[4:5], v[4:5], 0, s[6:7]
	v_cndmask_b32_e32 v5, v10, v5, vcc
	v_cndmask_b32_e32 v4, v11, v4, vcc
	scratch_store_dword off, v37, off
	scratch_store_dwordx3 off, v[16:18], off offset:4
	s_waitcnt vmcnt(0) lgkmcnt(0)
	ds_write_b128 v14, v[0:3]
	flat_load_dwordx4 v[0:3], v[4:5]
	v_lshl_add_u64 v[4:5], v[6:7], 0, s[6:7]
	v_cndmask_b32_e64 v5, v10, v5, s[10:11]
	v_cndmask_b32_e64 v4, v11, v4, s[10:11]
	scratch_store_dword off, v37, off
	scratch_store_dwordx3 off, v[16:18], off offset:4
	v_cmp_gt_i32_e64 s[6:7], s40, v40
	s_waitcnt vmcnt(0) lgkmcnt(0)
	ds_write_b128 v12, v[0:3]
	flat_load_dwordx4 v[0:3], v[4:5]
	s_waitcnt vmcnt(0) lgkmcnt(0)
	ds_write_b128 v13, v[0:3]
	s_waitcnt lgkmcnt(0)
	; wave barrier
	ds_read_b128 v[0:3], v81
	ds_read_b128 v[4:7], v78 offset:112
	s_waitcnt lgkmcnt(0)
	;;#ASMSTART
	v_dot2_f32_f16 v9, v0, v4, v9
	;;#ASMEND
	s_nop 0
	;;#ASMSTART
	v_dot2_f32_f16 v9, v1, v5, v9
	;;#ASMEND
	s_nop 0
	;;#ASMSTART
	v_dot2_f32_f16 v9, v2, v6, v9
	;;#ASMEND
	s_nop 0
	;;#ASMSTART
	v_dot2_f32_f16 v9, v3, v7, v9
	;;#ASMEND
	ds_read_b128 v[0:3], v81 offset:16
	ds_read_b128 v[4:7], v78 offset:128
	s_waitcnt lgkmcnt(0)
	;;#ASMSTART
	v_dot2_f32_f16 v9, v0, v4, v9
	;;#ASMEND
	s_nop 0
	;;#ASMSTART
	v_dot2_f32_f16 v9, v1, v5, v9
	;;#ASMEND
	s_nop 0
	;;#ASMSTART
	v_dot2_f32_f16 v9, v2, v6, v9
	;;#ASMEND
	s_nop 0
	;;#ASMSTART
	v_dot2_f32_f16 v9, v3, v7, v9
	;;#ASMEND
	ds_read_b128 v[0:3], v81 offset:32
	;; [unrolled: 18-line block ×6, first 2 shown]
	ds_read_b128 v[4:7], v78 offset:208
	s_waitcnt lgkmcnt(0)
	;;#ASMSTART
	v_dot2_f32_f16 v9, v0, v4, v9
	;;#ASMEND
	s_nop 0
	;;#ASMSTART
	v_dot2_f32_f16 v9, v1, v5, v9
	;;#ASMEND
	v_mov_b32_e32 v0, v82
	;;#ASMSTART
	v_dot2_f32_f16 v9, v2, v6, v9
	;;#ASMEND
	s_nop 0
	;;#ASMSTART
	v_dot2_f32_f16 v9, v3, v7, v9
	;;#ASMEND
	s_and_saveexec_b64 s[8:9], s[6:7]
	s_cbranch_execz .LBB68_37
; %bb.33:
	s_cmp_eq_u64 s[34:35], 0
	s_cbranch_scc1 .LBB68_35
; %bb.34:
	v_mul_hi_u32 v0, s36, v41
	v_add_u32_e32 v0, v41, v0
	v_lshrrev_b32_e32 v0, s37, v0
	v_mul_lo_u32 v0, v0, s38
	v_sub_u32_e32 v0, v41, v0
	v_mul_lo_u32 v0, v0, s27
	v_add3_u32 v0, v0, v40, s26
	v_ashrrev_i32_e32 v1, 31, v0
	v_lshl_add_u64 v[0:1], v[0:1], 1, s[34:35]
	global_load_ushort v0, v[0:1], off
	s_waitcnt vmcnt(0)
	v_cvt_f32_f16_e32 v0, v0
	v_mul_f32_e32 v0, v77, v0
	s_branch .LBB68_36
.LBB68_35:
	v_mov_b32_e32 v0, 0
.LBB68_36:
	v_add_f32_e32 v9, v9, v0
	v_add_f32_e32 v0, 0x40051340, v9
	v_max_f32_e32 v1, v82, v82
	v_max_f32_e32 v0, v1, v0
.LBB68_37:
	s_or_b64 exec, exec, s[8:9]
	v_mbcnt_hi_u32_b32 v53, -1, v79
	v_and_b32_e32 v1, 0x60, v53
	v_add_u32_e32 v54, 32, v1
	v_xor_b32_e32 v55, 16, v53
	v_cmp_lt_i32_e64 s[6:7], v55, v54
	v_xor_b32_e32 v56, 8, v53
	v_xor_b32_e32 v58, 4, v53
	v_cndmask_b32_e64 v1, v53, v55, s[6:7]
	v_lshlrev_b32_e32 v1, 2, v1
	ds_bpermute_b32 v1, v1, v0
	v_cmp_lt_i32_e64 s[6:7], v56, v54
	v_max_f32_e32 v0, v0, v0
	v_xor_b32_e32 v59, 2, v53
	v_cndmask_b32_e64 v2, v53, v56, s[6:7]
	s_waitcnt lgkmcnt(0)
	v_max_f32_e32 v1, v1, v1
	v_lshlrev_b32_e32 v2, 2, v2
	v_max_f32_e32 v0, v0, v1
	ds_bpermute_b32 v1, v2, v0
	v_cmp_lt_i32_e64 s[6:7], v58, v54
	v_xor_b32_e32 v60, 1, v53
	s_mov_b32 s18, 0x3fb8aa3b
	v_cndmask_b32_e64 v2, v53, v58, s[6:7]
	s_waitcnt lgkmcnt(0)
	v_max_f32_e32 v1, v1, v1
	v_lshlrev_b32_e32 v2, 2, v2
	v_max_f32_e32 v0, v0, v1
	ds_bpermute_b32 v1, v2, v0
	v_cmp_lt_i32_e64 s[6:7], v59, v54
	s_mov_b32 s19, 0xc2ce8ed0
	s_mov_b32 s20, 0x42b17218
	v_cndmask_b32_e64 v2, v53, v59, s[6:7]
	s_waitcnt lgkmcnt(0)
	v_max_f32_e32 v1, v1, v1
	v_lshlrev_b32_e32 v2, 2, v2
	v_max_f32_e32 v0, v0, v1
	ds_bpermute_b32 v1, v2, v0
	v_cmp_lt_i32_e64 s[6:7], v60, v54
	s_waitcnt lgkmcnt(0)
	; wave barrier
	s_nop 0
	v_cndmask_b32_e64 v2, v53, v60, s[6:7]
	v_max_f32_e32 v1, v1, v1
	v_lshlrev_b32_e32 v2, 2, v2
	v_max_f32_e32 v0, v0, v1
	ds_bpermute_b32 v1, v2, v0
	s_mul_hi_i32 s9, s26, s2
	s_mul_i32 s8, s26, s2
	v_mul_lo_u32 v38, s2, v52
	s_lshl_b64 s[8:9], s[8:9], 2
	s_waitcnt lgkmcnt(0)
	v_max_f32_e32 v1, v1, v1
	v_max_f32_e32 v34, v0, v1
	v_sub_f32_e32 v0, v9, v34
	v_mul_f32_e32 v1, 0x3fb8aa3b, v0
	v_fma_f32 v2, v0, s18, -v1
	v_rndne_f32_e32 v3, v1
	v_fmac_f32_e32 v2, 0x32a5705f, v0
	v_sub_f32_e32 v1, v1, v3
	v_add_f32_e32 v1, v1, v2
	v_exp_f32_e32 v1, v1
	v_cvt_i32_f32_e32 v2, v3
	v_cmp_ngt_f32_e64 s[6:7], s19, v0
	s_mov_b64 s[10:11], src_private_base
	s_movk_i32 s21, 0xe0
	v_ldexp_f32 v1, v1, v2
	v_cndmask_b32_e64 v1, 0, v1, s[6:7]
	v_mov_b32_e32 v2, 0x7f800000
	v_cmp_nlt_f32_e64 s[6:7], s20, v0
	v_ashrrev_i32_e32 v39, 31, v38
	s_nop 0
	v_cndmask_b32_e64 v0, v2, v1, s[6:7]
	v_cmp_gt_u32_e64 s[6:7], s40, v40
	v_mov_b32_e32 v1, 0x1200
	v_lshl_add_u32 v62, v74, 6, v1
	v_cndmask_b32_e64 v61, 0, v0, s[6:7]
	v_cvt_f16_f32_e32 v0, v61
	v_lshl_add_u32 v1, v40, 1, v62
	v_cmp_gt_u32_e64 s[6:7], 16, v52
	ds_write_b16 v1, v0
	v_mul_u32_u24_e32 v0, 0xe0, v52
	v_lshl_or_b32 v0, v8, 2, v0
	v_add_u32_e32 v64, 0xc0, v0
	v_lshl_add_u64 v[0:1], v[42:43], 0, s[8:9]
	s_and_saveexec_b64 s[8:9], s[6:7]
	s_cbranch_execz .LBB68_39
; %bb.38:
	v_mov_b32_e32 v4, 0
	v_mov_b32_e32 v5, v4
	;; [unrolled: 1-line block ×3, first 2 shown]
	scratch_store_dwordx3 off, v[4:6], off offset:4
	v_mov_b32_e32 v37, v4
	scratch_store_dword off, v4, off
	v_lshl_add_u64 v[6:7], v[38:39], 2, v[0:1]
	v_lshl_add_u64 v[4:5], v[6:7], 0, v[36:37]
	s_mov_b64 s[16:17], 0xc0
	v_lshl_add_u64 v[4:5], v[4:5], 0, s[16:17]
	v_mov_b32_e32 v3, s11
	v_cndmask_b32_e64 v5, v3, v5, s[4:5]
	v_mov_b32_e32 v3, 0
	v_cndmask_b32_e64 v4, v3, v4, s[4:5]
	flat_load_dwordx4 v[4:7], v[4:5]
	s_waitcnt vmcnt(0) lgkmcnt(0)
	ds_write_b128 v64, v[4:7]
.LBB68_39:
	s_or_b64 exec, exec, s[8:9]
	v_mul_lo_u32 v44, s2, v35
	v_ashrrev_i32_e32 v45, 31, v44
	s_mov_b32 s8, 0
	v_mov_b32_e32 v33, 0
	s_mov_b32 s10, s8
	v_lshl_add_u64 v[4:5], v[44:45], 2, v[0:1]
	s_mov_b64 s[4:5], src_private_base
	s_mov_b32 s9, s8
	v_mov_b32_e32 v14, s10
	v_lshl_add_u64 v[4:5], v[4:5], 0, v[32:33]
	s_mov_b64 s[16:17], 0x80
	v_mov_b32_e32 v13, s9
	v_mov_b32_e32 v12, s8
	v_lshl_add_u64 v[4:5], v[4:5], 0, s[16:17]
	v_mov_b32_e32 v3, s5
	v_mov_b32_e32 v65, 0
	scratch_store_dword off, v33, off
	scratch_store_dwordx3 off, v[12:14], off offset:4
	v_cndmask_b32_e32 v5, v3, v5, vcc
	v_cndmask_b32_e32 v4, v65, v4, vcc
	flat_load_dwordx4 v[4:7], v[4:5]
	v_lshl_add_u32 v66, v74, 2, v76
	v_mul_lo_u32 v48, s2, v66
	v_and_b32_e32 v8, 28, v75
	v_ashrrev_i32_e32 v49, 31, v48
	v_lshlrev_b32_e32 v46, 2, v8
	v_mov_b32_e32 v47, v33
	v_lshl_add_u64 v[8:9], v[48:49], 2, v[0:1]
	v_mad_u32_u24 v10, v35, s21, v32
	v_lshl_add_u64 v[8:9], v[8:9], 0, v[46:47]
	v_cmp_gt_i32_e32 vcc, s40, v66
	scratch_store_dword off, v33, off
	scratch_store_dwordx3 off, v[12:14], off offset:4
	v_cndmask_b32_e32 v9, v3, v9, vcc
	v_cndmask_b32_e32 v8, v65, v8, vcc
	v_lshl_add_u32 v50, s2, 3, v48
	v_ashrrev_i32_e32 v51, 31, v50
	v_add_u32_e32 v68, 8, v66
	v_lshl_add_u64 v[0:1], v[50:51], 2, v[0:1]
	v_mad_u32_u24 v67, v66, s21, v46
	v_lshl_add_u64 v[0:1], v[0:1], 0, v[46:47]
	v_cmp_gt_i32_e32 vcc, s40, v68
	s_or_b32 s21, s26, 16
	s_mul_hi_i32 s23, s21, s2
	v_cndmask_b32_e32 v1, v3, v1, vcc
	v_cndmask_b32_e32 v0, v65, v0, vcc
	s_mul_i32 s22, s21, s2
	s_mov_b32 s4, 0x10001
	v_add_u32_e32 v63, 0x800, v72
	v_add_u32_e32 v81, 0x80, v10
	;; [unrolled: 1-line block ×3, first 2 shown]
	s_add_i32 s40, s40, -16
	s_waitcnt vmcnt(0) lgkmcnt(0)
	ds_write_b128 v10, v[4:7] offset:128
	flat_load_dwordx4 v[4:7], v[8:9]
	s_nop 0
	scratch_store_dword off, v33, off
	scratch_store_dwordx3 off, v[12:14], off offset:4
	s_waitcnt vmcnt(0) lgkmcnt(0)
	ds_write_b128 v67, v[4:7]
	flat_load_dwordx4 v[4:7], v[0:1]
	v_sub_f32_e32 v0, v82, v34
	v_mul_f32_e32 v1, 0x3fb8aa3b, v0
	v_fma_f32 v3, v0, s18, -v1
	v_rndne_f32_e32 v8, v1
	v_fmac_f32_e32 v3, 0x32a5705f, v0
	v_sub_f32_e32 v1, v1, v8
	v_add_f32_e32 v1, v1, v3
	v_cvt_i32_f32_e32 v8, v8
	v_exp_f32_e32 v1, v1
	v_cmp_ngt_f32_e32 vcc, s19, v0
	s_lshl_b64 s[18:19], s[22:23], 2
	v_lshl_add_u64 v[42:43], v[42:43], 0, s[18:19]
	v_ldexp_f32 v1, v1, v8
	v_cndmask_b32_e32 v1, 0, v1, vcc
	v_cmp_nlt_f32_e32 vcc, s20, v0
	s_waitcnt vmcnt(0) lgkmcnt(0)
	ds_write_b128 v67, v[4:7] offset:1792
	v_cndmask_b32_e32 v70, v2, v1, vcc
	v_cvt_f16_f32_e32 v0, v70
	s_waitcnt lgkmcnt(0)
	; wave barrier
	v_mul_u32_u24_e32 v71, 0x10001, v0
	ds_read2_b64 v[28:31], v72 offset1:28
	ds_read_b128 v[74:77], v62
	ds_read_b128 v[92:95], v62 offset:16
	ds_read2_b64 v[24:27], v72 offset0:56 offset1:84
	ds_read2_b64 v[20:23], v72 offset0:112 offset1:140
	;; [unrolled: 1-line block ×7, first 2 shown]
	s_waitcnt lgkmcnt(8)
	v_mul_u32_u24_sdwa v91, v74, s4 dst_sel:DWORD dst_unused:UNUSED_PAD src0_sel:WORD_0 src1_sel:DWORD
	v_mul_u32_u24_sdwa v90, v74, s4 dst_sel:DWORD dst_unused:UNUSED_PAD src0_sel:WORD_1 src1_sel:DWORD
	v_mul_u32_u24_sdwa v89, v75, s4 dst_sel:DWORD dst_unused:UNUSED_PAD src0_sel:WORD_0 src1_sel:DWORD
	v_mul_u32_u24_sdwa v88, v75, s4 dst_sel:DWORD dst_unused:UNUSED_PAD src0_sel:WORD_1 src1_sel:DWORD
	;; [unrolled: 2-line block ×4, first 2 shown]
	s_waitcnt lgkmcnt(7)
	v_mul_u32_u24_sdwa v83, v92, s4 dst_sel:DWORD dst_unused:UNUSED_PAD src0_sel:WORD_0 src1_sel:DWORD
	v_mul_u32_u24_sdwa v82, v92, s4 dst_sel:DWORD dst_unused:UNUSED_PAD src0_sel:WORD_1 src1_sel:DWORD
	v_mul_u32_u24_sdwa v79, v93, s4 dst_sel:DWORD dst_unused:UNUSED_PAD src0_sel:WORD_0 src1_sel:DWORD
	v_mul_u32_u24_sdwa v78, v93, s4 dst_sel:DWORD dst_unused:UNUSED_PAD src0_sel:WORD_1 src1_sel:DWORD
	;; [unrolled: 2-line block ×4, first 2 shown]
	s_waitcnt lgkmcnt(0)
	; wave barrier
	s_and_saveexec_b64 s[18:19], s[6:7]
	s_cbranch_execz .LBB68_41
; %bb.40:
	v_lshl_add_u64 v[38:39], v[38:39], 2, v[42:43]
	v_mov_b32_e32 v37, v33
	v_lshl_add_u64 v[36:37], v[38:39], 0, v[36:37]
	s_mov_b64 s[6:7], 0xc0
	v_mov_b32_e32 v92, v33
	v_mov_b32_e32 v93, v33
	;; [unrolled: 1-line block ×3, first 2 shown]
	v_lshl_add_u64 v[36:37], v[36:37], 0, s[6:7]
	v_mov_b32_e32 v38, s11
	v_cmp_gt_i32_e32 vcc, s40, v52
	scratch_store_dword off, v33, off
	scratch_store_dwordx3 off, v[92:94], off offset:4
	v_cndmask_b32_e32 v37, v38, v37, vcc
	v_cndmask_b32_e32 v36, v65, v36, vcc
	flat_load_dwordx4 v[36:39], v[36:37]
	s_waitcnt vmcnt(0) lgkmcnt(0)
	ds_write_b128 v64, v[36:39]
.LBB68_41:
	s_or_b64 exec, exec, s[18:19]
	v_lshl_add_u64 v[36:37], v[44:45], 2, v[42:43]
	v_mov_b32_e32 v94, s10
	v_lshl_add_u64 v[36:37], v[36:37], 0, v[32:33]
	v_mov_b32_e32 v93, s9
	v_mov_b32_e32 v92, s8
	v_lshl_add_u64 v[36:37], v[36:37], 0, s[16:17]
	v_mov_b32_e32 v32, s5
	v_cmp_gt_i32_e32 vcc, s40, v35
	scratch_store_dword off, v33, off
	scratch_store_dwordx3 off, v[92:94], off offset:4
	v_cndmask_b32_e32 v37, v32, v37, vcc
	v_cndmask_b32_e32 v36, v65, v36, vcc
	flat_load_dwordx4 v[36:39], v[36:37]
	v_lshl_add_u64 v[44:45], v[48:49], 2, v[42:43]
	v_lshl_add_u64 v[44:45], v[44:45], 0, v[46:47]
	v_cmp_gt_i32_e32 vcc, s40, v66
	scratch_store_dword off, v33, off
	scratch_store_dwordx3 off, v[92:94], off offset:4
	v_cndmask_b32_e32 v45, v32, v45, vcc
	v_cndmask_b32_e32 v44, v65, v44, vcc
	v_lshl_add_u64 v[42:43], v[50:51], 2, v[42:43]
	v_lshl_add_u64 v[42:43], v[42:43], 0, v[46:47]
	v_cmp_gt_i32_e32 vcc, s40, v68
	v_pk_mul_f16 v28, v28, v91
	v_pk_mul_f16 v29, v29, v91
	v_cndmask_b32_e32 v43, v32, v43, vcc
	v_cndmask_b32_e32 v42, v65, v42, vcc
	v_pk_fma_f16 v28, v73, v71, v28
	v_pk_fma_f16 v29, v57, v71, v29
	;; [unrolled: 1-line block ×31, first 2 shown]
	v_fmac_f32_e32 v61, v80, v70
	v_mov_b32_e32 v80, v61
	s_waitcnt vmcnt(0) lgkmcnt(0)
	ds_write_b128 v81, v[36:39]
	flat_load_dwordx4 v[36:39], v[44:45]
	s_nop 0
	scratch_store_dword off, v33, off
	scratch_store_dwordx3 off, v[92:94], off offset:4
	v_pk_fma_f16 v33, v3, v74, v1
	s_waitcnt vmcnt(0) lgkmcnt(0)
	ds_write_b128 v67, v[36:39]
	flat_load_dwordx4 v[36:39], v[42:43]
	s_waitcnt vmcnt(0) lgkmcnt(0)
	ds_write_b128 v69, v[36:39]
	s_waitcnt lgkmcnt(0)
	; wave barrier
	ds_read2_b64 v[0:3], v72 offset1:28
	ds_read_b128 v[4:7], v62 offset:32
	ds_read_b128 v[8:11], v62 offset:48
	ds_read2_b64 v[12:15], v72 offset0:56 offset1:84
	ds_read2_b64 v[16:19], v72 offset0:112 offset1:140
	;; [unrolled: 1-line block ×7, first 2 shown]
	s_waitcnt lgkmcnt(8)
	v_mul_u32_u24_sdwa v35, v4, s4 dst_sel:DWORD dst_unused:UNUSED_PAD src0_sel:WORD_0 src1_sel:DWORD
	v_mul_u32_u24_sdwa v4, v4, s4 dst_sel:DWORD dst_unused:UNUSED_PAD src0_sel:WORD_1 src1_sel:DWORD
	v_pk_fma_f16 v0, v0, v35, v32
	v_pk_fma_f16 v1, v1, v35, v33
	v_mul_u32_u24_sdwa v46, v5, s4 dst_sel:DWORD dst_unused:UNUSED_PAD src0_sel:WORD_0 src1_sel:DWORD
	v_pk_fma_f16 v0, v2, v4, v0
	v_pk_fma_f16 v1, v3, v4, v1
	v_mul_u32_u24_sdwa v5, v5, s4 dst_sel:DWORD dst_unused:UNUSED_PAD src0_sel:WORD_1 src1_sel:DWORD
	s_waitcnt lgkmcnt(6)
	v_pk_fma_f16 v0, v12, v46, v0
	v_pk_fma_f16 v1, v13, v46, v1
	v_mul_u32_u24_sdwa v47, v6, s4 dst_sel:DWORD dst_unused:UNUSED_PAD src0_sel:WORD_0 src1_sel:DWORD
	v_pk_fma_f16 v0, v14, v5, v0
	v_pk_fma_f16 v1, v15, v5, v1
	v_mul_u32_u24_sdwa v6, v6, s4 dst_sel:DWORD dst_unused:UNUSED_PAD src0_sel:WORD_1 src1_sel:DWORD
	s_waitcnt lgkmcnt(5)
	;; [unrolled: 7-line block ×7, first 2 shown]
	v_pk_fma_f16 v0, v42, v52, v0
	v_pk_fma_f16 v1, v43, v52, v1
	;; [unrolled: 1-line block ×4, first 2 shown]
	; wave barrier
.LBB68_42:
	v_cmp_lt_i32_e32 vcc, v55, v54
	s_cmp_eq_u64 s[24:25], 0
	s_cselect_b64 s[4:5], -1, 0
	v_cndmask_b32_e32 v0, v53, v55, vcc
	v_lshlrev_b32_e32 v0, 2, v0
	ds_bpermute_b32 v0, v0, v80
	v_cmp_lt_i32_e32 vcc, v56, v54
	s_cmp_lg_u32 s3, 0
	s_cselect_b64 s[6:7], -1, 0
	v_cndmask_b32_e32 v1, v53, v56, vcc
	v_lshlrev_b32_e32 v1, 2, v1
	s_waitcnt lgkmcnt(0)
	v_add_f32_e32 v0, v80, v0
	ds_bpermute_b32 v1, v1, v0
	v_cmp_lt_i32_e32 vcc, v58, v54
	s_or_b64 s[4:5], s[6:7], s[4:5]
	s_waitcnt lgkmcnt(0)
	v_add_f32_e32 v0, v0, v1
	v_cndmask_b32_e32 v2, v53, v58, vcc
	v_lshlrev_b32_e32 v2, 2, v2
	ds_bpermute_b32 v1, v2, v0
	v_cmp_lt_i32_e32 vcc, v59, v54
	s_waitcnt lgkmcnt(0)
	v_add_f32_e32 v0, v0, v1
	v_cndmask_b32_e32 v2, v53, v59, vcc
	v_lshlrev_b32_e32 v2, 2, v2
	ds_bpermute_b32 v1, v2, v0
	v_cmp_lt_i32_e32 vcc, v60, v54
	s_waitcnt lgkmcnt(0)
	v_add_f32_e32 v0, v0, v1
	v_cndmask_b32_e32 v2, v53, v60, vcc
	v_lshlrev_b32_e32 v2, 2, v2
	ds_bpermute_b32 v1, v2, v0
	s_and_b64 vcc, exec, s[4:5]
	s_waitcnt lgkmcnt(0)
	v_add_f32_e32 v35, v0, v1
	s_cbranch_vccnz .LBB68_45
; %bb.43:
	s_lshl_b64 s[4:5], s[14:15], 2
	s_add_u32 s4, s24, s4
	s_addc_u32 s5, s25, s5
	v_mov_b32_e32 v0, 0
	global_load_dword v1, v0, s[4:5]
	v_max_f32_e32 v0, v34, v34
	s_mov_b32 s2, 0x3fb8aa3b
	s_mov_b32 s4, 0xc2ce8ed0
	s_waitcnt vmcnt(0)
	v_max_f32_e32 v2, v1, v1
	v_max_f32_e32 v0, v0, v2
	v_sub_f32_e32 v2, v34, v0
	v_sub_f32_e32 v1, v1, v0
	v_mul_f32_e32 v3, 0x3fb8aa3b, v2
	v_mul_f32_e32 v4, 0x3fb8aa3b, v1
	v_fma_f32 v5, v2, s2, -v3
	v_rndne_f32_e32 v6, v3
	v_fma_f32 v7, v1, s2, -v4
	v_rndne_f32_e32 v8, v4
	v_fmac_f32_e32 v5, 0x32a5705f, v2
	v_sub_f32_e32 v3, v3, v6
	v_fmac_f32_e32 v7, 0x32a5705f, v1
	v_sub_f32_e32 v4, v4, v8
	v_add_f32_e32 v3, v3, v5
	v_cvt_i32_f32_e32 v6, v6
	v_add_f32_e32 v4, v4, v7
	v_exp_f32_e32 v3, v3
	v_cvt_i32_f32_e32 v8, v8
	v_exp_f32_e32 v4, v4
	v_cmp_ngt_f32_e32 vcc, s4, v2
	v_ldexp_f32 v3, v3, v6
	s_mov_b32 s2, 0x42b17218
	v_ldexp_f32 v4, v4, v8
	v_cndmask_b32_e32 v3, 0, v3, vcc
	v_cmp_ngt_f32_e32 vcc, s4, v1
	v_mov_b32_e32 v5, 0x7f800000
	s_nop 0
	v_cndmask_b32_e32 v4, 0, v4, vcc
	v_cmp_nlt_f32_e32 vcc, s2, v2
	s_nop 1
	v_cndmask_b32_e32 v2, v5, v3, vcc
	v_cvt_f16_f32_e32 v3, v2
	v_cmp_nlt_f32_e32 vcc, s2, v1
	s_nop 1
	v_cndmask_b32_e32 v1, v5, v4, vcc
	v_fmac_f32_e32 v1, v35, v2
	v_mul_u32_u24_e32 v2, 0x10001, v3
	v_pk_mul_f16 v73, v73, v2
	v_pk_mul_f16 v57, v57, v2
	v_mov_b64_e32 v[34:35], v[0:1]
	v_cmp_gt_i32_e32 vcc, s38, v41
	s_and_saveexec_b64 s[4:5], vcc
	s_cbranch_execnz .LBB68_46
.LBB68_44:
	s_endpgm
.LBB68_45:
	v_mov_b32_e32 v1, v35
	v_cmp_gt_i32_e32 vcc, s38, v41
	s_and_saveexec_b64 s[4:5], vcc
	s_cbranch_execz .LBB68_44
.LBB68_46:
	s_load_dword s2, s[0:1], 0xd4
	s_mul_i32 s33, s33, s38
	v_add_u32_e32 v0, s33, v41
	v_mul_lo_u32 v0, v0, s39
	v_add_u32_e32 v0, s14, v0
	s_waitcnt lgkmcnt(0)
	s_cmp_lg_u32 s2, 1
	v_mul_lo_u32 v0, s2, v0
	s_cselect_b64 s[0:1], -1, 0
	v_add_u32_e32 v0, s3, v0
	s_and_saveexec_b64 s[2:3], s[12:13]
	s_cbranch_execz .LBB68_48
; %bb.47:
	v_div_scale_f32 v4, s[4:5], v1, v1, 1.0
	v_rcp_f32_e32 v5, v4
	v_cvt_f32_f16_sdwa v9, v73 dst_sel:DWORD dst_unused:UNUSED_PAD src0_sel:WORD_1
	v_cvt_f32_f16_sdwa v11, v57 dst_sel:DWORD dst_unused:UNUSED_PAD src0_sel:WORD_1
	v_cvt_f32_f16_e32 v10, v57
	v_fma_f32 v6, -v4, v5, 1.0
	v_fmac_f32_e32 v5, v6, v5
	v_div_scale_f32 v6, vcc, 1.0, v1, 1.0
	v_mul_f32_e32 v7, v6, v5
	v_fma_f32 v8, -v4, v7, v6
	v_fmac_f32_e32 v7, v8, v5
	v_fma_f32 v4, -v4, v7, v6
	v_div_fmas_f32 v4, v4, v5, v7
	v_cvt_f32_f16_e32 v8, v73
	v_div_fixup_f32 v1, v4, v1, 1.0
	s_movk_i32 s4, 0x70
	v_cndmask_b32_e64 v4, v1, 1.0, s[0:1]
	v_mul_lo_u32 v1, v0, s4
	v_mov_b32_e32 v2, s28
	v_mov_b32_e32 v3, s29
	v_lshl_add_u32 v6, v40, 2, v1
	v_mov_b32_e32 v7, 0
	v_lshl_add_u64 v[6:7], v[6:7], 2, v[2:3]
	v_pk_mul_f32 v[2:3], v[4:5], v[8:9] op_sel_hi:[0,1]
	v_pk_mul_f32 v[4:5], v[4:5], v[10:11] op_sel_hi:[0,1]
	global_store_dwordx4 v[6:7], v[2:5], off
.LBB68_48:
	s_or_b64 exec, exec, s[2:3]
	v_cmp_eq_u32_e32 vcc, 0, v40
	s_and_b64 s[0:1], vcc, s[0:1]
	s_and_b64 exec, exec, s[0:1]
	s_cbranch_execz .LBB68_44
; %bb.49:
	v_mov_b32_e32 v2, s30
	v_mov_b32_e32 v3, s31
	v_ashrrev_i32_e32 v1, 31, v0
	v_lshl_add_u64 v[0:1], v[0:1], 3, v[2:3]
	global_store_dwordx2 v[0:1], v[34:35], off
	s_endpgm
	.section	.rodata,"a",@progbits
	.p2align	6, 0x0
	.amdhsa_kernel _ZL15flash_attn_tileILi112ELi112ELi2ELi1ELb0EEvPKcS1_S1_S1_S1_PKiPfP15HIP_vector_typeIfLj2EEffffjfiS5_IjLj3EEiiiiiiiiiiiliiliiiiil
		.amdhsa_group_segment_fixed_size 4736
		.amdhsa_private_segment_fixed_size 32
		.amdhsa_kernarg_size 464
		.amdhsa_user_sgpr_count 2
		.amdhsa_user_sgpr_dispatch_ptr 0
		.amdhsa_user_sgpr_queue_ptr 0
		.amdhsa_user_sgpr_kernarg_segment_ptr 1
		.amdhsa_user_sgpr_dispatch_id 0
		.amdhsa_user_sgpr_kernarg_preload_length 0
		.amdhsa_user_sgpr_kernarg_preload_offset 0
		.amdhsa_user_sgpr_private_segment_size 0
		.amdhsa_uses_dynamic_stack 0
		.amdhsa_enable_private_segment 1
		.amdhsa_system_sgpr_workgroup_id_x 1
		.amdhsa_system_sgpr_workgroup_id_y 1
		.amdhsa_system_sgpr_workgroup_id_z 1
		.amdhsa_system_sgpr_workgroup_info 0
		.amdhsa_system_vgpr_workitem_id 1
		.amdhsa_next_free_vgpr 119
		.amdhsa_next_free_sgpr 48
		.amdhsa_accum_offset 120
		.amdhsa_reserve_vcc 1
		.amdhsa_float_round_mode_32 0
		.amdhsa_float_round_mode_16_64 0
		.amdhsa_float_denorm_mode_32 3
		.amdhsa_float_denorm_mode_16_64 3
		.amdhsa_dx10_clamp 1
		.amdhsa_ieee_mode 1
		.amdhsa_fp16_overflow 0
		.amdhsa_tg_split 0
		.amdhsa_exception_fp_ieee_invalid_op 0
		.amdhsa_exception_fp_denorm_src 0
		.amdhsa_exception_fp_ieee_div_zero 0
		.amdhsa_exception_fp_ieee_overflow 0
		.amdhsa_exception_fp_ieee_underflow 0
		.amdhsa_exception_fp_ieee_inexact 0
		.amdhsa_exception_int_div_zero 0
	.end_amdhsa_kernel
	.section	.text._ZL15flash_attn_tileILi112ELi112ELi2ELi1ELb0EEvPKcS1_S1_S1_S1_PKiPfP15HIP_vector_typeIfLj2EEffffjfiS5_IjLj3EEiiiiiiiiiiiliiliiiiil,"axG",@progbits,_ZL15flash_attn_tileILi112ELi112ELi2ELi1ELb0EEvPKcS1_S1_S1_S1_PKiPfP15HIP_vector_typeIfLj2EEffffjfiS5_IjLj3EEiiiiiiiiiiiliiliiiiil,comdat
.Lfunc_end68:
	.size	_ZL15flash_attn_tileILi112ELi112ELi2ELi1ELb0EEvPKcS1_S1_S1_S1_PKiPfP15HIP_vector_typeIfLj2EEffffjfiS5_IjLj3EEiiiiiiiiiiiliiliiiiil, .Lfunc_end68-_ZL15flash_attn_tileILi112ELi112ELi2ELi1ELb0EEvPKcS1_S1_S1_S1_PKiPfP15HIP_vector_typeIfLj2EEffffjfiS5_IjLj3EEiiiiiiiiiiiliiliiiiil
                                        ; -- End function
	.set _ZL15flash_attn_tileILi112ELi112ELi2ELi1ELb0EEvPKcS1_S1_S1_S1_PKiPfP15HIP_vector_typeIfLj2EEffffjfiS5_IjLj3EEiiiiiiiiiiiliiliiiiil.num_vgpr, 119
	.set _ZL15flash_attn_tileILi112ELi112ELi2ELi1ELb0EEvPKcS1_S1_S1_S1_PKiPfP15HIP_vector_typeIfLj2EEffffjfiS5_IjLj3EEiiiiiiiiiiiliiliiiiil.num_agpr, 0
	.set _ZL15flash_attn_tileILi112ELi112ELi2ELi1ELb0EEvPKcS1_S1_S1_S1_PKiPfP15HIP_vector_typeIfLj2EEffffjfiS5_IjLj3EEiiiiiiiiiiiliiliiiiil.numbered_sgpr, 48
	.set _ZL15flash_attn_tileILi112ELi112ELi2ELi1ELb0EEvPKcS1_S1_S1_S1_PKiPfP15HIP_vector_typeIfLj2EEffffjfiS5_IjLj3EEiiiiiiiiiiiliiliiiiil.num_named_barrier, 0
	.set _ZL15flash_attn_tileILi112ELi112ELi2ELi1ELb0EEvPKcS1_S1_S1_S1_PKiPfP15HIP_vector_typeIfLj2EEffffjfiS5_IjLj3EEiiiiiiiiiiiliiliiiiil.private_seg_size, 32
	.set _ZL15flash_attn_tileILi112ELi112ELi2ELi1ELb0EEvPKcS1_S1_S1_S1_PKiPfP15HIP_vector_typeIfLj2EEffffjfiS5_IjLj3EEiiiiiiiiiiiliiliiiiil.uses_vcc, 1
	.set _ZL15flash_attn_tileILi112ELi112ELi2ELi1ELb0EEvPKcS1_S1_S1_S1_PKiPfP15HIP_vector_typeIfLj2EEffffjfiS5_IjLj3EEiiiiiiiiiiiliiliiiiil.uses_flat_scratch, 0
	.set _ZL15flash_attn_tileILi112ELi112ELi2ELi1ELb0EEvPKcS1_S1_S1_S1_PKiPfP15HIP_vector_typeIfLj2EEffffjfiS5_IjLj3EEiiiiiiiiiiiliiliiiiil.has_dyn_sized_stack, 0
	.set _ZL15flash_attn_tileILi112ELi112ELi2ELi1ELb0EEvPKcS1_S1_S1_S1_PKiPfP15HIP_vector_typeIfLj2EEffffjfiS5_IjLj3EEiiiiiiiiiiiliiliiiiil.has_recursion, 0
	.set _ZL15flash_attn_tileILi112ELi112ELi2ELi1ELb0EEvPKcS1_S1_S1_S1_PKiPfP15HIP_vector_typeIfLj2EEffffjfiS5_IjLj3EEiiiiiiiiiiiliiliiiiil.has_indirect_call, 0
	.section	.AMDGPU.csdata,"",@progbits
; Kernel info:
; codeLenInByte = 11684
; TotalNumSgprs: 54
; NumVgprs: 119
; NumAgprs: 0
; TotalNumVgprs: 119
; ScratchSize: 32
; MemoryBound: 0
; FloatMode: 240
; IeeeMode: 1
; LDSByteSize: 4736 bytes/workgroup (compile time only)
; SGPRBlocks: 6
; VGPRBlocks: 14
; NumSGPRsForWavesPerEU: 54
; NumVGPRsForWavesPerEU: 119
; AccumOffset: 120
; Occupancy: 4
; WaveLimiterHint : 1
; COMPUTE_PGM_RSRC2:SCRATCH_EN: 1
; COMPUTE_PGM_RSRC2:USER_SGPR: 2
; COMPUTE_PGM_RSRC2:TRAP_HANDLER: 0
; COMPUTE_PGM_RSRC2:TGID_X_EN: 1
; COMPUTE_PGM_RSRC2:TGID_Y_EN: 1
; COMPUTE_PGM_RSRC2:TGID_Z_EN: 1
; COMPUTE_PGM_RSRC2:TIDIG_COMP_CNT: 1
; COMPUTE_PGM_RSRC3_GFX90A:ACCUM_OFFSET: 29
; COMPUTE_PGM_RSRC3_GFX90A:TG_SPLIT: 0
	.section	.text._ZL33flash_attn_stream_k_fixup_uniformILi112ELi2ELi1EEvPfPK15HIP_vector_typeIfLj2EEiiiiiiS1_IjLj3EES5_S5_,"axG",@progbits,_ZL33flash_attn_stream_k_fixup_uniformILi112ELi2ELi1EEvPfPK15HIP_vector_typeIfLj2EEiiiiiiS1_IjLj3EES5_S5_,comdat
	.globl	_ZL33flash_attn_stream_k_fixup_uniformILi112ELi2ELi1EEvPfPK15HIP_vector_typeIfLj2EEiiiiiiS1_IjLj3EES5_S5_ ; -- Begin function _ZL33flash_attn_stream_k_fixup_uniformILi112ELi2ELi1EEvPfPK15HIP_vector_typeIfLj2EEiiiiiiS1_IjLj3EES5_S5_
	.p2align	8
	.type	_ZL33flash_attn_stream_k_fixup_uniformILi112ELi2ELi1EEvPfPK15HIP_vector_typeIfLj2EEiiiiiiS1_IjLj3EES5_S5_,@function
_ZL33flash_attn_stream_k_fixup_uniformILi112ELi2ELi1EEvPfPK15HIP_vector_typeIfLj2EEiiiiiiS1_IjLj3EES5_S5_: ; @_ZL33flash_attn_stream_k_fixup_uniformILi112ELi2ELi1EEvPfPK15HIP_vector_typeIfLj2EEiiiiiiS1_IjLj3EES5_S5_
; %bb.0:
	s_load_dwordx8 s[8:15], s[0:1], 0x1c
	s_load_dwordx2 s[6:7], s[0:1], 0x10
	s_load_dwordx4 s[16:19], s[0:1], 0x3c
	s_waitcnt lgkmcnt(0)
	s_mul_hi_u32 s5, s11, s2
	s_add_i32 s5, s2, s5
	s_lshr_b32 s5, s5, s12
	s_mul_i32 s11, s5, s13
	s_sub_i32 s12, s2, s11
	s_mul_hi_u32 s11, s12, s14
	s_add_i32 s11, s12, s11
	s_lshr_b32 s11, s11, s15
	s_mul_i32 s13, s11, s16
	s_sub_i32 s12, s12, s13
	;; [unrolled: 5-line block ×3, first 2 shown]
	s_lshl_b32 s12, s17, 1
	s_add_i32 s12, s12, s3
	s_cmp_lt_i32 s12, s6
	s_cselect_b64 s[12:13], -1, 0
	s_add_i32 s16, s16, s4
	s_cmp_lt_i32 s16, s9
	s_cselect_b64 s[14:15], -1, 0
	s_and_b64 s[12:13], s[12:13], s[14:15]
	s_andn2_b64 vcc, exec, s[12:13]
	s_cbranch_vccnz .LBB69_6
; %bb.1:
	s_load_dwordx4 s[12:15], s[0:1], 0x0
	s_mul_i32 s0, s5, s6
	s_mul_i32 s11, s11, s9
	s_add_i32 s0, s0, s3
	s_mul_i32 s0, s0, s7
	s_add_i32 s5, s16, s11
	;; [unrolled: 2-line block ×3, first 2 shown]
	s_mulk_i32 s1, 0xe0
	s_mulk_i32 s0, 0x70
	s_add_i32 s0, s0, s1
	v_add_u32_e32 v4, s0, v0
	s_waitcnt lgkmcnt(0)
	v_mov_b32_e32 v2, s12
	v_mov_b32_e32 v3, s13
	v_ashrrev_i32_e32 v5, 31, v4
	v_lshl_add_u64 v[2:3], v[4:5], 2, v[2:3]
	global_load_dword v5, v[2:3], off
	s_mul_i32 s6, s10, s2
	s_add_i32 s7, s6, s10
	s_add_i32 s3, s3, s4
	s_lshl_b32 s0, s7, 1
	s_add_i32 s0, s3, s0
	s_add_i32 s0, s0, -2
	s_ashr_i32 s1, s0, 31
	s_lshl_b64 s[0:1], s[0:1], 3
	s_add_u32 s0, s14, s0
	s_addc_u32 s1, s15, s1
	s_load_dword s9, s[0:1], 0x4
	s_add_i32 s4, s7, -2
	s_cmp_lt_i32 s4, s6
	s_cbranch_scc1 .LBB69_4
; %bb.2:
	s_lshl_b32 s4, s8, 3
	s_ashr_i32 s5, s4, 31
	s_lshl_b64 s[4:5], s[4:5], 2
	s_add_u32 s4, s14, s4
	s_addc_u32 s5, s15, s5
	s_load_dword s0, s[0:1], 0x0
	s_add_i32 s2, s2, 1
	s_mul_i32 s10, s10, s2
	s_mul_i32 s1, s3, 0x70
	s_lshl_b32 s2, s10, 1
	s_mulk_i32 s10, 0xe0
	s_add_i32 s2, s3, s2
	s_lshl_b32 s3, s8, 1
	s_add_i32 s1, s1, s10
	s_add_i32 s2, s2, s3
	v_add_u32_e32 v0, s1, v0
	s_add_i32 s7, s7, -1
	s_add_i32 s2, s2, -4
	v_add_u32_e32 v0, 0xfffffe40, v0
	s_waitcnt lgkmcnt(0)
	v_mov_b32_e32 v7, s0
	v_mov_b32_e32 v4, s9
	s_mov_b32 s8, 0x3fb8aa3b
	s_mov_b32 s9, 0xc2ce8ed0
	;; [unrolled: 1-line block ×3, first 2 shown]
	v_mov_b32_e32 v6, 0x7f800000
	s_mov_b32 s11, 0xc1a00000
.LBB69_3:                               ; =>This Inner Loop Header: Depth=1
	v_ashrrev_i32_e32 v1, 31, v0
	v_lshl_add_u64 v[8:9], v[0:1], 2, s[4:5]
	global_load_dword v9, v[8:9], off
	s_ashr_i32 s3, s2, 31
	s_lshl_b64 s[0:1], s[2:3], 3
	s_add_u32 s0, s14, s0
	s_addc_u32 s1, s15, s1
	s_load_dwordx2 s[0:1], s[0:1], 0x0
	v_max_f32_e32 v1, v7, v7
	s_add_i32 s7, s7, -1
	s_add_i32 s2, s2, -2
	v_add_u32_e32 v0, 0xffffff20, v0
	s_waitcnt lgkmcnt(0)
	v_max_f32_e64 v10, s0, s0
	v_max_f32_e32 v1, v1, v10
	v_sub_f32_e32 v11, s0, v1
	v_sub_f32_e32 v10, v7, v1
	v_mul_f32_e32 v12, 0x3fb8aa3b, v11
	v_mov_b32_e32 v7, v1
	v_mul_f32_e32 v1, 0x3fb8aa3b, v10
	v_fma_f32 v15, v11, s8, -v12
	v_rndne_f32_e32 v16, v12
	v_fma_f32 v13, v10, s8, -v1
	v_rndne_f32_e32 v14, v1
	v_fmac_f32_e32 v15, 0x32a5705f, v11
	v_sub_f32_e32 v12, v12, v16
	v_fmac_f32_e32 v13, 0x32a5705f, v10
	v_sub_f32_e32 v1, v1, v14
	v_add_f32_e32 v12, v12, v15
	v_cvt_i32_f32_e32 v16, v16
	v_add_f32_e32 v1, v1, v13
	v_exp_f32_e32 v12, v12
	v_cvt_i32_f32_e32 v14, v14
	v_exp_f32_e32 v1, v1
	v_cmp_ngt_f32_e32 vcc, s9, v11
	v_ldexp_f32 v12, v12, v16
	v_mov_b32_e32 v8, s1
	v_ldexp_f32 v1, v1, v14
	v_cmp_ngt_f32_e64 s[0:1], s9, v10
	v_cndmask_b32_e32 v12, 0, v12, vcc
	v_cmp_nlt_f32_e32 vcc, s10, v11
	v_cndmask_b32_e64 v1, 0, v1, s[0:1]
	v_cmp_nlt_f32_e64 s[0:1], s10, v10
	v_cndmask_b32_e32 v12, v6, v12, vcc
	v_cmp_le_f32_e32 vcc, s11, v11
	v_cndmask_b32_e64 v1, v6, v1, s[0:1]
	v_cmp_le_f32_e64 s[0:1], s11, v10
	v_cndmask_b32_e32 v12, 0, v12, vcc
	s_cmp_le_i32 s7, s6
	v_cndmask_b32_e64 v10, 0, v1, s[0:1]
	s_waitcnt vmcnt(0)
	v_pk_mul_f32 v[8:9], v[8:9], v[12:13] op_sel_hi:[1,0]
	s_nop 0
	v_pk_fma_f32 v[4:5], v[4:5], v[10:11], v[8:9] op_sel_hi:[1,0,1]
	s_cbranch_scc0 .LBB69_3
	s_branch .LBB69_5
.LBB69_4:
	s_waitcnt lgkmcnt(0)
	v_mov_b32_e32 v4, s9
.LBB69_5:
	s_waitcnt vmcnt(0)
	v_div_scale_f32 v0, s[0:1], v4, v4, v5
	v_rcp_f32_e32 v1, v0
	v_div_scale_f32 v6, vcc, v5, v4, v5
	v_fma_f32 v7, -v0, v1, 1.0
	v_fmac_f32_e32 v1, v7, v1
	v_mul_f32_e32 v7, v6, v1
	v_fma_f32 v8, -v0, v7, v6
	v_fmac_f32_e32 v7, v8, v1
	v_fma_f32 v0, -v0, v7, v6
	v_div_fmas_f32 v0, v0, v1, v7
	v_div_fixup_f32 v0, v0, v4, v5
	global_store_dword v[2:3], v0, off
.LBB69_6:
	s_endpgm
	.section	.rodata,"a",@progbits
	.p2align	6, 0x0
	.amdhsa_kernel _ZL33flash_attn_stream_k_fixup_uniformILi112ELi2ELi1EEvPfPK15HIP_vector_typeIfLj2EEiiiiiiS1_IjLj3EES5_S5_
		.amdhsa_group_segment_fixed_size 0
		.amdhsa_private_segment_fixed_size 0
		.amdhsa_kernarg_size 76
		.amdhsa_user_sgpr_count 2
		.amdhsa_user_sgpr_dispatch_ptr 0
		.amdhsa_user_sgpr_queue_ptr 0
		.amdhsa_user_sgpr_kernarg_segment_ptr 1
		.amdhsa_user_sgpr_dispatch_id 0
		.amdhsa_user_sgpr_kernarg_preload_length 0
		.amdhsa_user_sgpr_kernarg_preload_offset 0
		.amdhsa_user_sgpr_private_segment_size 0
		.amdhsa_uses_dynamic_stack 0
		.amdhsa_enable_private_segment 0
		.amdhsa_system_sgpr_workgroup_id_x 1
		.amdhsa_system_sgpr_workgroup_id_y 1
		.amdhsa_system_sgpr_workgroup_id_z 1
		.amdhsa_system_sgpr_workgroup_info 0
		.amdhsa_system_vgpr_workitem_id 0
		.amdhsa_next_free_vgpr 17
		.amdhsa_next_free_sgpr 20
		.amdhsa_accum_offset 20
		.amdhsa_reserve_vcc 1
		.amdhsa_float_round_mode_32 0
		.amdhsa_float_round_mode_16_64 0
		.amdhsa_float_denorm_mode_32 3
		.amdhsa_float_denorm_mode_16_64 3
		.amdhsa_dx10_clamp 1
		.amdhsa_ieee_mode 1
		.amdhsa_fp16_overflow 0
		.amdhsa_tg_split 0
		.amdhsa_exception_fp_ieee_invalid_op 0
		.amdhsa_exception_fp_denorm_src 0
		.amdhsa_exception_fp_ieee_div_zero 0
		.amdhsa_exception_fp_ieee_overflow 0
		.amdhsa_exception_fp_ieee_underflow 0
		.amdhsa_exception_fp_ieee_inexact 0
		.amdhsa_exception_int_div_zero 0
	.end_amdhsa_kernel
	.section	.text._ZL33flash_attn_stream_k_fixup_uniformILi112ELi2ELi1EEvPfPK15HIP_vector_typeIfLj2EEiiiiiiS1_IjLj3EES5_S5_,"axG",@progbits,_ZL33flash_attn_stream_k_fixup_uniformILi112ELi2ELi1EEvPfPK15HIP_vector_typeIfLj2EEiiiiiiS1_IjLj3EES5_S5_,comdat
.Lfunc_end69:
	.size	_ZL33flash_attn_stream_k_fixup_uniformILi112ELi2ELi1EEvPfPK15HIP_vector_typeIfLj2EEiiiiiiS1_IjLj3EES5_S5_, .Lfunc_end69-_ZL33flash_attn_stream_k_fixup_uniformILi112ELi2ELi1EEvPfPK15HIP_vector_typeIfLj2EEiiiiiiS1_IjLj3EES5_S5_
                                        ; -- End function
	.set _ZL33flash_attn_stream_k_fixup_uniformILi112ELi2ELi1EEvPfPK15HIP_vector_typeIfLj2EEiiiiiiS1_IjLj3EES5_S5_.num_vgpr, 17
	.set _ZL33flash_attn_stream_k_fixup_uniformILi112ELi2ELi1EEvPfPK15HIP_vector_typeIfLj2EEiiiiiiS1_IjLj3EES5_S5_.num_agpr, 0
	.set _ZL33flash_attn_stream_k_fixup_uniformILi112ELi2ELi1EEvPfPK15HIP_vector_typeIfLj2EEiiiiiiS1_IjLj3EES5_S5_.numbered_sgpr, 20
	.set _ZL33flash_attn_stream_k_fixup_uniformILi112ELi2ELi1EEvPfPK15HIP_vector_typeIfLj2EEiiiiiiS1_IjLj3EES5_S5_.num_named_barrier, 0
	.set _ZL33flash_attn_stream_k_fixup_uniformILi112ELi2ELi1EEvPfPK15HIP_vector_typeIfLj2EEiiiiiiS1_IjLj3EES5_S5_.private_seg_size, 0
	.set _ZL33flash_attn_stream_k_fixup_uniformILi112ELi2ELi1EEvPfPK15HIP_vector_typeIfLj2EEiiiiiiS1_IjLj3EES5_S5_.uses_vcc, 1
	.set _ZL33flash_attn_stream_k_fixup_uniformILi112ELi2ELi1EEvPfPK15HIP_vector_typeIfLj2EEiiiiiiS1_IjLj3EES5_S5_.uses_flat_scratch, 0
	.set _ZL33flash_attn_stream_k_fixup_uniformILi112ELi2ELi1EEvPfPK15HIP_vector_typeIfLj2EEiiiiiiS1_IjLj3EES5_S5_.has_dyn_sized_stack, 0
	.set _ZL33flash_attn_stream_k_fixup_uniformILi112ELi2ELi1EEvPfPK15HIP_vector_typeIfLj2EEiiiiiiS1_IjLj3EES5_S5_.has_recursion, 0
	.set _ZL33flash_attn_stream_k_fixup_uniformILi112ELi2ELi1EEvPfPK15HIP_vector_typeIfLj2EEiiiiiiS1_IjLj3EES5_S5_.has_indirect_call, 0
	.section	.AMDGPU.csdata,"",@progbits
; Kernel info:
; codeLenInByte = 816
; TotalNumSgprs: 26
; NumVgprs: 17
; NumAgprs: 0
; TotalNumVgprs: 17
; ScratchSize: 0
; MemoryBound: 0
; FloatMode: 240
; IeeeMode: 1
; LDSByteSize: 0 bytes/workgroup (compile time only)
; SGPRBlocks: 3
; VGPRBlocks: 2
; NumSGPRsForWavesPerEU: 26
; NumVGPRsForWavesPerEU: 17
; AccumOffset: 20
; Occupancy: 8
; WaveLimiterHint : 0
; COMPUTE_PGM_RSRC2:SCRATCH_EN: 0
; COMPUTE_PGM_RSRC2:USER_SGPR: 2
; COMPUTE_PGM_RSRC2:TRAP_HANDLER: 0
; COMPUTE_PGM_RSRC2:TGID_X_EN: 1
; COMPUTE_PGM_RSRC2:TGID_Y_EN: 1
; COMPUTE_PGM_RSRC2:TGID_Z_EN: 1
; COMPUTE_PGM_RSRC2:TIDIG_COMP_CNT: 0
; COMPUTE_PGM_RSRC3_GFX90A:ACCUM_OFFSET: 4
; COMPUTE_PGM_RSRC3_GFX90A:TG_SPLIT: 0
	.section	.text._ZL33flash_attn_stream_k_fixup_generalILi112ELi2ELi1EEvPfPK15HIP_vector_typeIfLj2EEiiiiS1_IjLj3EES5_S5_S5_,"axG",@progbits,_ZL33flash_attn_stream_k_fixup_generalILi112ELi2ELi1EEvPfPK15HIP_vector_typeIfLj2EEiiiiS1_IjLj3EES5_S5_S5_,comdat
	.globl	_ZL33flash_attn_stream_k_fixup_generalILi112ELi2ELi1EEvPfPK15HIP_vector_typeIfLj2EEiiiiS1_IjLj3EES5_S5_S5_ ; -- Begin function _ZL33flash_attn_stream_k_fixup_generalILi112ELi2ELi1EEvPfPK15HIP_vector_typeIfLj2EEiiiiS1_IjLj3EES5_S5_S5_
	.p2align	8
	.type	_ZL33flash_attn_stream_k_fixup_generalILi112ELi2ELi1EEvPfPK15HIP_vector_typeIfLj2EEiiiiS1_IjLj3EES5_S5_S5_,@function
_ZL33flash_attn_stream_k_fixup_generalILi112ELi2ELi1EEvPfPK15HIP_vector_typeIfLj2EEiiiiS1_IjLj3EES5_S5_S5_: ; @_ZL33flash_attn_stream_k_fixup_generalILi112ELi2ELi1EEvPfPK15HIP_vector_typeIfLj2EEiiiiS1_IjLj3EES5_S5_S5_
; %bb.0:
	s_load_dwordx4 s[8:11], s[0:1], 0x10
	s_load_dword s22, s[0:1], 0x50
	s_mov_b32 s12, 0
	s_waitcnt lgkmcnt(0)
	s_mul_hi_i32 s13, s11, s2
	s_cmp_lg_u64 s[12:13], 0
	s_mul_i32 s5, s11, s2
	s_cbranch_scc0 .LBB70_20
; %bb.1:
	s_add_u32 s6, s22, 0
	s_addc_u32 s7, 0, 0
	s_xor_b64 s[6:7], s[6:7], 0
	v_cvt_f32_u32_e32 v1, s6
	v_cvt_f32_u32_e32 v2, s7
	s_sub_u32 s12, 0, s6
	s_subb_u32 s18, 0, s7
	v_fmamk_f32 v1, v2, 0x4f800000, v1
	v_rcp_f32_e32 v1, v1
	s_nop 0
	v_mul_f32_e32 v1, 0x5f7ffffc, v1
	v_mul_f32_e32 v2, 0x2f800000, v1
	v_trunc_f32_e32 v2, v2
	v_fmamk_f32 v1, v2, 0xcf800000, v1
	v_cvt_u32_f32_e32 v2, v2
	v_cvt_u32_f32_e32 v1, v1
	v_readfirstlane_b32 s19, v2
	v_readfirstlane_b32 s14, v1
	s_mul_i32 s15, s12, s19
	s_mul_hi_u32 s21, s12, s14
	s_mul_i32 s20, s18, s14
	s_add_i32 s15, s21, s15
	s_add_i32 s15, s15, s20
	s_mul_i32 s23, s12, s14
	s_mul_i32 s21, s14, s15
	s_mul_hi_u32 s24, s14, s23
	s_mul_hi_u32 s20, s14, s15
	s_add_u32 s21, s24, s21
	s_addc_u32 s20, 0, s20
	s_mul_hi_u32 s25, s19, s23
	s_mul_i32 s23, s19, s23
	s_add_u32 s21, s21, s23
	s_mul_hi_u32 s24, s19, s15
	s_addc_u32 s20, s20, s25
	s_addc_u32 s21, s24, 0
	s_mul_i32 s15, s19, s15
	s_add_u32 s15, s20, s15
	s_addc_u32 s20, 0, s21
	s_add_u32 s21, s14, s15
	s_cselect_b64 s[14:15], -1, 0
	s_cmp_lg_u64 s[14:15], 0
	s_addc_u32 s19, s19, s20
	s_mul_i32 s14, s12, s19
	s_mul_hi_u32 s15, s12, s21
	s_add_i32 s14, s15, s14
	s_mul_i32 s18, s18, s21
	s_add_i32 s14, s14, s18
	s_mul_i32 s12, s12, s21
	s_mul_hi_u32 s18, s19, s12
	s_mul_i32 s20, s19, s12
	s_mul_i32 s24, s21, s14
	s_mul_hi_u32 s12, s21, s12
	s_mul_hi_u32 s23, s21, s14
	s_add_u32 s12, s12, s24
	s_addc_u32 s23, 0, s23
	s_add_u32 s12, s12, s20
	s_mul_hi_u32 s15, s19, s14
	s_addc_u32 s12, s23, s18
	s_addc_u32 s15, s15, 0
	s_mul_i32 s14, s19, s14
	s_add_u32 s12, s12, s14
	s_addc_u32 s18, 0, s15
	s_add_u32 s20, s21, s12
	s_cselect_b64 s[14:15], -1, 0
	s_cmp_lg_u64 s[14:15], 0
	s_addc_u32 s18, s19, s18
	s_ashr_i32 s14, s13, 31
	s_add_u32 s12, s5, s14
	s_mov_b32 s15, s14
	s_addc_u32 s13, s13, s14
	s_xor_b64 s[12:13], s[12:13], s[14:15]
	s_mul_i32 s21, s12, s18
	s_mul_hi_u32 s23, s12, s20
	s_mul_hi_u32 s19, s12, s18
	s_add_u32 s21, s23, s21
	s_addc_u32 s19, 0, s19
	s_mul_hi_u32 s24, s13, s20
	s_mul_i32 s20, s13, s20
	s_add_u32 s20, s21, s20
	s_mul_hi_u32 s23, s13, s18
	s_addc_u32 s19, s19, s24
	s_addc_u32 s20, s23, 0
	s_mul_i32 s18, s13, s18
	s_add_u32 s23, s19, s18
	s_addc_u32 s24, 0, s20
	s_mul_i32 s18, s6, s24
	s_mul_hi_u32 s19, s6, s23
	s_add_i32 s18, s19, s18
	s_mul_i32 s19, s7, s23
	s_add_i32 s25, s18, s19
	s_sub_i32 s20, s13, s25
	s_mul_i32 s18, s6, s23
	s_sub_u32 s12, s12, s18
	s_cselect_b64 s[18:19], -1, 0
	s_cmp_lg_u64 s[18:19], 0
	s_subb_u32 s26, s20, s7
	s_sub_u32 s27, s12, s6
	s_cselect_b64 s[20:21], -1, 0
	s_cmp_lg_u64 s[20:21], 0
	s_subb_u32 s20, s26, 0
	s_cmp_ge_u32 s20, s7
	s_cselect_b32 s21, -1, 0
	s_cmp_ge_u32 s27, s6
	s_cselect_b32 s26, -1, 0
	s_cmp_eq_u32 s20, s7
	s_cselect_b32 s20, s26, s21
	s_add_u32 s21, s23, 1
	s_addc_u32 s26, s24, 0
	s_add_u32 s27, s23, 2
	s_addc_u32 s28, s24, 0
	s_cmp_lg_u32 s20, 0
	s_cselect_b32 s20, s27, s21
	s_cselect_b32 s21, s28, s26
	s_cmp_lg_u64 s[18:19], 0
	s_subb_u32 s13, s13, s25
	s_cmp_ge_u32 s13, s7
	s_cselect_b32 s18, -1, 0
	s_cmp_ge_u32 s12, s6
	s_cselect_b32 s6, -1, 0
	s_cmp_eq_u32 s13, s7
	s_cselect_b32 s6, s6, s18
	s_cmp_lg_u32 s6, 0
	s_cselect_b32 s7, s21, s24
	s_cselect_b32 s6, s20, s23
	s_xor_b64 s[12:13], s[14:15], 0
	s_xor_b64 s[6:7], s[6:7], s[12:13]
	s_sub_u32 s6, s6, s12
	s_load_dwordx4 s[12:15], s[0:1], 0x44
	s_cbranch_execnz .LBB70_3
.LBB70_2:
	v_cvt_f32_u32_e32 v1, s22
	s_sub_i32 s6, 0, s22
	v_rcp_iflag_f32_e32 v1, v1
	s_nop 0
	v_mul_f32_e32 v1, 0x4f7ffffe, v1
	v_cvt_u32_f32_e32 v1, v1
	s_nop 0
	v_readfirstlane_b32 s7, v1
	s_mul_i32 s6, s6, s7
	s_mul_hi_u32 s6, s7, s6
	s_add_i32 s7, s7, s6
	s_mul_hi_u32 s6, s5, s7
	s_waitcnt lgkmcnt(0)
	s_mul_i32 s15, s6, s22
	s_sub_i32 s5, s5, s15
	s_add_i32 s7, s6, 1
	s_sub_i32 s15, s5, s22
	s_cmp_ge_u32 s5, s22
	s_cselect_b32 s6, s7, s6
	s_cselect_b32 s5, s15, s5
	s_add_i32 s7, s6, 1
	s_cmp_ge_u32 s5, s22
	s_cselect_b32 s6, s7, s6
.LBB70_3:
	s_add_i32 s5, s2, 1
	s_mul_hi_i32 s21, s11, s5
	s_mov_b32 s20, 0
	s_cmp_lg_u64 s[20:21], 0
	s_mul_i32 s5, s11, s5
	s_cbranch_scc0 .LBB70_21
; %bb.4:
	s_add_u32 s16, s22, 0
	s_addc_u32 s17, 0, 0
	s_xor_b64 s[18:19], s[16:17], 0
	v_cvt_f32_u32_e32 v1, s18
	v_cvt_f32_u32_e32 v2, s19
	s_sub_u32 s7, 0, s18
	s_waitcnt lgkmcnt(0)
	s_subb_u32 s15, 0, s19
	v_fmamk_f32 v1, v2, 0x4f800000, v1
	v_rcp_f32_e32 v1, v1
	s_nop 0
	v_mul_f32_e32 v1, 0x5f7ffffc, v1
	v_mul_f32_e32 v2, 0x2f800000, v1
	v_trunc_f32_e32 v2, v2
	v_fmamk_f32 v1, v2, 0xcf800000, v1
	v_cvt_u32_f32_e32 v2, v2
	v_cvt_u32_f32_e32 v1, v1
	v_readfirstlane_b32 s20, v2
	v_readfirstlane_b32 s23, v1
	s_mul_i32 s24, s7, s20
	s_mul_hi_u32 s26, s7, s23
	s_mul_i32 s25, s15, s23
	s_add_i32 s24, s26, s24
	s_add_i32 s24, s24, s25
	s_mul_i32 s27, s7, s23
	s_mul_i32 s26, s23, s24
	s_mul_hi_u32 s28, s23, s27
	s_mul_hi_u32 s25, s23, s24
	s_add_u32 s26, s28, s26
	s_addc_u32 s25, 0, s25
	s_mul_hi_u32 s29, s20, s27
	s_mul_i32 s27, s20, s27
	s_add_u32 s26, s26, s27
	s_mul_hi_u32 s28, s20, s24
	s_addc_u32 s25, s25, s29
	s_addc_u32 s26, s28, 0
	s_mul_i32 s24, s20, s24
	s_add_u32 s24, s25, s24
	s_addc_u32 s26, 0, s26
	s_add_u32 s23, s23, s24
	s_cselect_b64 s[24:25], -1, 0
	s_cmp_lg_u64 s[24:25], 0
	s_addc_u32 s20, s20, s26
	s_mul_i32 s24, s7, s20
	s_mul_hi_u32 s25, s7, s23
	s_add_i32 s24, s25, s24
	s_mul_i32 s15, s15, s23
	s_add_i32 s24, s24, s15
	s_mul_i32 s7, s7, s23
	s_mul_hi_u32 s25, s20, s7
	s_mul_i32 s26, s20, s7
	s_mul_i32 s28, s23, s24
	s_mul_hi_u32 s7, s23, s7
	s_mul_hi_u32 s27, s23, s24
	s_add_u32 s7, s7, s28
	s_addc_u32 s27, 0, s27
	s_add_u32 s7, s7, s26
	s_mul_hi_u32 s15, s20, s24
	s_addc_u32 s7, s27, s25
	s_addc_u32 s15, s15, 0
	s_mul_i32 s24, s20, s24
	s_add_u32 s7, s7, s24
	s_addc_u32 s15, 0, s15
	s_add_u32 s7, s23, s7
	s_cselect_b64 s[24:25], -1, 0
	s_cmp_lg_u64 s[24:25], 0
	s_addc_u32 s15, s20, s15
	s_ashr_i32 s24, s21, 31
	s_add_u32 s20, s5, s24
	s_mov_b32 s25, s24
	s_addc_u32 s21, s21, s24
	s_xor_b64 s[20:21], s[20:21], s[24:25]
	s_mul_i32 s26, s20, s15
	s_mul_hi_u32 s27, s20, s7
	s_mul_hi_u32 s23, s20, s15
	s_add_u32 s26, s27, s26
	s_addc_u32 s23, 0, s23
	s_mul_hi_u32 s28, s21, s7
	s_mul_i32 s7, s21, s7
	s_add_u32 s7, s26, s7
	s_mul_hi_u32 s27, s21, s15
	s_addc_u32 s7, s23, s28
	s_addc_u32 s23, s27, 0
	s_mul_i32 s15, s21, s15
	s_add_u32 s7, s7, s15
	s_addc_u32 s15, 0, s23
	s_mul_i32 s23, s18, s15
	s_mul_hi_u32 s26, s18, s7
	s_add_i32 s23, s26, s23
	s_mul_i32 s26, s19, s7
	s_add_i32 s23, s23, s26
	s_sub_i32 s28, s21, s23
	s_mul_i32 s26, s18, s7
	s_sub_u32 s20, s20, s26
	s_cselect_b64 s[26:27], -1, 0
	s_cmp_lg_u64 s[26:27], 0
	s_subb_u32 s30, s28, s19
	s_sub_u32 s31, s20, s18
	s_cselect_b64 s[28:29], -1, 0
	s_cmp_lg_u64 s[28:29], 0
	s_subb_u32 s28, s30, 0
	s_cmp_ge_u32 s28, s19
	s_cselect_b32 s29, -1, 0
	s_cmp_ge_u32 s31, s18
	s_cselect_b32 s30, -1, 0
	s_cmp_eq_u32 s28, s19
	s_cselect_b32 s28, s30, s29
	s_add_u32 s29, s7, 1
	s_addc_u32 s30, s15, 0
	s_add_u32 s31, s7, 2
	s_addc_u32 s33, s15, 0
	s_cmp_lg_u32 s28, 0
	s_cselect_b32 s28, s31, s29
	s_cselect_b32 s29, s33, s30
	s_cmp_lg_u64 s[26:27], 0
	s_subb_u32 s21, s21, s23
	s_cmp_ge_u32 s21, s19
	s_cselect_b32 s23, -1, 0
	s_cmp_ge_u32 s20, s18
	s_cselect_b32 s18, -1, 0
	s_cmp_eq_u32 s21, s19
	s_cselect_b32 s18, s18, s23
	s_cmp_lg_u32 s18, 0
	s_cselect_b32 s19, s29, s15
	s_cselect_b32 s18, s28, s7
	s_xor_b64 s[20:21], s[24:25], 0
	s_xor_b64 s[18:19], s[18:19], s[20:21]
	s_sub_u32 s18, s18, s20
	s_cbranch_execnz .LBB70_6
.LBB70_5:
	v_cvt_f32_u32_e32 v1, s22
	s_sub_i32 s7, 0, s22
	v_rcp_iflag_f32_e32 v1, v1
	s_nop 0
	v_mul_f32_e32 v1, 0x4f7ffffe, v1
	v_cvt_u32_f32_e32 v1, v1
	s_waitcnt lgkmcnt(0)
	v_readfirstlane_b32 s15, v1
	s_mul_i32 s7, s7, s15
	s_mul_hi_u32 s7, s15, s7
	s_add_i32 s15, s15, s7
	s_mul_hi_u32 s7, s5, s15
	s_mul_i32 s16, s7, s22
	s_sub_i32 s5, s5, s16
	s_add_i32 s15, s7, 1
	s_sub_i32 s16, s5, s22
	s_cmp_ge_u32 s5, s22
	s_cselect_b32 s7, s15, s7
	s_cselect_b32 s5, s16, s5
	s_add_i32 s15, s7, 1
	s_cmp_ge_u32 s5, s22
	s_cselect_b32 s18, s15, s7
.LBB70_6:
	s_cmp_eq_u32 s6, s18
	s_waitcnt lgkmcnt(0)
	s_mul_hi_u32 s5, s6, s12
	s_cselect_b64 s[16:17], -1, 0
	s_add_i32 s5, s5, s6
	s_lshr_b32 s7, s5, s13
	s_mul_i32 s5, s7, s14
	s_cmp_eq_u32 s5, s6
	s_mul_hi_u32 s5, s18, s12
	s_cselect_b64 s[20:21], -1, 0
	s_add_i32 s5, s5, s18
	s_lshr_b32 s5, s5, s13
	s_cmp_eq_u32 s7, s5
	s_mul_i32 s5, s5, s14
	s_cselect_b64 s[24:25], -1, 0
	s_cmp_lg_u32 s5, s18
	s_cselect_b64 s[18:19], -1, 0
	s_and_b64 s[18:19], s[24:25], s[18:19]
	s_or_b64 s[16:17], s[16:17], s[20:21]
	s_or_b64 s[16:17], s[16:17], s[18:19]
	s_and_b64 vcc, exec, s[16:17]
	s_cbranch_vccnz .LBB70_23
; %bb.7:
	s_load_dwordx8 s[24:31], s[0:1], 0x20
	s_load_dword s5, s[0:1], 0x40
	s_waitcnt lgkmcnt(0)
	s_mul_hi_u32 s15, s6, s24
	s_add_i32 s15, s15, s6
	s_lshr_b32 s20, s15, s25
	s_mul_i32 s15, s20, s26
	s_sub_i32 s15, s6, s15
	s_mul_hi_u32 s16, s15, s27
	s_add_i32 s16, s15, s16
	s_lshr_b32 s21, s16, s28
	s_mul_i32 s16, s21, s29
	s_sub_i32 s15, s15, s16
	;; [unrolled: 5-line block ×3, first 2 shown]
	s_mul_hi_u32 s15, s5, s12
	s_add_i32 s5, s5, s15
	s_lshr_b32 s23, s5, s13
	s_lshl_b32 s5, s23, 1
	s_add_i32 s5, s5, s3
	s_cmp_lt_i32 s5, s8
	s_cselect_b64 s[16:17], -1, 0
	s_add_i32 s24, s24, s4
	s_cmp_lt_i32 s24, s10
	s_cselect_b64 s[18:19], -1, 0
	s_and_b64 s[16:17], s[16:17], s[18:19]
	s_andn2_b64 vcc, exec, s[16:17]
	s_cbranch_vccnz .LBB70_23
; %bb.8:
	s_load_dwordx4 s[16:19], s[0:1], 0x0
	s_mov_b32 s0, 0
	s_add_i32 s15, s3, s4
	s_lshl_b32 s4, s22, 3
	s_mov_b32 s5, s0
	s_lshl_b64 s[4:5], s[4:5], 2
	s_waitcnt lgkmcnt(0)
	s_add_u32 s4, s18, s4
	s_mul_i32 s1, s20, s8
	s_addc_u32 s5, s19, s5
	s_mul_i32 s21, s21, s10
	s_add_i32 s1, s1, s3
	s_mul_i32 s1, s1, s9
	s_add_i32 s3, s24, s21
	;; [unrolled: 2-line block ×3, first 2 shown]
	s_mulk_i32 s8, 0xe0
	s_mulk_i32 s1, 0x70
	s_add_i32 s8, s8, s1
	v_add_u32_e32 v4, s8, v0
	v_mov_b32_e32 v2, s16
	v_mov_b32_e32 v3, s17
	v_ashrrev_i32_e32 v5, 31, v4
	v_lshl_add_u64 v[2:3], v[4:5], 2, v[2:3]
	global_load_dword v1, v[2:3], off
	v_cvt_f32_u32_e32 v4, s22
	s_lshl_b32 s1, s2, 1
	s_add_i32 s8, s1, s15
	s_ashr_i32 s9, s8, 31
	s_lshl_b64 s[8:9], s[8:9], 3
	v_rcp_iflag_f32_e32 v4, v4
	s_add_u32 s8, s18, s8
	s_addc_u32 s9, s19, s9
	s_load_dwordx2 s[8:9], s[8:9], 0x0
	v_mul_f32_e32 v4, 0x4f7ffffe, v4
	v_cvt_u32_f32_e32 v7, v4
	s_mul_i32 s1, s15, 0x70
	s_add_i32 s21, s2, -1
	v_add_u32_e32 v6, s1, v0
	s_waitcnt lgkmcnt(0)
	v_mov_b32_e32 v0, s9
	v_mov_b32_e32 v9, s8
	s_mov_b32 s10, 0x3fb8aa3b
	s_mov_b32 s20, 0xc2ce8ed0
	;; [unrolled: 1-line block ×4, first 2 shown]
	v_mov_b32_e32 v8, 0x7f800000
	s_mul_hi_i32 s1, s21, s11
	s_cmp_lg_u64 s[0:1], 0
	s_mul_i32 s16, s21, s11
	s_cbranch_scc0 .LBB70_19
.LBB70_9:
	s_add_u32 s2, s22, 0
	s_addc_u32 s3, 0, 0
	s_xor_b64 s[2:3], s[2:3], 0
	v_cvt_f32_u32_e32 v4, s2
	v_cvt_f32_u32_e32 v5, s3
	s_sub_u32 s17, 0, s2
	s_subb_u32 s25, 0, s3
	v_fmac_f32_e32 v4, 0x4f800000, v5
	v_rcp_f32_e32 v4, v4
	s_nop 0
	v_mul_f32_e32 v4, 0x5f7ffffc, v4
	v_mul_f32_e32 v5, 0x2f800000, v4
	v_trunc_f32_e32 v5, v5
	v_fmac_f32_e32 v4, 0xcf800000, v5
	v_cvt_u32_f32_e32 v5, v5
	v_cvt_u32_f32_e32 v4, v4
	v_readfirstlane_b32 s26, v5
	v_readfirstlane_b32 s8, v4
	s_mul_i32 s9, s17, s26
	s_mul_hi_u32 s28, s17, s8
	s_mul_i32 s27, s25, s8
	s_add_i32 s9, s28, s9
	s_mul_i32 s29, s17, s8
	s_add_i32 s9, s9, s27
	s_mul_i32 s28, s8, s9
	s_mul_hi_u32 s30, s8, s29
	s_mul_hi_u32 s27, s8, s9
	s_add_u32 s28, s30, s28
	s_addc_u32 s27, 0, s27
	s_mul_hi_u32 s31, s26, s29
	s_mul_i32 s29, s26, s29
	s_add_u32 s28, s28, s29
	s_mul_hi_u32 s30, s26, s9
	s_addc_u32 s27, s27, s31
	s_addc_u32 s28, s30, 0
	s_mul_i32 s9, s26, s9
	s_add_u32 s9, s27, s9
	s_addc_u32 s27, 0, s28
	s_add_u32 s28, s8, s9
	s_cselect_b64 s[8:9], -1, 0
	s_cmp_lg_u64 s[8:9], 0
	s_addc_u32 s26, s26, s27
	s_mul_i32 s8, s17, s26
	s_mul_hi_u32 s9, s17, s28
	s_add_i32 s8, s9, s8
	s_mul_i32 s25, s25, s28
	s_add_i32 s8, s8, s25
	s_mul_i32 s17, s17, s28
	s_mul_hi_u32 s25, s26, s17
	s_mul_i32 s27, s26, s17
	s_mul_i32 s30, s28, s8
	s_mul_hi_u32 s17, s28, s17
	s_mul_hi_u32 s29, s28, s8
	s_add_u32 s17, s17, s30
	s_addc_u32 s29, 0, s29
	s_add_u32 s17, s17, s27
	s_mul_hi_u32 s9, s26, s8
	s_addc_u32 s17, s29, s25
	s_addc_u32 s9, s9, 0
	s_mul_i32 s8, s26, s8
	s_add_u32 s8, s17, s8
	s_addc_u32 s17, 0, s9
	s_add_u32 s25, s28, s8
	s_cselect_b64 s[8:9], -1, 0
	s_cmp_lg_u64 s[8:9], 0
	s_addc_u32 s17, s26, s17
	s_ashr_i32 s8, s1, 31
	s_add_u32 s26, s16, s8
	s_mov_b32 s9, s8
	s_addc_u32 s27, s1, s8
	s_xor_b64 s[26:27], s[26:27], s[8:9]
	s_mul_i32 s28, s26, s17
	s_mul_hi_u32 s29, s26, s25
	s_mul_hi_u32 s1, s26, s17
	s_add_u32 s28, s29, s28
	s_addc_u32 s1, 0, s1
	s_mul_hi_u32 s30, s27, s25
	s_mul_i32 s25, s27, s25
	s_add_u32 s25, s28, s25
	s_mul_hi_u32 s29, s27, s17
	s_addc_u32 s1, s1, s30
	s_addc_u32 s25, s29, 0
	s_mul_i32 s17, s27, s17
	s_add_u32 s1, s1, s17
	s_addc_u32 s17, 0, s25
	s_mul_i32 s25, s2, s17
	s_mul_hi_u32 s28, s2, s1
	s_add_i32 s25, s28, s25
	s_mul_i32 s28, s3, s1
	s_add_i32 s25, s25, s28
	s_sub_i32 s30, s27, s25
	s_mul_i32 s28, s2, s1
	s_sub_u32 s26, s26, s28
	s_cselect_b64 s[28:29], -1, 0
	s_cmp_lg_u64 s[28:29], 0
	s_subb_u32 s33, s30, s3
	s_sub_u32 s34, s26, s2
	s_cselect_b64 s[30:31], -1, 0
	s_cmp_lg_u64 s[30:31], 0
	s_subb_u32 s30, s33, 0
	s_cmp_ge_u32 s30, s3
	s_cselect_b32 s31, -1, 0
	s_cmp_ge_u32 s34, s2
	s_cselect_b32 s33, -1, 0
	s_cmp_eq_u32 s30, s3
	s_cselect_b32 s30, s33, s31
	s_add_u32 s31, s1, 1
	s_addc_u32 s33, s17, 0
	s_add_u32 s34, s1, 2
	s_addc_u32 s35, s17, 0
	s_cmp_lg_u32 s30, 0
	s_cselect_b32 s30, s34, s31
	s_cselect_b32 s31, s35, s33
	s_cmp_lg_u64 s[28:29], 0
	s_subb_u32 s25, s27, s25
	s_cmp_ge_u32 s25, s3
	s_cselect_b32 s27, -1, 0
	s_cmp_ge_u32 s26, s2
	s_cselect_b32 s2, -1, 0
	s_cmp_eq_u32 s25, s3
	s_cselect_b32 s2, s2, s27
	s_cmp_lg_u32 s2, 0
	s_cselect_b32 s3, s31, s17
	s_cselect_b32 s2, s30, s1
	s_xor_b64 s[8:9], s[8:9], 0
	s_xor_b64 s[2:3], s[2:3], s[8:9]
	s_sub_u32 s8, s2, s8
	s_cbranch_execnz .LBB70_11
.LBB70_10:
	s_sub_i32 s1, 0, s22
	v_readfirstlane_b32 s2, v7
	s_mul_i32 s1, s1, s2
	s_mul_hi_u32 s1, s2, s1
	s_add_i32 s2, s2, s1
	s_mul_hi_u32 s1, s16, s2
	s_mul_i32 s3, s1, s22
	s_sub_i32 s3, s16, s3
	s_add_i32 s2, s1, 1
	s_sub_i32 s8, s3, s22
	s_cmp_ge_u32 s3, s22
	s_cselect_b32 s1, s2, s1
	s_cselect_b32 s3, s8, s3
	s_add_i32 s2, s1, 1
	s_cmp_ge_u32 s3, s22
	s_cselect_b32 s8, s2, s1
.LBB70_11:
	s_cmp_lg_u32 s6, s8
	s_cbranch_scc0 .LBB70_15
; %bb.12:
	s_add_i32 s1, s21, s22
	s_lshl_b32 s1, s1, 1
	s_add_i32 s2, s1, s15
	s_mov_b32 s3, s0
	s_lshl_b64 s[2:3], s[2:3], 3
	s_add_u32 s16, s18, s2
	s_mul_hi_u32 s1, s8, s12
	s_addc_u32 s17, s19, s3
	s_add_i32 s1, s1, s8
	s_lshr_b32 s1, s1, s13
	s_mul_i32 s2, s1, s14
	s_cmp_eq_u32 s2, s8
	s_cselect_b64 s[2:3], -1, 0
	s_cmp_lt_u32 s1, s7
	s_cselect_b64 s[26:27], -1, 0
	s_or_b64 s[26:27], s[26:27], s[2:3]
	s_mov_b64 s[2:3], -1
	s_and_b64 vcc, exec, s[26:27]
	s_mov_b32 s1, s21
	s_mov_b32 s25, s6
	s_cbranch_vccnz .LBB70_14
; %bb.13:
	s_add_i32 s1, s21, -1
	s_mov_b64 s[2:3], 0
	s_mov_b32 s25, s8
.LBB70_14:
	s_mul_i32 s8, s21, 0xe0
	v_add_u32_e32 v4, s8, v6
	v_ashrrev_i32_e32 v5, 31, v4
	v_lshl_add_u64 v[4:5], v[4:5], 2, s[4:5]
	global_load_dword v5, v[4:5], off
	s_load_dwordx2 s[8:9], s[16:17], 0x0
	v_max_f32_e32 v4, v9, v9
	s_waitcnt lgkmcnt(0)
	v_max_f32_e64 v10, s8, s8
	v_max_f32_e32 v10, v4, v10
	v_sub_f32_e32 v11, v9, v10
	v_sub_f32_e32 v13, s8, v10
	v_mul_f32_e32 v4, 0x3fb8aa3b, v11
	v_mul_f32_e32 v12, 0x3fb8aa3b, v13
	v_fma_f32 v14, v11, s10, -v4
	v_rndne_f32_e32 v15, v4
	v_fma_f32 v16, v13, s10, -v12
	v_rndne_f32_e32 v17, v12
	v_fmac_f32_e32 v14, 0x32a5705f, v11
	v_sub_f32_e32 v4, v4, v15
	v_fmac_f32_e32 v16, 0x32a5705f, v13
	v_sub_f32_e32 v12, v12, v17
	v_add_f32_e32 v4, v4, v14
	v_cvt_i32_f32_e32 v15, v15
	v_add_f32_e32 v12, v12, v16
	v_exp_f32_e32 v14, v4
	v_cvt_i32_f32_e32 v17, v17
	v_exp_f32_e32 v12, v12
	v_cmp_ngt_f32_e32 vcc, s20, v11
	v_ldexp_f32 v14, v14, v15
	v_mov_b32_e32 v4, s9
	v_ldexp_f32 v12, v12, v17
	v_cndmask_b32_e32 v14, 0, v14, vcc
	v_cmp_ngt_f32_e32 vcc, s20, v13
	s_nop 1
	v_cndmask_b32_e32 v12, 0, v12, vcc
	v_cmp_nlt_f32_e32 vcc, s23, v11
	s_nop 1
	v_cndmask_b32_e32 v14, v8, v14, vcc
	v_cmp_nlt_f32_e32 vcc, s23, v13
	s_nop 1
	v_cndmask_b32_e32 v15, v8, v12, vcc
	v_cmp_le_f32_e32 vcc, s24, v11
	s_nop 1
	v_cndmask_b32_e32 v12, 0, v14, vcc
	v_cmp_le_f32_e32 vcc, s24, v13
	s_nop 1
	v_cndmask_b32_e32 v14, 0, v15, vcc
	s_waitcnt vmcnt(0)
	v_pk_mul_f32 v[4:5], v[4:5], v[14:15] op_sel_hi:[1,0]
	s_nop 0
	v_pk_fma_f32 v[4:5], v[0:1], v[12:13], v[4:5] op_sel_hi:[1,0,1]
	s_cbranch_execz .LBB70_16
	s_branch .LBB70_17
.LBB70_15:
                                        ; implicit-def: $vgpr4_vgpr5
                                        ; implicit-def: $sgpr2_sgpr3
                                        ; implicit-def: $vgpr10
                                        ; implicit-def: $sgpr1
                                        ; implicit-def: $sgpr25
.LBB70_16:
	s_add_i32 s1, s21, -1
	s_mov_b64 s[2:3], 0
	s_mov_b32 s25, s6
	v_mov_b32_e32 v10, v9
	s_waitcnt vmcnt(0)
	v_mov_b64_e32 v[4:5], v[0:1]
.LBB70_17:
	s_andn2_b64 vcc, exec, s[2:3]
	s_cbranch_vccz .LBB70_22
; %bb.18:
	s_mov_b32 s6, s25
	s_mov_b32 s21, s1
	v_mov_b32_e32 v9, v10
	s_waitcnt vmcnt(0)
	v_mov_b64_e32 v[0:1], v[4:5]
	s_mul_hi_i32 s1, s21, s11
	s_cmp_lg_u64 s[0:1], 0
	s_mul_i32 s16, s21, s11
	s_cbranch_scc1 .LBB70_9
.LBB70_19:
                                        ; implicit-def: $sgpr8_sgpr9
	s_branch .LBB70_10
.LBB70_20:
                                        ; implicit-def: $sgpr6_sgpr7
	s_load_dwordx4 s[12:15], s[0:1], 0x44
	s_branch .LBB70_2
.LBB70_21:
                                        ; implicit-def: $sgpr18_sgpr19
	s_branch .LBB70_5
.LBB70_22:
	v_div_scale_f32 v0, s[0:1], v4, v4, v5
	s_waitcnt vmcnt(0)
	v_rcp_f32_e32 v1, v0
	v_div_scale_f32 v6, vcc, v5, v4, v5
	v_fma_f32 v7, -v0, v1, 1.0
	v_fmac_f32_e32 v1, v7, v1
	v_mul_f32_e32 v7, v6, v1
	v_fma_f32 v8, -v0, v7, v6
	v_fmac_f32_e32 v7, v8, v1
	v_fma_f32 v0, -v0, v7, v6
	v_div_fmas_f32 v0, v0, v1, v7
	v_div_fixup_f32 v0, v0, v4, v5
	global_store_dword v[2:3], v0, off
.LBB70_23:
	s_endpgm
	.section	.rodata,"a",@progbits
	.p2align	6, 0x0
	.amdhsa_kernel _ZL33flash_attn_stream_k_fixup_generalILi112ELi2ELi1EEvPfPK15HIP_vector_typeIfLj2EEiiiiS1_IjLj3EES5_S5_S5_
		.amdhsa_group_segment_fixed_size 0
		.amdhsa_private_segment_fixed_size 0
		.amdhsa_kernarg_size 336
		.amdhsa_user_sgpr_count 2
		.amdhsa_user_sgpr_dispatch_ptr 0
		.amdhsa_user_sgpr_queue_ptr 0
		.amdhsa_user_sgpr_kernarg_segment_ptr 1
		.amdhsa_user_sgpr_dispatch_id 0
		.amdhsa_user_sgpr_kernarg_preload_length 0
		.amdhsa_user_sgpr_kernarg_preload_offset 0
		.amdhsa_user_sgpr_private_segment_size 0
		.amdhsa_uses_dynamic_stack 0
		.amdhsa_enable_private_segment 0
		.amdhsa_system_sgpr_workgroup_id_x 1
		.amdhsa_system_sgpr_workgroup_id_y 1
		.amdhsa_system_sgpr_workgroup_id_z 1
		.amdhsa_system_sgpr_workgroup_info 0
		.amdhsa_system_vgpr_workitem_id 0
		.amdhsa_next_free_vgpr 18
		.amdhsa_next_free_sgpr 36
		.amdhsa_accum_offset 20
		.amdhsa_reserve_vcc 1
		.amdhsa_float_round_mode_32 0
		.amdhsa_float_round_mode_16_64 0
		.amdhsa_float_denorm_mode_32 3
		.amdhsa_float_denorm_mode_16_64 3
		.amdhsa_dx10_clamp 1
		.amdhsa_ieee_mode 1
		.amdhsa_fp16_overflow 0
		.amdhsa_tg_split 0
		.amdhsa_exception_fp_ieee_invalid_op 0
		.amdhsa_exception_fp_denorm_src 0
		.amdhsa_exception_fp_ieee_div_zero 0
		.amdhsa_exception_fp_ieee_overflow 0
		.amdhsa_exception_fp_ieee_underflow 0
		.amdhsa_exception_fp_ieee_inexact 0
		.amdhsa_exception_int_div_zero 0
	.end_amdhsa_kernel
	.section	.text._ZL33flash_attn_stream_k_fixup_generalILi112ELi2ELi1EEvPfPK15HIP_vector_typeIfLj2EEiiiiS1_IjLj3EES5_S5_S5_,"axG",@progbits,_ZL33flash_attn_stream_k_fixup_generalILi112ELi2ELi1EEvPfPK15HIP_vector_typeIfLj2EEiiiiS1_IjLj3EES5_S5_S5_,comdat
.Lfunc_end70:
	.size	_ZL33flash_attn_stream_k_fixup_generalILi112ELi2ELi1EEvPfPK15HIP_vector_typeIfLj2EEiiiiS1_IjLj3EES5_S5_S5_, .Lfunc_end70-_ZL33flash_attn_stream_k_fixup_generalILi112ELi2ELi1EEvPfPK15HIP_vector_typeIfLj2EEiiiiS1_IjLj3EES5_S5_S5_
                                        ; -- End function
	.set _ZL33flash_attn_stream_k_fixup_generalILi112ELi2ELi1EEvPfPK15HIP_vector_typeIfLj2EEiiiiS1_IjLj3EES5_S5_S5_.num_vgpr, 18
	.set _ZL33flash_attn_stream_k_fixup_generalILi112ELi2ELi1EEvPfPK15HIP_vector_typeIfLj2EEiiiiS1_IjLj3EES5_S5_S5_.num_agpr, 0
	.set _ZL33flash_attn_stream_k_fixup_generalILi112ELi2ELi1EEvPfPK15HIP_vector_typeIfLj2EEiiiiS1_IjLj3EES5_S5_S5_.numbered_sgpr, 36
	.set _ZL33flash_attn_stream_k_fixup_generalILi112ELi2ELi1EEvPfPK15HIP_vector_typeIfLj2EEiiiiS1_IjLj3EES5_S5_S5_.num_named_barrier, 0
	.set _ZL33flash_attn_stream_k_fixup_generalILi112ELi2ELi1EEvPfPK15HIP_vector_typeIfLj2EEiiiiS1_IjLj3EES5_S5_S5_.private_seg_size, 0
	.set _ZL33flash_attn_stream_k_fixup_generalILi112ELi2ELi1EEvPfPK15HIP_vector_typeIfLj2EEiiiiS1_IjLj3EES5_S5_S5_.uses_vcc, 1
	.set _ZL33flash_attn_stream_k_fixup_generalILi112ELi2ELi1EEvPfPK15HIP_vector_typeIfLj2EEiiiiS1_IjLj3EES5_S5_S5_.uses_flat_scratch, 0
	.set _ZL33flash_attn_stream_k_fixup_generalILi112ELi2ELi1EEvPfPK15HIP_vector_typeIfLj2EEiiiiS1_IjLj3EES5_S5_S5_.has_dyn_sized_stack, 0
	.set _ZL33flash_attn_stream_k_fixup_generalILi112ELi2ELi1EEvPfPK15HIP_vector_typeIfLj2EEiiiiS1_IjLj3EES5_S5_S5_.has_recursion, 0
	.set _ZL33flash_attn_stream_k_fixup_generalILi112ELi2ELi1EEvPfPK15HIP_vector_typeIfLj2EEiiiiS1_IjLj3EES5_S5_S5_.has_indirect_call, 0
	.section	.AMDGPU.csdata,"",@progbits
; Kernel info:
; codeLenInByte = 2936
; TotalNumSgprs: 42
; NumVgprs: 18
; NumAgprs: 0
; TotalNumVgprs: 18
; ScratchSize: 0
; MemoryBound: 0
; FloatMode: 240
; IeeeMode: 1
; LDSByteSize: 0 bytes/workgroup (compile time only)
; SGPRBlocks: 5
; VGPRBlocks: 2
; NumSGPRsForWavesPerEU: 42
; NumVGPRsForWavesPerEU: 18
; AccumOffset: 20
; Occupancy: 8
; WaveLimiterHint : 0
; COMPUTE_PGM_RSRC2:SCRATCH_EN: 0
; COMPUTE_PGM_RSRC2:USER_SGPR: 2
; COMPUTE_PGM_RSRC2:TRAP_HANDLER: 0
; COMPUTE_PGM_RSRC2:TGID_X_EN: 1
; COMPUTE_PGM_RSRC2:TGID_Y_EN: 1
; COMPUTE_PGM_RSRC2:TGID_Z_EN: 1
; COMPUTE_PGM_RSRC2:TIDIG_COMP_CNT: 0
; COMPUTE_PGM_RSRC3_GFX90A:ACCUM_OFFSET: 4
; COMPUTE_PGM_RSRC3_GFX90A:TG_SPLIT: 0
	.text
	.p2align	2                               ; -- Begin function __ockl_printf_append_string_n
	.type	__ockl_printf_append_string_n,@function
__ockl_printf_append_string_n:          ; @__ockl_printf_append_string_n
; %bb.0:
	s_waitcnt vmcnt(0) expcnt(0) lgkmcnt(0)
	s_getpc_b64 s[0:1]
	s_add_u32 s0, s0, __FUNCTION__._ZL15flash_attn_tileILi112ELi112ELi8ELi8ELb1EEvPKcS1_S1_S1_S1_PKiPfP15HIP_vector_typeIfLj2EEffffjfiS5_IjLj3EEiiiiiiiiiiiliiliiiiil@rel32@lo+4
	s_addc_u32 s1, s1, __FUNCTION__._ZL15flash_attn_tileILi112ELi112ELi8ELi8ELb1EEvPKcS1_S1_S1_S1_PKiPfP15HIP_vector_typeIfLj2EEffffjfiS5_IjLj3EEiiiiiiiiiiiliiliiiiil@rel32@hi+12
	v_mov_b32_e32 v2, v0
	s_mov_b64 s[2:3], 0
	s_cmp_lg_u64 s[0:1], 0
	v_mbcnt_lo_u32_b32 v3, -1, 0
	s_cbranch_scc0 .LBB71_87
; %bb.1:
	s_load_dwordx2 s[4:5], s[8:9], 0x50
	v_and_b32_e32 v0, -3, v2
	s_getpc_b64 s[0:1]
	s_add_u32 s0, s0, __FUNCTION__._ZL15flash_attn_tileILi112ELi112ELi8ELi8ELb1EEvPKcS1_S1_S1_S1_PKiPfP15HIP_vector_typeIfLj2EEffffjfiS5_IjLj3EEiiiiiiiiiiiliiliiiiil@rel32@lo+4
	s_addc_u32 s1, s1, __FUNCTION__._ZL15flash_attn_tileILi112ELi112ELi8ELi8ELb1EEvPKcS1_S1_S1_S1_PKiPfP15HIP_vector_typeIfLj2EEffffjfiS5_IjLj3EEiiiiiiiiiiiliiliiiiil@rel32@hi+12
	v_and_b32_e32 v30, 2, v2
	s_mov_b32 s16, 0
	v_mov_b32_e32 v33, 0
	v_mbcnt_hi_u32_b32 v34, -1, v3
	v_mov_b64_e32 v[36:37], s[0:1]
	s_movk_i32 s17, 0x1e0
	v_mov_b32_e32 v12, 2
	v_mov_b32_e32 v13, 1
	v_mov_b64_e32 v[6:7], v[0:1]
	s_branch .LBB71_3
.LBB71_2:                               ;   in Loop: Header=BB71_3 Depth=1
	s_or_b64 exec, exec, s[10:11]
	v_sub_co_u32_e32 v4, vcc, v4, v38
	v_lshl_add_u64 v[36:37], v[36:37], 0, v[38:39]
	s_nop 0
	v_subb_co_u32_e32 v5, vcc, v5, v39, vcc
	v_cmp_eq_u64_e32 vcc, 0, v[4:5]
	s_or_b64 s[2:3], vcc, s[2:3]
	s_andn2_b64 exec, exec, s[2:3]
	s_cbranch_execz .LBB71_85
.LBB71_3:                               ; =>This Loop Header: Depth=1
                                        ;     Child Loop BB71_6 Depth 2
                                        ;     Child Loop BB71_14 Depth 2
	;; [unrolled: 1-line block ×11, first 2 shown]
	v_cmp_gt_u64_e32 vcc, 56, v[4:5]
	v_lshl_add_u64 v[16:17], v[36:37], 0, 8
	s_nop 0
	v_cndmask_b32_e32 v39, 0, v5, vcc
	v_cndmask_b32_e32 v38, 56, v4, vcc
	v_cmp_gt_u64_e32 vcc, 8, v[4:5]
	s_and_saveexec_b64 s[0:1], vcc
	s_xor_b64 s[0:1], exec, s[0:1]
	s_cbranch_execz .LBB71_9
; %bb.4:                                ;   in Loop: Header=BB71_3 Depth=1
	v_mov_b64_e32 v[8:9], 0
	v_cmp_ne_u64_e32 vcc, 0, v[4:5]
	s_and_saveexec_b64 s[6:7], vcc
	s_cbranch_execz .LBB71_8
; %bb.5:                                ;   in Loop: Header=BB71_3 Depth=1
	v_lshlrev_b64 v[10:11], 3, v[38:39]
	s_mov_b64 s[10:11], 0
	v_mov_b64_e32 v[8:9], 0
	v_mov_b64_e32 v[14:15], v[36:37]
	s_mov_b64 s[12:13], 0
.LBB71_6:                               ;   Parent Loop BB71_3 Depth=1
                                        ; =>  This Inner Loop Header: Depth=2
	global_load_ubyte v0, v[14:15], off
	v_mov_b32_e32 v17, s16
	v_lshl_add_u64 v[14:15], v[14:15], 0, 1
	s_waitcnt vmcnt(0)
	v_and_b32_e32 v16, 0xffff, v0
	v_lshlrev_b64 v[16:17], s12, v[16:17]
	s_add_u32 s12, s12, 8
	s_addc_u32 s13, s13, 0
	v_cmp_eq_u32_e32 vcc, s12, v10
	v_or_b32_e32 v9, v17, v9
	s_or_b64 s[10:11], vcc, s[10:11]
	v_or_b32_e32 v8, v16, v8
	s_andn2_b64 exec, exec, s[10:11]
	s_cbranch_execnz .LBB71_6
; %bb.7:                                ;   in Loop: Header=BB71_3 Depth=1
	s_or_b64 exec, exec, s[10:11]
.LBB71_8:                               ;   in Loop: Header=BB71_3 Depth=1
	s_or_b64 exec, exec, s[6:7]
	v_mov_b64_e32 v[16:17], v[36:37]
.LBB71_9:                               ;   in Loop: Header=BB71_3 Depth=1
	s_or_saveexec_b64 s[0:1], s[0:1]
	v_mov_b32_e32 v0, 0
	s_xor_b64 exec, exec, s[0:1]
	s_cbranch_execz .LBB71_11
; %bb.10:                               ;   in Loop: Header=BB71_3 Depth=1
	global_load_dwordx2 v[8:9], v[36:37], off
	v_add_u32_e32 v0, -8, v38
.LBB71_11:                              ;   in Loop: Header=BB71_3 Depth=1
	s_or_b64 exec, exec, s[0:1]
	v_cmp_gt_u32_e32 vcc, 8, v0
	v_lshl_add_u64 v[10:11], v[16:17], 0, 8
                                        ; implicit-def: $vgpr14_vgpr15
	s_and_saveexec_b64 s[0:1], vcc
	s_xor_b64 s[0:1], exec, s[0:1]
	s_cbranch_execz .LBB71_17
; %bb.12:                               ;   in Loop: Header=BB71_3 Depth=1
	v_cmp_ne_u32_e32 vcc, 0, v0
	v_mov_b64_e32 v[14:15], 0
	s_and_saveexec_b64 s[6:7], vcc
	s_cbranch_execz .LBB71_16
; %bb.13:                               ;   in Loop: Header=BB71_3 Depth=1
	s_mov_b64 s[10:11], 0
	v_mov_b64_e32 v[14:15], 0
	s_mov_b64 s[12:13], 0
	s_mov_b64 s[14:15], 0
.LBB71_14:                              ;   Parent Loop BB71_3 Depth=1
                                        ; =>  This Inner Loop Header: Depth=2
	v_lshl_add_u64 v[10:11], v[16:17], 0, s[14:15]
	global_load_ubyte v10, v[10:11], off
	s_add_u32 s14, s14, 1
	v_mov_b32_e32 v11, s16
	s_addc_u32 s15, s15, 0
	v_cmp_eq_u32_e32 vcc, s14, v0
	s_waitcnt vmcnt(0)
	v_and_b32_e32 v10, 0xffff, v10
	v_lshlrev_b64 v[10:11], s12, v[10:11]
	s_add_u32 s12, s12, 8
	s_addc_u32 s13, s13, 0
	v_or_b32_e32 v15, v11, v15
	s_or_b64 s[10:11], vcc, s[10:11]
	v_or_b32_e32 v14, v10, v14
	s_andn2_b64 exec, exec, s[10:11]
	s_cbranch_execnz .LBB71_14
; %bb.15:                               ;   in Loop: Header=BB71_3 Depth=1
	s_or_b64 exec, exec, s[10:11]
.LBB71_16:                              ;   in Loop: Header=BB71_3 Depth=1
	s_or_b64 exec, exec, s[6:7]
	v_mov_b64_e32 v[10:11], v[16:17]
                                        ; implicit-def: $vgpr0
.LBB71_17:                              ;   in Loop: Header=BB71_3 Depth=1
	s_or_saveexec_b64 s[0:1], s[0:1]
	v_mov_b32_e32 v18, 0
	s_xor_b64 exec, exec, s[0:1]
	s_cbranch_execz .LBB71_19
; %bb.18:                               ;   in Loop: Header=BB71_3 Depth=1
	global_load_dwordx2 v[14:15], v[16:17], off
	v_add_u32_e32 v18, -8, v0
.LBB71_19:                              ;   in Loop: Header=BB71_3 Depth=1
	s_or_b64 exec, exec, s[0:1]
	v_cmp_gt_u32_e32 vcc, 8, v18
	v_lshl_add_u64 v[20:21], v[10:11], 0, 8
	s_and_saveexec_b64 s[0:1], vcc
	s_xor_b64 s[0:1], exec, s[0:1]
	s_cbranch_execz .LBB71_25
; %bb.20:                               ;   in Loop: Header=BB71_3 Depth=1
	v_cmp_ne_u32_e32 vcc, 0, v18
	v_mov_b64_e32 v[16:17], 0
	s_and_saveexec_b64 s[6:7], vcc
	s_cbranch_execz .LBB71_24
; %bb.21:                               ;   in Loop: Header=BB71_3 Depth=1
	s_mov_b64 s[10:11], 0
	v_mov_b64_e32 v[16:17], 0
	s_mov_b64 s[12:13], 0
	s_mov_b64 s[14:15], 0
.LBB71_22:                              ;   Parent Loop BB71_3 Depth=1
                                        ; =>  This Inner Loop Header: Depth=2
	v_lshl_add_u64 v[20:21], v[10:11], 0, s[14:15]
	global_load_ubyte v0, v[20:21], off
	s_add_u32 s14, s14, 1
	v_mov_b32_e32 v21, s16
	s_addc_u32 s15, s15, 0
	v_cmp_eq_u32_e32 vcc, s14, v18
	s_waitcnt vmcnt(0)
	v_and_b32_e32 v20, 0xffff, v0
	v_lshlrev_b64 v[20:21], s12, v[20:21]
	s_add_u32 s12, s12, 8
	s_addc_u32 s13, s13, 0
	v_or_b32_e32 v17, v21, v17
	s_or_b64 s[10:11], vcc, s[10:11]
	v_or_b32_e32 v16, v20, v16
	s_andn2_b64 exec, exec, s[10:11]
	s_cbranch_execnz .LBB71_22
; %bb.23:                               ;   in Loop: Header=BB71_3 Depth=1
	s_or_b64 exec, exec, s[10:11]
.LBB71_24:                              ;   in Loop: Header=BB71_3 Depth=1
	s_or_b64 exec, exec, s[6:7]
	v_mov_b64_e32 v[20:21], v[10:11]
                                        ; implicit-def: $vgpr18
.LBB71_25:                              ;   in Loop: Header=BB71_3 Depth=1
	s_or_saveexec_b64 s[0:1], s[0:1]
	v_mov_b32_e32 v0, 0
	s_xor_b64 exec, exec, s[0:1]
	s_cbranch_execz .LBB71_27
; %bb.26:                               ;   in Loop: Header=BB71_3 Depth=1
	global_load_dwordx2 v[16:17], v[10:11], off
	v_add_u32_e32 v0, -8, v18
.LBB71_27:                              ;   in Loop: Header=BB71_3 Depth=1
	s_or_b64 exec, exec, s[0:1]
	v_cmp_gt_u32_e32 vcc, 8, v0
	v_lshl_add_u64 v[10:11], v[20:21], 0, 8
                                        ; implicit-def: $vgpr18_vgpr19
	s_and_saveexec_b64 s[0:1], vcc
	s_xor_b64 s[0:1], exec, s[0:1]
	s_cbranch_execz .LBB71_33
; %bb.28:                               ;   in Loop: Header=BB71_3 Depth=1
	v_cmp_ne_u32_e32 vcc, 0, v0
	v_mov_b64_e32 v[18:19], 0
	s_and_saveexec_b64 s[6:7], vcc
	s_cbranch_execz .LBB71_32
; %bb.29:                               ;   in Loop: Header=BB71_3 Depth=1
	s_mov_b64 s[10:11], 0
	v_mov_b64_e32 v[18:19], 0
	s_mov_b64 s[12:13], 0
	s_mov_b64 s[14:15], 0
.LBB71_30:                              ;   Parent Loop BB71_3 Depth=1
                                        ; =>  This Inner Loop Header: Depth=2
	v_lshl_add_u64 v[10:11], v[20:21], 0, s[14:15]
	global_load_ubyte v10, v[10:11], off
	s_add_u32 s14, s14, 1
	v_mov_b32_e32 v11, s16
	s_addc_u32 s15, s15, 0
	v_cmp_eq_u32_e32 vcc, s14, v0
	s_waitcnt vmcnt(0)
	v_and_b32_e32 v10, 0xffff, v10
	v_lshlrev_b64 v[10:11], s12, v[10:11]
	s_add_u32 s12, s12, 8
	s_addc_u32 s13, s13, 0
	v_or_b32_e32 v19, v11, v19
	s_or_b64 s[10:11], vcc, s[10:11]
	v_or_b32_e32 v18, v10, v18
	s_andn2_b64 exec, exec, s[10:11]
	s_cbranch_execnz .LBB71_30
; %bb.31:                               ;   in Loop: Header=BB71_3 Depth=1
	s_or_b64 exec, exec, s[10:11]
.LBB71_32:                              ;   in Loop: Header=BB71_3 Depth=1
	s_or_b64 exec, exec, s[6:7]
	v_mov_b64_e32 v[10:11], v[20:21]
                                        ; implicit-def: $vgpr0
.LBB71_33:                              ;   in Loop: Header=BB71_3 Depth=1
	s_or_saveexec_b64 s[0:1], s[0:1]
	v_mov_b32_e32 v22, 0
	s_xor_b64 exec, exec, s[0:1]
	s_cbranch_execz .LBB71_35
; %bb.34:                               ;   in Loop: Header=BB71_3 Depth=1
	global_load_dwordx2 v[18:19], v[20:21], off
	v_add_u32_e32 v22, -8, v0
.LBB71_35:                              ;   in Loop: Header=BB71_3 Depth=1
	s_or_b64 exec, exec, s[0:1]
	v_cmp_gt_u32_e32 vcc, 8, v22
	v_lshl_add_u64 v[24:25], v[10:11], 0, 8
	s_and_saveexec_b64 s[0:1], vcc
	s_xor_b64 s[0:1], exec, s[0:1]
	s_cbranch_execz .LBB71_41
; %bb.36:                               ;   in Loop: Header=BB71_3 Depth=1
	v_cmp_ne_u32_e32 vcc, 0, v22
	v_mov_b64_e32 v[20:21], 0
	s_and_saveexec_b64 s[6:7], vcc
	s_cbranch_execz .LBB71_40
; %bb.37:                               ;   in Loop: Header=BB71_3 Depth=1
	s_mov_b64 s[10:11], 0
	v_mov_b64_e32 v[20:21], 0
	s_mov_b64 s[12:13], 0
	s_mov_b64 s[14:15], 0
.LBB71_38:                              ;   Parent Loop BB71_3 Depth=1
                                        ; =>  This Inner Loop Header: Depth=2
	v_lshl_add_u64 v[24:25], v[10:11], 0, s[14:15]
	global_load_ubyte v0, v[24:25], off
	s_add_u32 s14, s14, 1
	v_mov_b32_e32 v25, s16
	s_addc_u32 s15, s15, 0
	v_cmp_eq_u32_e32 vcc, s14, v22
	s_waitcnt vmcnt(0)
	v_and_b32_e32 v24, 0xffff, v0
	v_lshlrev_b64 v[24:25], s12, v[24:25]
	s_add_u32 s12, s12, 8
	s_addc_u32 s13, s13, 0
	v_or_b32_e32 v21, v25, v21
	s_or_b64 s[10:11], vcc, s[10:11]
	v_or_b32_e32 v20, v24, v20
	s_andn2_b64 exec, exec, s[10:11]
	s_cbranch_execnz .LBB71_38
; %bb.39:                               ;   in Loop: Header=BB71_3 Depth=1
	s_or_b64 exec, exec, s[10:11]
.LBB71_40:                              ;   in Loop: Header=BB71_3 Depth=1
	s_or_b64 exec, exec, s[6:7]
	v_mov_b64_e32 v[24:25], v[10:11]
                                        ; implicit-def: $vgpr22
.LBB71_41:                              ;   in Loop: Header=BB71_3 Depth=1
	s_or_saveexec_b64 s[0:1], s[0:1]
	v_mov_b32_e32 v0, 0
	s_xor_b64 exec, exec, s[0:1]
	s_cbranch_execz .LBB71_43
; %bb.42:                               ;   in Loop: Header=BB71_3 Depth=1
	global_load_dwordx2 v[20:21], v[10:11], off
	v_add_u32_e32 v0, -8, v22
.LBB71_43:                              ;   in Loop: Header=BB71_3 Depth=1
	s_or_b64 exec, exec, s[0:1]
	v_cmp_gt_u32_e32 vcc, 8, v0
	v_lshl_add_u64 v[10:11], v[24:25], 0, 8
                                        ; implicit-def: $vgpr22_vgpr23
	s_and_saveexec_b64 s[0:1], vcc
	s_xor_b64 s[0:1], exec, s[0:1]
	s_cbranch_execz .LBB71_49
; %bb.44:                               ;   in Loop: Header=BB71_3 Depth=1
	v_cmp_ne_u32_e32 vcc, 0, v0
	v_mov_b64_e32 v[22:23], 0
	s_and_saveexec_b64 s[6:7], vcc
	s_cbranch_execz .LBB71_48
; %bb.45:                               ;   in Loop: Header=BB71_3 Depth=1
	s_mov_b64 s[10:11], 0
	v_mov_b64_e32 v[22:23], 0
	s_mov_b64 s[12:13], 0
	s_mov_b64 s[14:15], 0
.LBB71_46:                              ;   Parent Loop BB71_3 Depth=1
                                        ; =>  This Inner Loop Header: Depth=2
	v_lshl_add_u64 v[10:11], v[24:25], 0, s[14:15]
	global_load_ubyte v10, v[10:11], off
	s_add_u32 s14, s14, 1
	v_mov_b32_e32 v11, s16
	s_addc_u32 s15, s15, 0
	v_cmp_eq_u32_e32 vcc, s14, v0
	s_waitcnt vmcnt(0)
	v_and_b32_e32 v10, 0xffff, v10
	v_lshlrev_b64 v[10:11], s12, v[10:11]
	s_add_u32 s12, s12, 8
	s_addc_u32 s13, s13, 0
	v_or_b32_e32 v23, v11, v23
	s_or_b64 s[10:11], vcc, s[10:11]
	v_or_b32_e32 v22, v10, v22
	s_andn2_b64 exec, exec, s[10:11]
	s_cbranch_execnz .LBB71_46
; %bb.47:                               ;   in Loop: Header=BB71_3 Depth=1
	s_or_b64 exec, exec, s[10:11]
.LBB71_48:                              ;   in Loop: Header=BB71_3 Depth=1
	s_or_b64 exec, exec, s[6:7]
	v_mov_b64_e32 v[10:11], v[24:25]
                                        ; implicit-def: $vgpr0
.LBB71_49:                              ;   in Loop: Header=BB71_3 Depth=1
	s_or_saveexec_b64 s[0:1], s[0:1]
	v_mov_b32_e32 v26, 0
	s_xor_b64 exec, exec, s[0:1]
	s_cbranch_execz .LBB71_51
; %bb.50:                               ;   in Loop: Header=BB71_3 Depth=1
	global_load_dwordx2 v[22:23], v[24:25], off
	v_add_u32_e32 v26, -8, v0
.LBB71_51:                              ;   in Loop: Header=BB71_3 Depth=1
	s_or_b64 exec, exec, s[0:1]
	v_cmp_gt_u32_e32 vcc, 8, v26
	s_and_saveexec_b64 s[0:1], vcc
	s_xor_b64 s[0:1], exec, s[0:1]
	s_cbranch_execz .LBB71_57
; %bb.52:                               ;   in Loop: Header=BB71_3 Depth=1
	v_cmp_ne_u32_e32 vcc, 0, v26
	v_mov_b64_e32 v[24:25], 0
	s_and_saveexec_b64 s[6:7], vcc
	s_cbranch_execz .LBB71_56
; %bb.53:                               ;   in Loop: Header=BB71_3 Depth=1
	s_mov_b64 s[10:11], 0
	v_mov_b64_e32 v[24:25], 0
	s_mov_b64 s[12:13], 0
.LBB71_54:                              ;   Parent Loop BB71_3 Depth=1
                                        ; =>  This Inner Loop Header: Depth=2
	global_load_ubyte v0, v[10:11], off
	v_mov_b32_e32 v29, s16
	v_add_u32_e32 v26, -1, v26
	v_cmp_eq_u32_e32 vcc, 0, v26
	v_lshl_add_u64 v[10:11], v[10:11], 0, 1
	s_waitcnt vmcnt(0)
	v_and_b32_e32 v28, 0xffff, v0
	v_lshlrev_b64 v[28:29], s12, v[28:29]
	s_add_u32 s12, s12, 8
	s_addc_u32 s13, s13, 0
	v_or_b32_e32 v25, v29, v25
	s_or_b64 s[10:11], vcc, s[10:11]
	v_or_b32_e32 v24, v28, v24
	s_andn2_b64 exec, exec, s[10:11]
	s_cbranch_execnz .LBB71_54
; %bb.55:                               ;   in Loop: Header=BB71_3 Depth=1
	s_or_b64 exec, exec, s[10:11]
.LBB71_56:                              ;   in Loop: Header=BB71_3 Depth=1
	s_or_b64 exec, exec, s[6:7]
                                        ; implicit-def: $vgpr10_vgpr11
.LBB71_57:                              ;   in Loop: Header=BB71_3 Depth=1
	s_andn2_saveexec_b64 s[0:1], s[0:1]
	s_cbranch_execz .LBB71_59
; %bb.58:                               ;   in Loop: Header=BB71_3 Depth=1
	global_load_dwordx2 v[24:25], v[10:11], off
.LBB71_59:                              ;   in Loop: Header=BB71_3 Depth=1
	s_or_b64 exec, exec, s[0:1]
	v_readfirstlane_b32 s0, v34
	v_mov_b64_e32 v[10:11], 0
	s_nop 0
	v_cmp_eq_u32_e64 s[0:1], s0, v34
	s_and_saveexec_b64 s[6:7], s[0:1]
	s_cbranch_execz .LBB71_65
; %bb.60:                               ;   in Loop: Header=BB71_3 Depth=1
	s_waitcnt lgkmcnt(0)
	global_load_dwordx2 v[28:29], v33, s[4:5] offset:24 sc0 sc1
	s_waitcnt vmcnt(0)
	buffer_inv sc0 sc1
	global_load_dwordx2 v[10:11], v33, s[4:5] offset:40
	global_load_dwordx2 v[26:27], v33, s[4:5]
	s_waitcnt vmcnt(1)
	v_and_b32_e32 v0, v10, v28
	v_and_b32_e32 v10, v11, v29
	v_mul_lo_u32 v10, v10, 24
	v_mul_hi_u32 v11, v0, 24
	v_add_u32_e32 v11, v11, v10
	v_mul_lo_u32 v10, v0, 24
	s_waitcnt vmcnt(0)
	v_lshl_add_u64 v[10:11], v[26:27], 0, v[10:11]
	global_load_dwordx2 v[26:27], v[10:11], off sc0 sc1
	s_waitcnt vmcnt(0)
	global_atomic_cmpswap_x2 v[10:11], v33, v[26:29], s[4:5] offset:24 sc0 sc1
	s_waitcnt vmcnt(0)
	buffer_inv sc0 sc1
	v_cmp_ne_u64_e32 vcc, v[10:11], v[28:29]
	s_and_saveexec_b64 s[10:11], vcc
	s_cbranch_execz .LBB71_64
; %bb.61:                               ;   in Loop: Header=BB71_3 Depth=1
	s_mov_b64 s[12:13], 0
.LBB71_62:                              ;   Parent Loop BB71_3 Depth=1
                                        ; =>  This Inner Loop Header: Depth=2
	s_sleep 1
	global_load_dwordx2 v[26:27], v33, s[4:5] offset:40
	global_load_dwordx2 v[48:49], v33, s[4:5]
	v_mov_b64_e32 v[28:29], v[10:11]
	s_waitcnt vmcnt(1)
	v_and_b32_e32 v0, v26, v28
	s_waitcnt vmcnt(0)
	v_mad_u64_u32 v[10:11], s[14:15], v0, 24, v[48:49]
	v_and_b32_e32 v27, v27, v29
	v_mov_b32_e32 v0, v11
	v_mad_u64_u32 v[26:27], s[14:15], v27, 24, v[0:1]
	v_mov_b32_e32 v11, v26
	global_load_dwordx2 v[26:27], v[10:11], off sc0 sc1
	s_waitcnt vmcnt(0)
	global_atomic_cmpswap_x2 v[10:11], v33, v[26:29], s[4:5] offset:24 sc0 sc1
	s_waitcnt vmcnt(0)
	buffer_inv sc0 sc1
	v_cmp_eq_u64_e32 vcc, v[10:11], v[28:29]
	s_or_b64 s[12:13], vcc, s[12:13]
	s_andn2_b64 exec, exec, s[12:13]
	s_cbranch_execnz .LBB71_62
; %bb.63:                               ;   in Loop: Header=BB71_3 Depth=1
	s_or_b64 exec, exec, s[12:13]
.LBB71_64:                              ;   in Loop: Header=BB71_3 Depth=1
	s_or_b64 exec, exec, s[10:11]
.LBB71_65:                              ;   in Loop: Header=BB71_3 Depth=1
	s_or_b64 exec, exec, s[6:7]
	s_waitcnt lgkmcnt(0)
	global_load_dwordx2 v[48:49], v33, s[4:5] offset:40
	global_load_dwordx4 v[26:29], v33, s[4:5]
	v_readfirstlane_b32 s7, v11
	v_readfirstlane_b32 s6, v10
	s_mov_b64 s[10:11], exec
	s_waitcnt vmcnt(1)
	v_readfirstlane_b32 s12, v48
	v_readfirstlane_b32 s13, v49
	s_and_b64 s[12:13], s[12:13], s[6:7]
	s_mul_i32 s14, s13, 24
	s_mul_hi_u32 s15, s12, 24
	s_add_i32 s15, s15, s14
	s_mul_i32 s14, s12, 24
	s_waitcnt vmcnt(0)
	v_lshl_add_u64 v[48:49], v[26:27], 0, s[14:15]
	s_and_saveexec_b64 s[14:15], s[0:1]
	s_cbranch_execz .LBB71_67
; %bb.66:                               ;   in Loop: Header=BB71_3 Depth=1
	v_mov_b64_e32 v[10:11], s[10:11]
	global_store_dwordx4 v[48:49], v[10:13], off offset:8
.LBB71_67:                              ;   in Loop: Header=BB71_3 Depth=1
	s_or_b64 exec, exec, s[14:15]
	v_cmp_gt_u64_e32 vcc, 57, v[4:5]
	s_lshl_b64 s[10:11], s[12:13], 12
	v_and_b32_e32 v6, 0xffffff1f, v6
	v_cndmask_b32_e32 v0, 0, v30, vcc
	v_lshl_add_u64 v[10:11], v[28:29], 0, s[10:11]
	v_lshl_add_u32 v28, v38, 2, 28
	v_or_b32_e32 v0, v6, v0
	v_and_or_b32 v6, v28, s17, v0
	v_lshlrev_b32_e32 v32, 6, v34
	v_readfirstlane_b32 s10, v10
	v_readfirstlane_b32 s11, v11
	s_nop 4
	global_store_dwordx4 v32, v[6:9], s[10:11]
	global_store_dwordx4 v32, v[14:17], s[10:11] offset:16
	global_store_dwordx4 v32, v[18:21], s[10:11] offset:32
	;; [unrolled: 1-line block ×3, first 2 shown]
	s_and_saveexec_b64 s[10:11], s[0:1]
	s_cbranch_execz .LBB71_75
; %bb.68:                               ;   in Loop: Header=BB71_3 Depth=1
	global_load_dwordx2 v[18:19], v33, s[4:5] offset:32 sc0 sc1
	global_load_dwordx2 v[6:7], v33, s[4:5] offset:40
	v_mov_b32_e32 v16, s6
	v_mov_b32_e32 v17, s7
	s_waitcnt vmcnt(0)
	v_readfirstlane_b32 s12, v6
	v_readfirstlane_b32 s13, v7
	s_and_b64 s[12:13], s[12:13], s[6:7]
	s_mul_i32 s13, s13, 24
	s_mul_hi_u32 s14, s12, 24
	s_mul_i32 s12, s12, 24
	s_add_i32 s13, s14, s13
	v_lshl_add_u64 v[14:15], v[26:27], 0, s[12:13]
	global_store_dwordx2 v[14:15], v[18:19], off
	buffer_wbl2 sc0 sc1
	s_waitcnt vmcnt(0)
	global_atomic_cmpswap_x2 v[8:9], v33, v[16:19], s[4:5] offset:32 sc0 sc1
	s_waitcnt vmcnt(0)
	v_cmp_ne_u64_e32 vcc, v[8:9], v[18:19]
	s_and_saveexec_b64 s[12:13], vcc
	s_cbranch_execz .LBB71_71
; %bb.69:                               ;   in Loop: Header=BB71_3 Depth=1
	s_mov_b64 s[14:15], 0
.LBB71_70:                              ;   Parent Loop BB71_3 Depth=1
                                        ; =>  This Inner Loop Header: Depth=2
	s_sleep 1
	global_store_dwordx2 v[14:15], v[8:9], off
	v_mov_b32_e32 v6, s6
	v_mov_b32_e32 v7, s7
	buffer_wbl2 sc0 sc1
	s_waitcnt vmcnt(0)
	global_atomic_cmpswap_x2 v[6:7], v33, v[6:9], s[4:5] offset:32 sc0 sc1
	s_waitcnt vmcnt(0)
	v_cmp_eq_u64_e32 vcc, v[6:7], v[8:9]
	s_or_b64 s[14:15], vcc, s[14:15]
	v_mov_b64_e32 v[8:9], v[6:7]
	s_andn2_b64 exec, exec, s[14:15]
	s_cbranch_execnz .LBB71_70
.LBB71_71:                              ;   in Loop: Header=BB71_3 Depth=1
	s_or_b64 exec, exec, s[12:13]
	global_load_dwordx2 v[6:7], v33, s[4:5] offset:16
	s_mov_b64 s[14:15], exec
	v_mbcnt_lo_u32_b32 v0, s14, 0
	v_mbcnt_hi_u32_b32 v0, s15, v0
	v_cmp_eq_u32_e32 vcc, 0, v0
	s_and_saveexec_b64 s[12:13], vcc
	s_cbranch_execz .LBB71_73
; %bb.72:                               ;   in Loop: Header=BB71_3 Depth=1
	s_bcnt1_i32_b64 s14, s[14:15]
	v_mov_b32_e32 v8, s14
	v_mov_b32_e32 v9, v33
	buffer_wbl2 sc0 sc1
	s_waitcnt vmcnt(0)
	global_atomic_add_x2 v[6:7], v[8:9], off offset:8 sc1
.LBB71_73:                              ;   in Loop: Header=BB71_3 Depth=1
	s_or_b64 exec, exec, s[12:13]
	s_waitcnt vmcnt(0)
	global_load_dwordx2 v[8:9], v[6:7], off offset:16
	s_waitcnt vmcnt(0)
	v_cmp_eq_u64_e32 vcc, 0, v[8:9]
	s_cbranch_vccnz .LBB71_75
; %bb.74:                               ;   in Loop: Header=BB71_3 Depth=1
	global_load_dword v6, v[6:7], off offset:24
	v_mov_b32_e32 v7, v33
	s_waitcnt vmcnt(0)
	v_readfirstlane_b32 s12, v6
	s_and_b32 m0, s12, 0xffffff
	buffer_wbl2 sc0 sc1
	global_store_dwordx2 v[8:9], v[6:7], off sc0 sc1
	s_sendmsg sendmsg(MSG_INTERRUPT)
.LBB71_75:                              ;   in Loop: Header=BB71_3 Depth=1
	s_or_b64 exec, exec, s[10:11]
	v_lshl_add_u64 v[6:7], v[10:11], 0, v[32:33]
	s_branch .LBB71_79
.LBB71_76:                              ;   in Loop: Header=BB71_79 Depth=2
	s_or_b64 exec, exec, s[10:11]
	v_readfirstlane_b32 s10, v0
	s_cmp_eq_u32 s10, 0
	s_cbranch_scc1 .LBB71_78
; %bb.77:                               ;   in Loop: Header=BB71_79 Depth=2
	s_sleep 1
	s_cbranch_execnz .LBB71_79
	s_branch .LBB71_81
.LBB71_78:                              ;   in Loop: Header=BB71_3 Depth=1
	s_branch .LBB71_81
.LBB71_79:                              ;   Parent Loop BB71_3 Depth=1
                                        ; =>  This Inner Loop Header: Depth=2
	v_mov_b32_e32 v0, 1
	s_and_saveexec_b64 s[10:11], s[0:1]
	s_cbranch_execz .LBB71_76
; %bb.80:                               ;   in Loop: Header=BB71_79 Depth=2
	global_load_dword v0, v[48:49], off offset:20 sc0 sc1
	s_waitcnt vmcnt(0)
	buffer_inv sc0 sc1
	v_and_b32_e32 v0, 1, v0
	s_branch .LBB71_76
.LBB71_81:                              ;   in Loop: Header=BB71_3 Depth=1
	global_load_dwordx2 v[6:7], v[6:7], off
	s_and_saveexec_b64 s[10:11], s[0:1]
	s_cbranch_execz .LBB71_2
; %bb.82:                               ;   in Loop: Header=BB71_3 Depth=1
	global_load_dwordx2 v[8:9], v33, s[4:5] offset:40
	global_load_dwordx2 v[18:19], v33, s[4:5] offset:24 sc0 sc1
	global_load_dwordx2 v[10:11], v33, s[4:5]
	s_waitcnt vmcnt(2)
	v_readfirstlane_b32 s12, v8
	v_readfirstlane_b32 s13, v9
	s_add_u32 s14, s12, 1
	s_addc_u32 s15, s13, 0
	s_add_u32 s0, s14, s6
	s_addc_u32 s1, s15, s7
	s_cmp_eq_u64 s[0:1], 0
	s_cselect_b32 s1, s15, s1
	s_cselect_b32 s0, s14, s0
	s_and_b64 s[6:7], s[0:1], s[12:13]
	s_mul_i32 s7, s7, 24
	s_mul_hi_u32 s12, s6, 24
	s_mul_i32 s6, s6, 24
	s_add_i32 s7, s12, s7
	s_waitcnt vmcnt(0)
	v_lshl_add_u64 v[14:15], v[10:11], 0, s[6:7]
	v_mov_b32_e32 v16, s0
	global_store_dwordx2 v[14:15], v[18:19], off
	v_mov_b32_e32 v17, s1
	buffer_wbl2 sc0 sc1
	s_waitcnt vmcnt(0)
	global_atomic_cmpswap_x2 v[10:11], v33, v[16:19], s[4:5] offset:24 sc0 sc1
	s_waitcnt vmcnt(0)
	v_cmp_ne_u64_e32 vcc, v[10:11], v[18:19]
	s_and_b64 exec, exec, vcc
	s_cbranch_execz .LBB71_2
; %bb.83:                               ;   in Loop: Header=BB71_3 Depth=1
	s_mov_b64 s[6:7], 0
.LBB71_84:                              ;   Parent Loop BB71_3 Depth=1
                                        ; =>  This Inner Loop Header: Depth=2
	s_sleep 1
	global_store_dwordx2 v[14:15], v[10:11], off
	v_mov_b32_e32 v8, s0
	v_mov_b32_e32 v9, s1
	buffer_wbl2 sc0 sc1
	s_waitcnt vmcnt(0)
	global_atomic_cmpswap_x2 v[8:9], v33, v[8:11], s[4:5] offset:24 sc0 sc1
	s_waitcnt vmcnt(0)
	v_cmp_eq_u64_e32 vcc, v[8:9], v[10:11]
	s_or_b64 s[6:7], vcc, s[6:7]
	v_mov_b64_e32 v[10:11], v[8:9]
	s_andn2_b64 exec, exec, s[6:7]
	s_cbranch_execnz .LBB71_84
	s_branch .LBB71_2
.LBB71_85:
	s_or_b64 exec, exec, s[2:3]
.LBB71_86:
	s_waitcnt vmcnt(0)
	v_mov_b32_e32 v0, v6
	v_mov_b32_e32 v1, v7
	s_waitcnt lgkmcnt(0)
	s_setpc_b64 s[30:31]
.LBB71_87:
                                        ; implicit-def: $vgpr6_vgpr7
	s_cbranch_execz .LBB71_86
; %bb.88:
	s_load_dwordx2 s[2:3], s[8:9], 0x50
	v_mbcnt_hi_u32_b32 v3, -1, v3
	v_mov_b64_e32 v[8:9], 0
	v_readfirstlane_b32 s0, v3
	s_nop 1
	v_cmp_eq_u32_e64 s[0:1], s0, v3
	s_and_saveexec_b64 s[4:5], s[0:1]
	s_cbranch_execz .LBB71_94
; %bb.89:
	v_mov_b32_e32 v0, 0
	s_waitcnt lgkmcnt(0)
	global_load_dwordx2 v[6:7], v0, s[2:3] offset:24 sc0 sc1
	s_waitcnt vmcnt(0)
	buffer_inv sc0 sc1
	global_load_dwordx2 v[4:5], v0, s[2:3] offset:40
	global_load_dwordx2 v[8:9], v0, s[2:3]
	s_waitcnt vmcnt(1)
	v_and_b32_e32 v4, v4, v6
	v_and_b32_e32 v5, v5, v7
	v_mul_lo_u32 v5, v5, 24
	v_mul_hi_u32 v10, v4, 24
	v_add_u32_e32 v5, v10, v5
	v_mul_lo_u32 v4, v4, 24
	s_waitcnt vmcnt(0)
	v_lshl_add_u64 v[4:5], v[8:9], 0, v[4:5]
	global_load_dwordx2 v[4:5], v[4:5], off sc0 sc1
	s_waitcnt vmcnt(0)
	global_atomic_cmpswap_x2 v[8:9], v0, v[4:7], s[2:3] offset:24 sc0 sc1
	s_waitcnt vmcnt(0)
	buffer_inv sc0 sc1
	v_cmp_ne_u64_e32 vcc, v[8:9], v[6:7]
	s_and_saveexec_b64 s[6:7], vcc
	s_cbranch_execz .LBB71_93
; %bb.90:
	s_mov_b64 s[8:9], 0
.LBB71_91:                              ; =>This Inner Loop Header: Depth=1
	s_sleep 1
	global_load_dwordx2 v[4:5], v0, s[2:3] offset:40
	global_load_dwordx2 v[10:11], v0, s[2:3]
	v_mov_b64_e32 v[6:7], v[8:9]
	s_waitcnt vmcnt(1)
	v_and_b32_e32 v4, v4, v6
	v_and_b32_e32 v9, v5, v7
	s_waitcnt vmcnt(0)
	v_mad_u64_u32 v[4:5], s[10:11], v4, 24, v[10:11]
	v_mov_b32_e32 v8, v5
	v_mad_u64_u32 v[8:9], s[10:11], v9, 24, v[8:9]
	v_mov_b32_e32 v5, v8
	global_load_dwordx2 v[4:5], v[4:5], off sc0 sc1
	s_waitcnt vmcnt(0)
	global_atomic_cmpswap_x2 v[8:9], v0, v[4:7], s[2:3] offset:24 sc0 sc1
	s_waitcnt vmcnt(0)
	buffer_inv sc0 sc1
	v_cmp_eq_u64_e32 vcc, v[8:9], v[6:7]
	s_or_b64 s[8:9], vcc, s[8:9]
	s_andn2_b64 exec, exec, s[8:9]
	s_cbranch_execnz .LBB71_91
; %bb.92:
	s_or_b64 exec, exec, s[8:9]
.LBB71_93:
	s_or_b64 exec, exec, s[6:7]
.LBB71_94:
	s_or_b64 exec, exec, s[4:5]
	v_mov_b32_e32 v11, 0
	s_waitcnt lgkmcnt(0)
	global_load_dwordx2 v[12:13], v11, s[2:3] offset:40
	global_load_dwordx4 v[4:7], v11, s[2:3]
	v_readfirstlane_b32 s5, v9
	v_readfirstlane_b32 s4, v8
	s_mov_b64 s[6:7], exec
	s_waitcnt vmcnt(1)
	v_readfirstlane_b32 s8, v12
	v_readfirstlane_b32 s9, v13
	s_and_b64 s[8:9], s[8:9], s[4:5]
	s_mul_i32 s10, s9, 24
	s_mul_hi_u32 s11, s8, 24
	s_add_i32 s11, s11, s10
	s_mul_i32 s10, s8, 24
	s_waitcnt vmcnt(0)
	v_lshl_add_u64 v[8:9], v[4:5], 0, s[10:11]
	s_and_saveexec_b64 s[10:11], s[0:1]
	s_cbranch_execz .LBB71_96
; %bb.95:
	v_mov_b64_e32 v[12:13], s[6:7]
	v_mov_b32_e32 v14, 2
	v_mov_b32_e32 v15, 1
	global_store_dwordx4 v[8:9], v[12:15], off offset:8
.LBB71_96:
	s_or_b64 exec, exec, s[10:11]
	s_lshl_b64 s[6:7], s[8:9], 12
	v_lshl_add_u64 v[6:7], v[6:7], 0, s[6:7]
	s_movk_i32 s6, 0xff1f
	s_mov_b32 s8, 0
	v_and_or_b32 v0, v2, s6, 32
	v_lshlrev_b32_e32 v10, 6, v3
	v_mov_b32_e32 v2, v11
	v_mov_b32_e32 v3, v11
	v_readfirstlane_b32 s6, v6
	v_readfirstlane_b32 s7, v7
	s_mov_b32 s9, s8
	s_mov_b32 s10, s8
	;; [unrolled: 1-line block ×3, first 2 shown]
	s_nop 1
	global_store_dwordx4 v10, v[0:3], s[6:7]
	s_nop 1
	v_mov_b64_e32 v[0:1], s[8:9]
	v_mov_b64_e32 v[2:3], s[10:11]
	global_store_dwordx4 v10, v[0:3], s[6:7] offset:16
	global_store_dwordx4 v10, v[0:3], s[6:7] offset:32
	;; [unrolled: 1-line block ×3, first 2 shown]
	s_and_saveexec_b64 s[6:7], s[0:1]
	s_cbranch_execz .LBB71_104
; %bb.97:
	v_mov_b32_e32 v12, 0
	global_load_dwordx2 v[16:17], v12, s[2:3] offset:32 sc0 sc1
	global_load_dwordx2 v[0:1], v12, s[2:3] offset:40
	v_mov_b32_e32 v14, s4
	v_mov_b32_e32 v15, s5
	s_waitcnt vmcnt(0)
	v_and_b32_e32 v0, s4, v0
	v_and_b32_e32 v1, s5, v1
	v_mul_lo_u32 v1, v1, 24
	v_mul_hi_u32 v2, v0, 24
	v_mul_lo_u32 v0, v0, 24
	v_add_u32_e32 v1, v2, v1
	v_lshl_add_u64 v[4:5], v[4:5], 0, v[0:1]
	global_store_dwordx2 v[4:5], v[16:17], off
	buffer_wbl2 sc0 sc1
	s_waitcnt vmcnt(0)
	global_atomic_cmpswap_x2 v[2:3], v12, v[14:17], s[2:3] offset:32 sc0 sc1
	s_waitcnt vmcnt(0)
	v_cmp_ne_u64_e32 vcc, v[2:3], v[16:17]
	s_and_saveexec_b64 s[8:9], vcc
	s_cbranch_execz .LBB71_100
; %bb.98:
	s_mov_b64 s[10:11], 0
.LBB71_99:                              ; =>This Inner Loop Header: Depth=1
	s_sleep 1
	global_store_dwordx2 v[4:5], v[2:3], off
	v_mov_b32_e32 v0, s4
	v_mov_b32_e32 v1, s5
	buffer_wbl2 sc0 sc1
	s_waitcnt vmcnt(0)
	global_atomic_cmpswap_x2 v[0:1], v12, v[0:3], s[2:3] offset:32 sc0 sc1
	s_waitcnt vmcnt(0)
	v_cmp_eq_u64_e32 vcc, v[0:1], v[2:3]
	s_or_b64 s[10:11], vcc, s[10:11]
	v_mov_b64_e32 v[2:3], v[0:1]
	s_andn2_b64 exec, exec, s[10:11]
	s_cbranch_execnz .LBB71_99
.LBB71_100:
	s_or_b64 exec, exec, s[8:9]
	v_mov_b32_e32 v3, 0
	global_load_dwordx2 v[0:1], v3, s[2:3] offset:16
	s_mov_b64 s[8:9], exec
	v_mbcnt_lo_u32_b32 v2, s8, 0
	v_mbcnt_hi_u32_b32 v2, s9, v2
	v_cmp_eq_u32_e32 vcc, 0, v2
	s_and_saveexec_b64 s[10:11], vcc
	s_cbranch_execz .LBB71_102
; %bb.101:
	s_bcnt1_i32_b64 s8, s[8:9]
	v_mov_b32_e32 v2, s8
	buffer_wbl2 sc0 sc1
	s_waitcnt vmcnt(0)
	global_atomic_add_x2 v[0:1], v[2:3], off offset:8 sc1
.LBB71_102:
	s_or_b64 exec, exec, s[10:11]
	s_waitcnt vmcnt(0)
	global_load_dwordx2 v[2:3], v[0:1], off offset:16
	s_waitcnt vmcnt(0)
	v_cmp_eq_u64_e32 vcc, 0, v[2:3]
	s_cbranch_vccnz .LBB71_104
; %bb.103:
	global_load_dword v0, v[0:1], off offset:24
	v_mov_b32_e32 v1, 0
	s_waitcnt vmcnt(0)
	v_readfirstlane_b32 s8, v0
	s_and_b32 m0, s8, 0xffffff
	buffer_wbl2 sc0 sc1
	global_store_dwordx2 v[2:3], v[0:1], off sc0 sc1
	s_sendmsg sendmsg(MSG_INTERRUPT)
.LBB71_104:
	s_or_b64 exec, exec, s[6:7]
	v_lshl_add_u64 v[0:1], v[6:7], 0, v[10:11]
	s_branch .LBB71_108
.LBB71_105:                             ;   in Loop: Header=BB71_108 Depth=1
	s_or_b64 exec, exec, s[6:7]
	v_readfirstlane_b32 s6, v2
	s_cmp_eq_u32 s6, 0
	s_cbranch_scc1 .LBB71_107
; %bb.106:                              ;   in Loop: Header=BB71_108 Depth=1
	s_sleep 1
	s_cbranch_execnz .LBB71_108
	s_branch .LBB71_110
.LBB71_107:
	s_branch .LBB71_110
.LBB71_108:                             ; =>This Inner Loop Header: Depth=1
	v_mov_b32_e32 v2, 1
	s_and_saveexec_b64 s[6:7], s[0:1]
	s_cbranch_execz .LBB71_105
; %bb.109:                              ;   in Loop: Header=BB71_108 Depth=1
	global_load_dword v2, v[8:9], off offset:20 sc0 sc1
	s_waitcnt vmcnt(0)
	buffer_inv sc0 sc1
	v_and_b32_e32 v2, 1, v2
	s_branch .LBB71_105
.LBB71_110:
	global_load_dwordx2 v[6:7], v[0:1], off
	s_and_saveexec_b64 s[6:7], s[0:1]
	s_cbranch_execz .LBB71_113
; %bb.111:
	v_mov_b32_e32 v8, 0
	global_load_dwordx2 v[0:1], v8, s[2:3] offset:40
	global_load_dwordx2 v[12:13], v8, s[2:3] offset:24 sc0 sc1
	global_load_dwordx2 v[2:3], v8, s[2:3]
	s_waitcnt vmcnt(2)
	v_readfirstlane_b32 s8, v0
	v_readfirstlane_b32 s9, v1
	s_add_u32 s10, s8, 1
	s_addc_u32 s11, s9, 0
	s_add_u32 s0, s10, s4
	s_addc_u32 s1, s11, s5
	s_cmp_eq_u64 s[0:1], 0
	s_cselect_b32 s1, s11, s1
	s_cselect_b32 s0, s10, s0
	s_and_b64 s[4:5], s[0:1], s[8:9]
	s_mul_i32 s5, s5, 24
	s_mul_hi_u32 s8, s4, 24
	s_mul_i32 s4, s4, 24
	s_add_i32 s5, s8, s5
	s_waitcnt vmcnt(0)
	v_lshl_add_u64 v[4:5], v[2:3], 0, s[4:5]
	v_mov_b32_e32 v10, s0
	global_store_dwordx2 v[4:5], v[12:13], off
	v_mov_b32_e32 v11, s1
	buffer_wbl2 sc0 sc1
	s_waitcnt vmcnt(0)
	global_atomic_cmpswap_x2 v[2:3], v8, v[10:13], s[2:3] offset:24 sc0 sc1
	s_mov_b64 s[4:5], 0
	s_waitcnt vmcnt(0)
	v_cmp_ne_u64_e32 vcc, v[2:3], v[12:13]
	s_and_b64 exec, exec, vcc
	s_cbranch_execz .LBB71_113
.LBB71_112:                             ; =>This Inner Loop Header: Depth=1
	s_sleep 1
	global_store_dwordx2 v[4:5], v[2:3], off
	v_mov_b32_e32 v0, s0
	v_mov_b32_e32 v1, s1
	buffer_wbl2 sc0 sc1
	s_waitcnt vmcnt(0)
	global_atomic_cmpswap_x2 v[0:1], v8, v[0:3], s[2:3] offset:24 sc0 sc1
	s_waitcnt vmcnt(0)
	v_cmp_eq_u64_e32 vcc, v[0:1], v[2:3]
	s_or_b64 s[4:5], vcc, s[4:5]
	v_mov_b64_e32 v[2:3], v[0:1]
	s_andn2_b64 exec, exec, s[4:5]
	s_cbranch_execnz .LBB71_112
.LBB71_113:
	s_or_b64 exec, exec, s[6:7]
	s_waitcnt vmcnt(0)
	v_mov_b32_e32 v0, v6
	v_mov_b32_e32 v1, v7
	s_waitcnt lgkmcnt(0)
	s_setpc_b64 s[30:31]
.Lfunc_end71:
	.size	__ockl_printf_append_string_n, .Lfunc_end71-__ockl_printf_append_string_n
                                        ; -- End function
	.set .L__ockl_printf_append_string_n.num_vgpr, 50
	.set .L__ockl_printf_append_string_n.num_agpr, 0
	.set .L__ockl_printf_append_string_n.numbered_sgpr, 32
	.set .L__ockl_printf_append_string_n.num_named_barrier, 0
	.set .L__ockl_printf_append_string_n.private_seg_size, 0
	.set .L__ockl_printf_append_string_n.uses_vcc, 1
	.set .L__ockl_printf_append_string_n.uses_flat_scratch, 0
	.set .L__ockl_printf_append_string_n.has_dyn_sized_stack, 0
	.set .L__ockl_printf_append_string_n.has_recursion, 0
	.set .L__ockl_printf_append_string_n.has_indirect_call, 0
	.section	.AMDGPU.csdata,"",@progbits
; Function info:
; codeLenInByte = 3812
; TotalNumSgprs: 38
; NumVgprs: 50
; NumAgprs: 0
; TotalNumVgprs: 50
; ScratchSize: 0
; MemoryBound: 0
	.text
	.p2align	2                               ; -- Begin function __ockl_printf_append_args
	.type	__ockl_printf_append_args,@function
__ockl_printf_append_args:              ; @__ockl_printf_append_args
; %bb.0:
	s_waitcnt vmcnt(0) expcnt(0) lgkmcnt(0)
	s_load_dwordx2 s[2:3], s[8:9], 0x50
	v_mbcnt_lo_u32_b32 v5, -1, 0
	v_mbcnt_hi_u32_b32 v5, -1, v5
	v_mov_b64_e32 v[10:11], 0
	v_readfirstlane_b32 s0, v5
	s_nop 1
	v_cmp_eq_u32_e64 s[0:1], s0, v5
	s_and_saveexec_b64 s[4:5], s[0:1]
	s_cbranch_execz .LBB72_6
; %bb.1:
	v_mov_b32_e32 v6, 0
	s_waitcnt lgkmcnt(0)
	global_load_dwordx2 v[12:13], v6, s[2:3] offset:24 sc0 sc1
	s_waitcnt vmcnt(0)
	buffer_inv sc0 sc1
	global_load_dwordx2 v[8:9], v6, s[2:3] offset:40
	global_load_dwordx2 v[10:11], v6, s[2:3]
	s_waitcnt vmcnt(1)
	v_and_b32_e32 v7, v8, v12
	v_and_b32_e32 v8, v9, v13
	v_mul_lo_u32 v8, v8, 24
	v_mul_hi_u32 v9, v7, 24
	v_add_u32_e32 v9, v9, v8
	v_mul_lo_u32 v8, v7, 24
	s_waitcnt vmcnt(0)
	v_lshl_add_u64 v[8:9], v[10:11], 0, v[8:9]
	global_load_dwordx2 v[10:11], v[8:9], off sc0 sc1
	s_waitcnt vmcnt(0)
	global_atomic_cmpswap_x2 v[10:11], v6, v[10:13], s[2:3] offset:24 sc0 sc1
	s_waitcnt vmcnt(0)
	buffer_inv sc0 sc1
	v_cmp_ne_u64_e32 vcc, v[10:11], v[12:13]
	s_and_saveexec_b64 s[6:7], vcc
	s_cbranch_execz .LBB72_5
; %bb.2:
	s_mov_b64 s[8:9], 0
.LBB72_3:                               ; =>This Inner Loop Header: Depth=1
	s_sleep 1
	global_load_dwordx2 v[8:9], v6, s[2:3] offset:40
	global_load_dwordx2 v[14:15], v6, s[2:3]
	v_mov_b64_e32 v[12:13], v[10:11]
	s_waitcnt vmcnt(1)
	v_and_b32_e32 v8, v8, v12
	v_and_b32_e32 v7, v9, v13
	s_waitcnt vmcnt(0)
	v_mad_u64_u32 v[8:9], s[10:11], v8, 24, v[14:15]
	v_mov_b32_e32 v10, v9
	v_mad_u64_u32 v[10:11], s[10:11], v7, 24, v[10:11]
	v_mov_b32_e32 v9, v10
	global_load_dwordx2 v[10:11], v[8:9], off sc0 sc1
	s_waitcnt vmcnt(0)
	global_atomic_cmpswap_x2 v[10:11], v6, v[10:13], s[2:3] offset:24 sc0 sc1
	s_waitcnt vmcnt(0)
	buffer_inv sc0 sc1
	v_cmp_eq_u64_e32 vcc, v[10:11], v[12:13]
	s_or_b64 s[8:9], vcc, s[8:9]
	s_andn2_b64 exec, exec, s[8:9]
	s_cbranch_execnz .LBB72_3
; %bb.4:
	s_or_b64 exec, exec, s[8:9]
.LBB72_5:
	s_or_b64 exec, exec, s[6:7]
.LBB72_6:
	s_or_b64 exec, exec, s[4:5]
	v_mov_b32_e32 v14, 0
	s_waitcnt lgkmcnt(0)
	global_load_dwordx2 v[12:13], v14, s[2:3] offset:40
	global_load_dwordx4 v[6:9], v14, s[2:3]
	v_readfirstlane_b32 s5, v11
	v_readfirstlane_b32 s4, v10
	s_mov_b64 s[6:7], exec
	s_waitcnt vmcnt(1)
	v_readfirstlane_b32 s8, v12
	v_readfirstlane_b32 s9, v13
	s_and_b64 s[8:9], s[8:9], s[4:5]
	s_mul_i32 s10, s9, 24
	s_mul_hi_u32 s11, s8, 24
	s_add_i32 s11, s11, s10
	s_mul_i32 s10, s8, 24
	s_waitcnt vmcnt(0)
	v_lshl_add_u64 v[10:11], v[6:7], 0, s[10:11]
	s_and_saveexec_b64 s[10:11], s[0:1]
	s_cbranch_execz .LBB72_8
; %bb.7:
	v_mov_b64_e32 v[12:13], s[6:7]
	v_mov_b32_e32 v14, 2
	v_mov_b32_e32 v15, 1
	global_store_dwordx4 v[10:11], v[12:15], off offset:8
.LBB72_8:
	s_or_b64 exec, exec, s[10:11]
	s_lshl_b64 s[6:7], s[8:9], 12
	v_or_b32_e32 v12, 2, v0
	v_cmp_eq_u32_e32 vcc, 0, v4
	v_lshl_add_u64 v[8:9], v[8:9], 0, s[6:7]
	s_mov_b32 s8, 0
	v_cndmask_b32_e32 v0, v12, v0, vcc
	s_movk_i32 s6, 0xff1f
	v_and_or_b32 v0, v0, s6, 32
	v_lshlrev_b32_e32 v4, 6, v5
	v_readfirstlane_b32 s6, v8
	v_readfirstlane_b32 s7, v9
	s_mov_b32 s9, s8
	s_mov_b32 s10, s8
	;; [unrolled: 1-line block ×3, first 2 shown]
	s_nop 1
	global_store_dwordx4 v4, v[0:3], s[6:7]
	s_nop 1
	v_mov_b64_e32 v[0:1], s[8:9]
	v_mov_b64_e32 v[2:3], s[10:11]
	global_store_dwordx4 v4, v[0:3], s[6:7] offset:16
	global_store_dwordx4 v4, v[0:3], s[6:7] offset:32
	global_store_dwordx4 v4, v[0:3], s[6:7] offset:48
	s_and_saveexec_b64 s[6:7], s[0:1]
	s_cbranch_execz .LBB72_16
; %bb.9:
	v_mov_b32_e32 v8, 0
	global_load_dwordx2 v[14:15], v8, s[2:3] offset:32 sc0 sc1
	global_load_dwordx2 v[0:1], v8, s[2:3] offset:40
	v_mov_b32_e32 v12, s4
	v_mov_b32_e32 v13, s5
	s_waitcnt vmcnt(0)
	v_and_b32_e32 v0, s4, v0
	v_and_b32_e32 v1, s5, v1
	v_mul_lo_u32 v1, v1, 24
	v_mul_hi_u32 v2, v0, 24
	v_mul_lo_u32 v0, v0, 24
	v_add_u32_e32 v1, v2, v1
	v_lshl_add_u64 v[4:5], v[6:7], 0, v[0:1]
	global_store_dwordx2 v[4:5], v[14:15], off
	buffer_wbl2 sc0 sc1
	s_waitcnt vmcnt(0)
	global_atomic_cmpswap_x2 v[2:3], v8, v[12:15], s[2:3] offset:32 sc0 sc1
	s_waitcnt vmcnt(0)
	v_cmp_ne_u64_e32 vcc, v[2:3], v[14:15]
	s_and_saveexec_b64 s[8:9], vcc
	s_cbranch_execz .LBB72_12
; %bb.10:
	s_mov_b64 s[10:11], 0
.LBB72_11:                              ; =>This Inner Loop Header: Depth=1
	s_sleep 1
	global_store_dwordx2 v[4:5], v[2:3], off
	v_mov_b32_e32 v0, s4
	v_mov_b32_e32 v1, s5
	buffer_wbl2 sc0 sc1
	s_waitcnt vmcnt(0)
	global_atomic_cmpswap_x2 v[0:1], v8, v[0:3], s[2:3] offset:32 sc0 sc1
	s_waitcnt vmcnt(0)
	v_cmp_eq_u64_e32 vcc, v[0:1], v[2:3]
	s_or_b64 s[10:11], vcc, s[10:11]
	v_mov_b64_e32 v[2:3], v[0:1]
	s_andn2_b64 exec, exec, s[10:11]
	s_cbranch_execnz .LBB72_11
.LBB72_12:
	s_or_b64 exec, exec, s[8:9]
	v_mov_b32_e32 v3, 0
	global_load_dwordx2 v[0:1], v3, s[2:3] offset:16
	s_mov_b64 s[8:9], exec
	v_mbcnt_lo_u32_b32 v2, s8, 0
	v_mbcnt_hi_u32_b32 v2, s9, v2
	v_cmp_eq_u32_e32 vcc, 0, v2
	s_and_saveexec_b64 s[10:11], vcc
	s_cbranch_execz .LBB72_14
; %bb.13:
	s_bcnt1_i32_b64 s8, s[8:9]
	v_mov_b32_e32 v2, s8
	buffer_wbl2 sc0 sc1
	s_waitcnt vmcnt(0)
	global_atomic_add_x2 v[0:1], v[2:3], off offset:8 sc1
.LBB72_14:
	s_or_b64 exec, exec, s[10:11]
	s_waitcnt vmcnt(0)
	global_load_dwordx2 v[2:3], v[0:1], off offset:16
	s_waitcnt vmcnt(0)
	v_cmp_eq_u64_e32 vcc, 0, v[2:3]
	s_cbranch_vccnz .LBB72_16
; %bb.15:
	global_load_dword v0, v[0:1], off offset:24
	v_mov_b32_e32 v1, 0
	s_waitcnt vmcnt(0)
	v_readfirstlane_b32 s8, v0
	s_and_b32 m0, s8, 0xffffff
	buffer_wbl2 sc0 sc1
	global_store_dwordx2 v[2:3], v[0:1], off sc0 sc1
	s_sendmsg sendmsg(MSG_INTERRUPT)
.LBB72_16:
	s_or_b64 exec, exec, s[6:7]
	s_branch .LBB72_20
.LBB72_17:                              ;   in Loop: Header=BB72_20 Depth=1
	s_or_b64 exec, exec, s[6:7]
	v_readfirstlane_b32 s6, v0
	s_cmp_eq_u32 s6, 0
	s_cbranch_scc1 .LBB72_19
; %bb.18:                               ;   in Loop: Header=BB72_20 Depth=1
	s_sleep 1
	s_cbranch_execnz .LBB72_20
	s_branch .LBB72_22
.LBB72_19:
	s_branch .LBB72_22
.LBB72_20:                              ; =>This Inner Loop Header: Depth=1
	v_mov_b32_e32 v0, 1
	s_and_saveexec_b64 s[6:7], s[0:1]
	s_cbranch_execz .LBB72_17
; %bb.21:                               ;   in Loop: Header=BB72_20 Depth=1
	global_load_dword v0, v[10:11], off offset:20 sc0 sc1
	s_waitcnt vmcnt(0)
	buffer_inv sc0 sc1
	v_and_b32_e32 v0, 1, v0
	s_branch .LBB72_17
.LBB72_22:
	s_and_saveexec_b64 s[6:7], s[0:1]
	s_cbranch_execz .LBB72_25
; %bb.23:
	v_mov_b32_e32 v6, 0
	global_load_dwordx2 v[0:1], v6, s[2:3] offset:40
	global_load_dwordx2 v[10:11], v6, s[2:3] offset:24 sc0 sc1
	global_load_dwordx2 v[2:3], v6, s[2:3]
	s_waitcnt vmcnt(2)
	v_readfirstlane_b32 s8, v0
	v_readfirstlane_b32 s9, v1
	s_add_u32 s10, s8, 1
	s_addc_u32 s11, s9, 0
	s_add_u32 s0, s10, s4
	s_addc_u32 s1, s11, s5
	s_cmp_eq_u64 s[0:1], 0
	s_cselect_b32 s1, s11, s1
	s_cselect_b32 s0, s10, s0
	s_and_b64 s[4:5], s[0:1], s[8:9]
	s_mul_i32 s5, s5, 24
	s_mul_hi_u32 s8, s4, 24
	s_mul_i32 s4, s4, 24
	s_add_i32 s5, s8, s5
	s_waitcnt vmcnt(0)
	v_lshl_add_u64 v[4:5], v[2:3], 0, s[4:5]
	v_mov_b32_e32 v8, s0
	global_store_dwordx2 v[4:5], v[10:11], off
	v_mov_b32_e32 v9, s1
	buffer_wbl2 sc0 sc1
	s_waitcnt vmcnt(0)
	global_atomic_cmpswap_x2 v[2:3], v6, v[8:11], s[2:3] offset:24 sc0 sc1
	s_mov_b64 s[4:5], 0
	s_waitcnt vmcnt(0)
	v_cmp_ne_u64_e32 vcc, v[2:3], v[10:11]
	s_and_b64 exec, exec, vcc
	s_cbranch_execz .LBB72_25
.LBB72_24:                              ; =>This Inner Loop Header: Depth=1
	s_sleep 1
	global_store_dwordx2 v[4:5], v[2:3], off
	v_mov_b32_e32 v0, s0
	v_mov_b32_e32 v1, s1
	buffer_wbl2 sc0 sc1
	s_waitcnt vmcnt(0)
	global_atomic_cmpswap_x2 v[0:1], v6, v[0:3], s[2:3] offset:24 sc0 sc1
	s_waitcnt vmcnt(0)
	v_cmp_eq_u64_e32 vcc, v[0:1], v[2:3]
	s_or_b64 s[4:5], vcc, s[4:5]
	v_mov_b64_e32 v[2:3], v[0:1]
	s_andn2_b64 exec, exec, s[4:5]
	s_cbranch_execnz .LBB72_24
.LBB72_25:
	s_or_b64 exec, exec, s[6:7]
	s_waitcnt vmcnt(0) lgkmcnt(0)
	s_setpc_b64 s[30:31]
.Lfunc_end72:
	.size	__ockl_printf_append_args, .Lfunc_end72-__ockl_printf_append_args
                                        ; -- End function
	.set .L__ockl_printf_append_args.num_vgpr, 16
	.set .L__ockl_printf_append_args.num_agpr, 0
	.set .L__ockl_printf_append_args.numbered_sgpr, 32
	.set .L__ockl_printf_append_args.num_named_barrier, 0
	.set .L__ockl_printf_append_args.private_seg_size, 0
	.set .L__ockl_printf_append_args.uses_vcc, 1
	.set .L__ockl_printf_append_args.uses_flat_scratch, 0
	.set .L__ockl_printf_append_args.has_dyn_sized_stack, 0
	.set .L__ockl_printf_append_args.has_recursion, 0
	.set .L__ockl_printf_append_args.has_indirect_call, 0
	.section	.AMDGPU.csdata,"",@progbits
; Function info:
; codeLenInByte = 1216
; TotalNumSgprs: 38
; NumVgprs: 16
; NumAgprs: 0
; TotalNumVgprs: 16
; ScratchSize: 0
; MemoryBound: 0
	.text
	.p2align	2                               ; -- Begin function _ZL14no_device_codePKciS0_iS0_
	.type	_ZL14no_device_codePKciS0_iS0_,@function
_ZL14no_device_codePKciS0_iS0_:         ; @_ZL14no_device_codePKciS0_iS0_
; %bb.0:
	s_waitcnt vmcnt(0) expcnt(0) lgkmcnt(0)
	s_mov_b32 s20, s33
	s_mov_b32 s33, s32
	s_xor_saveexec_b64 s[0:1], -1
	scratch_store_dword off, v35, s33       ; 4-byte Folded Spill
	s_mov_b64 exec, s[0:1]
	v_writelane_b32 v35, s30, 0
	s_add_i32 s32, s32, 16
	s_nop 0
	v_writelane_b32 v35, s31, 1
	s_load_dwordx2 s[2:3], s[8:9], 0x50
	v_mbcnt_lo_u32_b32 v0, -1, 0
	v_mbcnt_hi_u32_b32 v29, -1, v0
	v_mov_b64_e32 v[4:5], 0
	v_readfirstlane_b32 s0, v29
	s_nop 1
	v_cmp_eq_u32_e64 s[0:1], s0, v29
	s_and_saveexec_b64 s[4:5], s[0:1]
	s_cbranch_execz .LBB73_6
; %bb.1:
	v_mov_b32_e32 v0, 0
	s_waitcnt lgkmcnt(0)
	global_load_dwordx2 v[6:7], v0, s[2:3] offset:24 sc0 sc1
	s_waitcnt vmcnt(0)
	buffer_inv sc0 sc1
	global_load_dwordx2 v[2:3], v0, s[2:3] offset:40
	global_load_dwordx2 v[4:5], v0, s[2:3]
	s_waitcnt vmcnt(1)
	v_and_b32_e32 v1, v2, v6
	v_and_b32_e32 v2, v3, v7
	v_mul_lo_u32 v2, v2, 24
	v_mul_hi_u32 v3, v1, 24
	v_add_u32_e32 v3, v3, v2
	v_mul_lo_u32 v2, v1, 24
	s_waitcnt vmcnt(0)
	v_lshl_add_u64 v[2:3], v[4:5], 0, v[2:3]
	global_load_dwordx2 v[4:5], v[2:3], off sc0 sc1
	s_waitcnt vmcnt(0)
	global_atomic_cmpswap_x2 v[4:5], v0, v[4:7], s[2:3] offset:24 sc0 sc1
	s_waitcnt vmcnt(0)
	buffer_inv sc0 sc1
	v_cmp_ne_u64_e32 vcc, v[4:5], v[6:7]
	s_and_saveexec_b64 s[6:7], vcc
	s_cbranch_execz .LBB73_5
; %bb.2:
	s_mov_b64 s[10:11], 0
.LBB73_3:                               ; =>This Inner Loop Header: Depth=1
	s_sleep 1
	global_load_dwordx2 v[2:3], v0, s[2:3] offset:40
	global_load_dwordx2 v[8:9], v0, s[2:3]
	v_mov_b64_e32 v[6:7], v[4:5]
	s_waitcnt vmcnt(1)
	v_and_b32_e32 v2, v2, v6
	v_and_b32_e32 v1, v3, v7
	s_waitcnt vmcnt(0)
	v_mad_u64_u32 v[2:3], s[12:13], v2, 24, v[8:9]
	v_mov_b32_e32 v4, v3
	v_mad_u64_u32 v[4:5], s[12:13], v1, 24, v[4:5]
	v_mov_b32_e32 v3, v4
	global_load_dwordx2 v[4:5], v[2:3], off sc0 sc1
	s_waitcnt vmcnt(0)
	global_atomic_cmpswap_x2 v[4:5], v0, v[4:7], s[2:3] offset:24 sc0 sc1
	s_waitcnt vmcnt(0)
	buffer_inv sc0 sc1
	v_cmp_eq_u64_e32 vcc, v[4:5], v[6:7]
	s_or_b64 s[10:11], vcc, s[10:11]
	s_andn2_b64 exec, exec, s[10:11]
	s_cbranch_execnz .LBB73_3
; %bb.4:
	s_or_b64 exec, exec, s[10:11]
.LBB73_5:
	s_or_b64 exec, exec, s[6:7]
.LBB73_6:
	s_or_b64 exec, exec, s[4:5]
	v_mov_b32_e32 v27, 0
	s_waitcnt lgkmcnt(0)
	global_load_dwordx2 v[6:7], v27, s[2:3] offset:40
	global_load_dwordx4 v[0:3], v27, s[2:3]
	v_readfirstlane_b32 s5, v5
	v_readfirstlane_b32 s4, v4
	s_mov_b64 s[6:7], exec
	s_waitcnt vmcnt(1)
	v_readfirstlane_b32 s10, v6
	v_readfirstlane_b32 s11, v7
	s_and_b64 s[10:11], s[10:11], s[4:5]
	s_mul_i32 s12, s11, 24
	s_mul_hi_u32 s13, s10, 24
	s_add_i32 s13, s13, s12
	s_mul_i32 s12, s10, 24
	s_waitcnt vmcnt(0)
	v_lshl_add_u64 v[4:5], v[0:1], 0, s[12:13]
	s_and_saveexec_b64 s[12:13], s[0:1]
	s_cbranch_execz .LBB73_8
; %bb.7:
	v_mov_b64_e32 v[6:7], s[6:7]
	v_mov_b32_e32 v8, 2
	v_mov_b32_e32 v9, 1
	global_store_dwordx4 v[4:5], v[6:9], off offset:8
.LBB73_8:
	s_or_b64 exec, exec, s[12:13]
	s_lshl_b64 s[6:7], s[10:11], 12
	v_lshl_add_u64 v[6:7], v[2:3], 0, s[6:7]
	s_mov_b32 s12, 0
	v_lshlrev_b32_e32 v26, 6, v29
	v_mov_b32_e32 v8, 33
	v_mov_b32_e32 v9, v27
	;; [unrolled: 1-line block ×4, first 2 shown]
	v_readfirstlane_b32 s6, v6
	v_readfirstlane_b32 s7, v7
	s_mov_b32 s13, s12
	s_mov_b32 s14, s12
	;; [unrolled: 1-line block ×3, first 2 shown]
	s_nop 1
	global_store_dwordx4 v26, v[8:11], s[6:7]
	s_nop 1
	v_mov_b64_e32 v[8:9], s[12:13]
	v_mov_b64_e32 v[10:11], s[14:15]
	global_store_dwordx4 v26, v[8:11], s[6:7] offset:16
	global_store_dwordx4 v26, v[8:11], s[6:7] offset:32
	;; [unrolled: 1-line block ×3, first 2 shown]
	s_and_saveexec_b64 s[6:7], s[0:1]
	s_cbranch_execz .LBB73_16
; %bb.9:
	v_mov_b32_e32 v10, 0
	global_load_dwordx2 v[14:15], v10, s[2:3] offset:32 sc0 sc1
	global_load_dwordx2 v[2:3], v10, s[2:3] offset:40
	v_mov_b32_e32 v12, s4
	v_mov_b32_e32 v13, s5
	s_waitcnt vmcnt(0)
	v_and_b32_e32 v2, s4, v2
	v_and_b32_e32 v3, s5, v3
	v_mul_lo_u32 v3, v3, 24
	v_mul_hi_u32 v8, v2, 24
	v_mul_lo_u32 v2, v2, 24
	v_add_u32_e32 v3, v8, v3
	v_lshl_add_u64 v[8:9], v[0:1], 0, v[2:3]
	global_store_dwordx2 v[8:9], v[14:15], off
	buffer_wbl2 sc0 sc1
	s_waitcnt vmcnt(0)
	global_atomic_cmpswap_x2 v[2:3], v10, v[12:15], s[2:3] offset:32 sc0 sc1
	s_waitcnt vmcnt(0)
	v_cmp_ne_u64_e32 vcc, v[2:3], v[14:15]
	s_and_saveexec_b64 s[10:11], vcc
	s_cbranch_execz .LBB73_12
; %bb.10:
	s_mov_b64 s[12:13], 0
.LBB73_11:                              ; =>This Inner Loop Header: Depth=1
	s_sleep 1
	global_store_dwordx2 v[8:9], v[2:3], off
	v_mov_b32_e32 v0, s4
	v_mov_b32_e32 v1, s5
	buffer_wbl2 sc0 sc1
	s_waitcnt vmcnt(0)
	global_atomic_cmpswap_x2 v[0:1], v10, v[0:3], s[2:3] offset:32 sc0 sc1
	s_waitcnt vmcnt(0)
	v_cmp_eq_u64_e32 vcc, v[0:1], v[2:3]
	s_or_b64 s[12:13], vcc, s[12:13]
	v_mov_b64_e32 v[2:3], v[0:1]
	s_andn2_b64 exec, exec, s[12:13]
	s_cbranch_execnz .LBB73_11
.LBB73_12:
	s_or_b64 exec, exec, s[10:11]
	v_mov_b32_e32 v3, 0
	global_load_dwordx2 v[0:1], v3, s[2:3] offset:16
	s_mov_b64 s[10:11], exec
	v_mbcnt_lo_u32_b32 v2, s10, 0
	v_mbcnt_hi_u32_b32 v2, s11, v2
	v_cmp_eq_u32_e32 vcc, 0, v2
	s_and_saveexec_b64 s[12:13], vcc
	s_cbranch_execz .LBB73_14
; %bb.13:
	s_bcnt1_i32_b64 s10, s[10:11]
	v_mov_b32_e32 v2, s10
	buffer_wbl2 sc0 sc1
	s_waitcnt vmcnt(0)
	global_atomic_add_x2 v[0:1], v[2:3], off offset:8 sc1
.LBB73_14:
	s_or_b64 exec, exec, s[12:13]
	s_waitcnt vmcnt(0)
	global_load_dwordx2 v[2:3], v[0:1], off offset:16
	s_waitcnt vmcnt(0)
	v_cmp_eq_u64_e32 vcc, 0, v[2:3]
	s_cbranch_vccnz .LBB73_16
; %bb.15:
	global_load_dword v0, v[0:1], off offset:24
	v_mov_b32_e32 v1, 0
	s_waitcnt vmcnt(0)
	v_readfirstlane_b32 s10, v0
	s_and_b32 m0, s10, 0xffffff
	buffer_wbl2 sc0 sc1
	global_store_dwordx2 v[2:3], v[0:1], off sc0 sc1
	s_sendmsg sendmsg(MSG_INTERRUPT)
.LBB73_16:
	s_or_b64 exec, exec, s[6:7]
	v_lshl_add_u64 v[0:1], v[6:7], 0, v[26:27]
	s_branch .LBB73_20
.LBB73_17:                              ;   in Loop: Header=BB73_20 Depth=1
	s_or_b64 exec, exec, s[6:7]
	v_readfirstlane_b32 s6, v2
	s_cmp_eq_u32 s6, 0
	s_cbranch_scc1 .LBB73_19
; %bb.18:                               ;   in Loop: Header=BB73_20 Depth=1
	s_sleep 1
	s_cbranch_execnz .LBB73_20
	s_branch .LBB73_22
.LBB73_19:
	s_branch .LBB73_22
.LBB73_20:                              ; =>This Inner Loop Header: Depth=1
	v_mov_b32_e32 v2, 1
	s_and_saveexec_b64 s[6:7], s[0:1]
	s_cbranch_execz .LBB73_17
; %bb.21:                               ;   in Loop: Header=BB73_20 Depth=1
	global_load_dword v2, v[4:5], off offset:20 sc0 sc1
	s_waitcnt vmcnt(0)
	buffer_inv sc0 sc1
	v_and_b32_e32 v2, 1, v2
	s_branch .LBB73_17
.LBB73_22:
	global_load_dwordx2 v[4:5], v[0:1], off
	s_and_saveexec_b64 s[6:7], s[0:1]
	s_cbranch_execz .LBB73_25
; %bb.23:
	v_mov_b32_e32 v8, 0
	global_load_dwordx2 v[0:1], v8, s[2:3] offset:40
	global_load_dwordx2 v[12:13], v8, s[2:3] offset:24 sc0 sc1
	global_load_dwordx2 v[2:3], v8, s[2:3]
	s_waitcnt vmcnt(2)
	v_readfirstlane_b32 s10, v0
	v_readfirstlane_b32 s11, v1
	s_add_u32 s12, s10, 1
	s_addc_u32 s13, s11, 0
	s_add_u32 s0, s12, s4
	s_addc_u32 s1, s13, s5
	s_cmp_eq_u64 s[0:1], 0
	s_cselect_b32 s1, s13, s1
	s_cselect_b32 s0, s12, s0
	s_and_b64 s[4:5], s[0:1], s[10:11]
	s_mul_i32 s5, s5, 24
	s_mul_hi_u32 s10, s4, 24
	s_mul_i32 s4, s4, 24
	s_add_i32 s5, s10, s5
	s_waitcnt vmcnt(0)
	v_lshl_add_u64 v[6:7], v[2:3], 0, s[4:5]
	v_mov_b32_e32 v10, s0
	global_store_dwordx2 v[6:7], v[12:13], off
	v_mov_b32_e32 v11, s1
	buffer_wbl2 sc0 sc1
	s_waitcnt vmcnt(0)
	global_atomic_cmpswap_x2 v[2:3], v8, v[10:13], s[2:3] offset:24 sc0 sc1
	s_mov_b64 s[4:5], 0
	s_waitcnt vmcnt(0)
	v_cmp_ne_u64_e32 vcc, v[2:3], v[12:13]
	s_and_b64 exec, exec, vcc
	s_cbranch_execz .LBB73_25
.LBB73_24:                              ; =>This Inner Loop Header: Depth=1
	s_sleep 1
	global_store_dwordx2 v[6:7], v[2:3], off
	v_mov_b32_e32 v0, s0
	v_mov_b32_e32 v1, s1
	buffer_wbl2 sc0 sc1
	s_waitcnt vmcnt(0)
	global_atomic_cmpswap_x2 v[0:1], v8, v[0:3], s[2:3] offset:24 sc0 sc1
	s_waitcnt vmcnt(0)
	v_cmp_eq_u64_e32 vcc, v[0:1], v[2:3]
	s_or_b64 s[4:5], vcc, s[4:5]
	v_mov_b64_e32 v[2:3], v[0:1]
	s_andn2_b64 exec, exec, s[4:5]
	s_cbranch_execnz .LBB73_24
.LBB73_25:
	s_or_b64 exec, exec, s[6:7]
	s_getpc_b64 s[4:5]
	s_add_u32 s4, s4, .str.5@rel32@lo+4
	s_addc_u32 s5, s5, .str.5@rel32@hi+12
	s_cmp_lg_u64 s[4:5], 0
	s_cbranch_scc0 .LBB73_110
; %bb.26:
	s_waitcnt vmcnt(0)
	v_and_b32_e32 v28, 2, v4
	v_mov_b32_e32 v31, 0
	v_and_b32_e32 v0, -3, v4
	v_mov_b32_e32 v1, v5
	s_mov_b64 s[6:7], 0x4d
	v_mov_b32_e32 v8, 2
	v_mov_b32_e32 v9, 1
	s_branch .LBB73_28
.LBB73_27:                              ;   in Loop: Header=BB73_28 Depth=1
	s_or_b64 exec, exec, s[14:15]
	s_sub_u32 s6, s6, s10
	s_subb_u32 s7, s7, s11
	s_add_u32 s4, s4, s10
	s_addc_u32 s5, s5, s11
	s_cmp_lg_u64 s[6:7], 0
	s_cbranch_scc0 .LBB73_111
.LBB73_28:                              ; =>This Loop Header: Depth=1
                                        ;     Child Loop BB73_31 Depth 2
                                        ;     Child Loop BB73_39 Depth 2
	;; [unrolled: 1-line block ×11, first 2 shown]
	v_cmp_lt_u64_e64 s[0:1], s[6:7], 56
	s_and_b64 s[0:1], s[0:1], exec
	s_cselect_b32 s11, s7, 0
	s_cselect_b32 s10, s6, 56
	v_cmp_gt_u64_e64 s[12:13], s[6:7], 7
	s_add_u32 s0, s4, 8
	s_addc_u32 s1, s5, 0
	s_and_b64 vcc, exec, s[12:13]
	s_cbranch_vccnz .LBB73_32
; %bb.29:                               ;   in Loop: Header=BB73_28 Depth=1
	s_cmp_eq_u64 s[6:7], 0
	s_cbranch_scc1 .LBB73_33
; %bb.30:                               ;   in Loop: Header=BB73_28 Depth=1
	s_lshl_b64 s[0:1], s[10:11], 3
	s_mov_b64 s[12:13], 0
	v_mov_b64_e32 v[2:3], 0
	s_mov_b64 s[14:15], s[4:5]
.LBB73_31:                              ;   Parent Loop BB73_28 Depth=1
                                        ; =>  This Inner Loop Header: Depth=2
	global_load_ubyte v6, v31, s[14:15]
	s_waitcnt vmcnt(0)
	v_and_b32_e32 v30, 0xffff, v6
	v_lshlrev_b64 v[6:7], s12, v[30:31]
	s_add_u32 s12, s12, 8
	s_addc_u32 s13, s13, 0
	s_add_u32 s14, s14, 1
	s_addc_u32 s15, s15, 0
	v_or_b32_e32 v2, v6, v2
	s_cmp_lg_u32 s0, s12
	v_or_b32_e32 v3, v7, v3
	s_cbranch_scc1 .LBB73_31
	s_branch .LBB73_34
.LBB73_32:                              ;   in Loop: Header=BB73_28 Depth=1
	s_mov_b32 s16, 0
	s_branch .LBB73_35
.LBB73_33:                              ;   in Loop: Header=BB73_28 Depth=1
	v_mov_b64_e32 v[2:3], 0
.LBB73_34:                              ;   in Loop: Header=BB73_28 Depth=1
	s_mov_b64 s[0:1], s[4:5]
	s_mov_b32 s16, 0
	s_cbranch_execnz .LBB73_36
.LBB73_35:                              ;   in Loop: Header=BB73_28 Depth=1
	global_load_dwordx2 v[2:3], v31, s[4:5]
	s_add_i32 s16, s10, -8
.LBB73_36:                              ;   in Loop: Header=BB73_28 Depth=1
	s_add_u32 s12, s0, 8
	s_addc_u32 s13, s1, 0
	s_cmp_gt_u32 s16, 7
	s_cbranch_scc1 .LBB73_40
; %bb.37:                               ;   in Loop: Header=BB73_28 Depth=1
	s_cmp_eq_u32 s16, 0
	s_cbranch_scc1 .LBB73_41
; %bb.38:                               ;   in Loop: Header=BB73_28 Depth=1
	s_mov_b64 s[12:13], 0
	v_mov_b64_e32 v[10:11], 0
	s_mov_b64 s[14:15], 0
.LBB73_39:                              ;   Parent Loop BB73_28 Depth=1
                                        ; =>  This Inner Loop Header: Depth=2
	s_add_u32 s18, s0, s14
	s_addc_u32 s19, s1, s15
	global_load_ubyte v6, v31, s[18:19]
	s_add_u32 s14, s14, 1
	s_addc_u32 s15, s15, 0
	s_waitcnt vmcnt(0)
	v_and_b32_e32 v30, 0xffff, v6
	v_lshlrev_b64 v[6:7], s12, v[30:31]
	s_add_u32 s12, s12, 8
	s_addc_u32 s13, s13, 0
	v_or_b32_e32 v10, v6, v10
	s_cmp_lg_u32 s16, s14
	v_or_b32_e32 v11, v7, v11
	s_cbranch_scc1 .LBB73_39
	s_branch .LBB73_42
.LBB73_40:                              ;   in Loop: Header=BB73_28 Depth=1
                                        ; implicit-def: $vgpr10_vgpr11
	s_mov_b32 s17, 0
	s_branch .LBB73_43
.LBB73_41:                              ;   in Loop: Header=BB73_28 Depth=1
	v_mov_b64_e32 v[10:11], 0
.LBB73_42:                              ;   in Loop: Header=BB73_28 Depth=1
	s_mov_b64 s[12:13], s[0:1]
	s_mov_b32 s17, 0
	s_cbranch_execnz .LBB73_44
.LBB73_43:                              ;   in Loop: Header=BB73_28 Depth=1
	global_load_dwordx2 v[10:11], v31, s[0:1]
	s_add_i32 s17, s16, -8
.LBB73_44:                              ;   in Loop: Header=BB73_28 Depth=1
	s_add_u32 s0, s12, 8
	s_addc_u32 s1, s13, 0
	s_cmp_gt_u32 s17, 7
	s_cbranch_scc1 .LBB73_48
; %bb.45:                               ;   in Loop: Header=BB73_28 Depth=1
	s_cmp_eq_u32 s17, 0
	s_cbranch_scc1 .LBB73_49
; %bb.46:                               ;   in Loop: Header=BB73_28 Depth=1
	s_mov_b64 s[0:1], 0
	v_mov_b64_e32 v[12:13], 0
	s_mov_b64 s[14:15], 0
.LBB73_47:                              ;   Parent Loop BB73_28 Depth=1
                                        ; =>  This Inner Loop Header: Depth=2
	s_add_u32 s18, s12, s14
	s_addc_u32 s19, s13, s15
	global_load_ubyte v6, v31, s[18:19]
	s_add_u32 s14, s14, 1
	s_addc_u32 s15, s15, 0
	s_waitcnt vmcnt(0)
	v_and_b32_e32 v30, 0xffff, v6
	v_lshlrev_b64 v[6:7], s0, v[30:31]
	s_add_u32 s0, s0, 8
	s_addc_u32 s1, s1, 0
	v_or_b32_e32 v12, v6, v12
	s_cmp_lg_u32 s17, s14
	v_or_b32_e32 v13, v7, v13
	s_cbranch_scc1 .LBB73_47
	s_branch .LBB73_50
.LBB73_48:                              ;   in Loop: Header=BB73_28 Depth=1
	s_mov_b32 s16, 0
	s_branch .LBB73_51
.LBB73_49:                              ;   in Loop: Header=BB73_28 Depth=1
	v_mov_b64_e32 v[12:13], 0
.LBB73_50:                              ;   in Loop: Header=BB73_28 Depth=1
	s_mov_b64 s[0:1], s[12:13]
	s_mov_b32 s16, 0
	s_cbranch_execnz .LBB73_52
.LBB73_51:                              ;   in Loop: Header=BB73_28 Depth=1
	global_load_dwordx2 v[12:13], v31, s[12:13]
	s_add_i32 s16, s17, -8
.LBB73_52:                              ;   in Loop: Header=BB73_28 Depth=1
	s_add_u32 s12, s0, 8
	s_addc_u32 s13, s1, 0
	s_cmp_gt_u32 s16, 7
	s_cbranch_scc1 .LBB73_56
; %bb.53:                               ;   in Loop: Header=BB73_28 Depth=1
	s_cmp_eq_u32 s16, 0
	s_cbranch_scc1 .LBB73_57
; %bb.54:                               ;   in Loop: Header=BB73_28 Depth=1
	s_mov_b64 s[12:13], 0
	v_mov_b64_e32 v[14:15], 0
	s_mov_b64 s[14:15], 0
.LBB73_55:                              ;   Parent Loop BB73_28 Depth=1
                                        ; =>  This Inner Loop Header: Depth=2
	s_add_u32 s18, s0, s14
	s_addc_u32 s19, s1, s15
	global_load_ubyte v6, v31, s[18:19]
	s_add_u32 s14, s14, 1
	s_addc_u32 s15, s15, 0
	s_waitcnt vmcnt(0)
	v_and_b32_e32 v30, 0xffff, v6
	v_lshlrev_b64 v[6:7], s12, v[30:31]
	s_add_u32 s12, s12, 8
	s_addc_u32 s13, s13, 0
	v_or_b32_e32 v14, v6, v14
	s_cmp_lg_u32 s16, s14
	v_or_b32_e32 v15, v7, v15
	s_cbranch_scc1 .LBB73_55
	s_branch .LBB73_58
.LBB73_56:                              ;   in Loop: Header=BB73_28 Depth=1
                                        ; implicit-def: $vgpr14_vgpr15
	s_mov_b32 s17, 0
	s_branch .LBB73_59
.LBB73_57:                              ;   in Loop: Header=BB73_28 Depth=1
	v_mov_b64_e32 v[14:15], 0
.LBB73_58:                              ;   in Loop: Header=BB73_28 Depth=1
	s_mov_b64 s[12:13], s[0:1]
	s_mov_b32 s17, 0
	s_cbranch_execnz .LBB73_60
.LBB73_59:                              ;   in Loop: Header=BB73_28 Depth=1
	global_load_dwordx2 v[14:15], v31, s[0:1]
	s_add_i32 s17, s16, -8
.LBB73_60:                              ;   in Loop: Header=BB73_28 Depth=1
	s_add_u32 s0, s12, 8
	s_addc_u32 s1, s13, 0
	s_cmp_gt_u32 s17, 7
	s_cbranch_scc1 .LBB73_64
; %bb.61:                               ;   in Loop: Header=BB73_28 Depth=1
	s_cmp_eq_u32 s17, 0
	s_cbranch_scc1 .LBB73_65
; %bb.62:                               ;   in Loop: Header=BB73_28 Depth=1
	s_mov_b64 s[0:1], 0
	v_mov_b64_e32 v[16:17], 0
	s_mov_b64 s[14:15], 0
.LBB73_63:                              ;   Parent Loop BB73_28 Depth=1
                                        ; =>  This Inner Loop Header: Depth=2
	s_add_u32 s18, s12, s14
	s_addc_u32 s19, s13, s15
	global_load_ubyte v6, v31, s[18:19]
	s_add_u32 s14, s14, 1
	s_addc_u32 s15, s15, 0
	s_waitcnt vmcnt(0)
	v_and_b32_e32 v30, 0xffff, v6
	v_lshlrev_b64 v[6:7], s0, v[30:31]
	s_add_u32 s0, s0, 8
	s_addc_u32 s1, s1, 0
	v_or_b32_e32 v16, v6, v16
	s_cmp_lg_u32 s17, s14
	v_or_b32_e32 v17, v7, v17
	s_cbranch_scc1 .LBB73_63
	s_branch .LBB73_66
.LBB73_64:                              ;   in Loop: Header=BB73_28 Depth=1
	s_mov_b32 s16, 0
	s_branch .LBB73_67
.LBB73_65:                              ;   in Loop: Header=BB73_28 Depth=1
	v_mov_b64_e32 v[16:17], 0
.LBB73_66:                              ;   in Loop: Header=BB73_28 Depth=1
	s_mov_b64 s[0:1], s[12:13]
	s_mov_b32 s16, 0
	s_cbranch_execnz .LBB73_68
.LBB73_67:                              ;   in Loop: Header=BB73_28 Depth=1
	global_load_dwordx2 v[16:17], v31, s[12:13]
	s_add_i32 s16, s17, -8
.LBB73_68:                              ;   in Loop: Header=BB73_28 Depth=1
	s_add_u32 s12, s0, 8
	s_addc_u32 s13, s1, 0
	s_cmp_gt_u32 s16, 7
	s_cbranch_scc1 .LBB73_72
; %bb.69:                               ;   in Loop: Header=BB73_28 Depth=1
	s_cmp_eq_u32 s16, 0
	s_cbranch_scc1 .LBB73_73
; %bb.70:                               ;   in Loop: Header=BB73_28 Depth=1
	s_mov_b64 s[12:13], 0
	v_mov_b64_e32 v[18:19], 0
	s_mov_b64 s[14:15], 0
.LBB73_71:                              ;   Parent Loop BB73_28 Depth=1
                                        ; =>  This Inner Loop Header: Depth=2
	s_add_u32 s18, s0, s14
	s_addc_u32 s19, s1, s15
	global_load_ubyte v6, v31, s[18:19]
	s_add_u32 s14, s14, 1
	s_addc_u32 s15, s15, 0
	s_waitcnt vmcnt(0)
	v_and_b32_e32 v30, 0xffff, v6
	v_lshlrev_b64 v[6:7], s12, v[30:31]
	s_add_u32 s12, s12, 8
	s_addc_u32 s13, s13, 0
	v_or_b32_e32 v18, v6, v18
	s_cmp_lg_u32 s16, s14
	v_or_b32_e32 v19, v7, v19
	s_cbranch_scc1 .LBB73_71
	s_branch .LBB73_74
.LBB73_72:                              ;   in Loop: Header=BB73_28 Depth=1
                                        ; implicit-def: $vgpr18_vgpr19
	s_mov_b32 s17, 0
	s_branch .LBB73_75
.LBB73_73:                              ;   in Loop: Header=BB73_28 Depth=1
	v_mov_b64_e32 v[18:19], 0
.LBB73_74:                              ;   in Loop: Header=BB73_28 Depth=1
	s_mov_b64 s[12:13], s[0:1]
	s_mov_b32 s17, 0
	s_cbranch_execnz .LBB73_76
.LBB73_75:                              ;   in Loop: Header=BB73_28 Depth=1
	global_load_dwordx2 v[18:19], v31, s[0:1]
	s_add_i32 s17, s16, -8
.LBB73_76:                              ;   in Loop: Header=BB73_28 Depth=1
	s_cmp_gt_u32 s17, 7
	s_cbranch_scc1 .LBB73_80
; %bb.77:                               ;   in Loop: Header=BB73_28 Depth=1
	s_cmp_eq_u32 s17, 0
	s_cbranch_scc1 .LBB73_81
; %bb.78:                               ;   in Loop: Header=BB73_28 Depth=1
	s_mov_b64 s[0:1], 0
	v_mov_b64_e32 v[20:21], 0
	s_mov_b64 s[14:15], s[12:13]
.LBB73_79:                              ;   Parent Loop BB73_28 Depth=1
                                        ; =>  This Inner Loop Header: Depth=2
	global_load_ubyte v6, v31, s[14:15]
	s_add_i32 s17, s17, -1
	s_waitcnt vmcnt(0)
	v_and_b32_e32 v30, 0xffff, v6
	v_lshlrev_b64 v[6:7], s0, v[30:31]
	s_add_u32 s0, s0, 8
	s_addc_u32 s1, s1, 0
	s_add_u32 s14, s14, 1
	s_addc_u32 s15, s15, 0
	v_or_b32_e32 v20, v6, v20
	s_cmp_lg_u32 s17, 0
	v_or_b32_e32 v21, v7, v21
	s_cbranch_scc1 .LBB73_79
	s_branch .LBB73_82
.LBB73_80:                              ;   in Loop: Header=BB73_28 Depth=1
	s_branch .LBB73_83
.LBB73_81:                              ;   in Loop: Header=BB73_28 Depth=1
	v_mov_b64_e32 v[20:21], 0
.LBB73_82:                              ;   in Loop: Header=BB73_28 Depth=1
	s_cbranch_execnz .LBB73_84
.LBB73_83:                              ;   in Loop: Header=BB73_28 Depth=1
	global_load_dwordx2 v[20:21], v31, s[12:13]
.LBB73_84:                              ;   in Loop: Header=BB73_28 Depth=1
	v_readfirstlane_b32 s0, v29
	v_mov_b64_e32 v[6:7], 0
	s_nop 0
	v_cmp_eq_u32_e64 s[0:1], s0, v29
	s_and_saveexec_b64 s[12:13], s[0:1]
	s_cbranch_execz .LBB73_90
; %bb.85:                               ;   in Loop: Header=BB73_28 Depth=1
	global_load_dwordx2 v[24:25], v31, s[2:3] offset:24 sc0 sc1
	s_waitcnt vmcnt(0)
	buffer_inv sc0 sc1
	global_load_dwordx2 v[6:7], v31, s[2:3] offset:40
	global_load_dwordx2 v[22:23], v31, s[2:3]
	s_waitcnt vmcnt(1)
	v_and_b32_e32 v6, v6, v24
	v_and_b32_e32 v7, v7, v25
	v_mul_lo_u32 v7, v7, 24
	v_mul_hi_u32 v27, v6, 24
	v_add_u32_e32 v7, v27, v7
	v_mul_lo_u32 v6, v6, 24
	s_waitcnt vmcnt(0)
	v_lshl_add_u64 v[6:7], v[22:23], 0, v[6:7]
	global_load_dwordx2 v[22:23], v[6:7], off sc0 sc1
	s_waitcnt vmcnt(0)
	global_atomic_cmpswap_x2 v[6:7], v31, v[22:25], s[2:3] offset:24 sc0 sc1
	s_waitcnt vmcnt(0)
	buffer_inv sc0 sc1
	v_cmp_ne_u64_e32 vcc, v[6:7], v[24:25]
	s_and_saveexec_b64 s[14:15], vcc
	s_cbranch_execz .LBB73_89
; %bb.86:                               ;   in Loop: Header=BB73_28 Depth=1
	s_mov_b64 s[16:17], 0
.LBB73_87:                              ;   Parent Loop BB73_28 Depth=1
                                        ; =>  This Inner Loop Header: Depth=2
	s_sleep 1
	global_load_dwordx2 v[22:23], v31, s[2:3] offset:40
	global_load_dwordx2 v[32:33], v31, s[2:3]
	v_mov_b64_e32 v[24:25], v[6:7]
	s_waitcnt vmcnt(1)
	v_and_b32_e32 v6, v22, v24
	s_waitcnt vmcnt(0)
	v_mad_u64_u32 v[6:7], s[18:19], v6, 24, v[32:33]
	v_and_b32_e32 v23, v23, v25
	v_mov_b32_e32 v22, v7
	v_mad_u64_u32 v[22:23], s[18:19], v23, 24, v[22:23]
	v_mov_b32_e32 v7, v22
	global_load_dwordx2 v[22:23], v[6:7], off sc0 sc1
	s_waitcnt vmcnt(0)
	global_atomic_cmpswap_x2 v[6:7], v31, v[22:25], s[2:3] offset:24 sc0 sc1
	s_waitcnt vmcnt(0)
	buffer_inv sc0 sc1
	v_cmp_eq_u64_e32 vcc, v[6:7], v[24:25]
	s_or_b64 s[16:17], vcc, s[16:17]
	s_andn2_b64 exec, exec, s[16:17]
	s_cbranch_execnz .LBB73_87
; %bb.88:                               ;   in Loop: Header=BB73_28 Depth=1
	s_or_b64 exec, exec, s[16:17]
.LBB73_89:                              ;   in Loop: Header=BB73_28 Depth=1
	s_or_b64 exec, exec, s[14:15]
.LBB73_90:                              ;   in Loop: Header=BB73_28 Depth=1
	s_or_b64 exec, exec, s[12:13]
	global_load_dwordx2 v[32:33], v31, s[2:3] offset:40
	global_load_dwordx4 v[22:25], v31, s[2:3]
	v_readfirstlane_b32 s13, v7
	v_readfirstlane_b32 s12, v6
	s_mov_b64 s[14:15], exec
	s_waitcnt vmcnt(1)
	v_readfirstlane_b32 s16, v32
	v_readfirstlane_b32 s17, v33
	s_and_b64 s[16:17], s[16:17], s[12:13]
	s_mul_i32 s18, s17, 24
	s_mul_hi_u32 s19, s16, 24
	s_add_i32 s19, s19, s18
	s_mul_i32 s18, s16, 24
	s_waitcnt vmcnt(0)
	v_lshl_add_u64 v[32:33], v[22:23], 0, s[18:19]
	s_and_saveexec_b64 s[18:19], s[0:1]
	s_cbranch_execz .LBB73_92
; %bb.91:                               ;   in Loop: Header=BB73_28 Depth=1
	v_mov_b64_e32 v[6:7], s[14:15]
	global_store_dwordx4 v[32:33], v[6:9], off offset:8
.LBB73_92:                              ;   in Loop: Header=BB73_28 Depth=1
	s_or_b64 exec, exec, s[18:19]
	s_lshl_b64 s[14:15], s[16:17], 12
	v_lshl_add_u64 v[6:7], v[24:25], 0, s[14:15]
	v_cmp_lt_u64_e64 vcc, s[6:7], 57
	s_lshl_b32 s14, s10, 2
	s_add_i32 s14, s14, 28
	v_cndmask_b32_e32 v24, 0, v28, vcc
	v_and_b32_e32 v0, 0xffffff1f, v0
	s_and_b32 s14, s14, 0x1e0
	v_or_b32_e32 v0, v0, v24
	v_or_b32_e32 v0, s14, v0
	v_readfirstlane_b32 s14, v6
	v_readfirstlane_b32 s15, v7
	s_nop 4
	global_store_dwordx4 v26, v[0:3], s[14:15]
	global_store_dwordx4 v26, v[10:13], s[14:15] offset:16
	global_store_dwordx4 v26, v[14:17], s[14:15] offset:32
	global_store_dwordx4 v26, v[18:21], s[14:15] offset:48
	s_and_saveexec_b64 s[14:15], s[0:1]
	s_cbranch_execz .LBB73_100
; %bb.93:                               ;   in Loop: Header=BB73_28 Depth=1
	global_load_dwordx2 v[14:15], v31, s[2:3] offset:32 sc0 sc1
	global_load_dwordx2 v[0:1], v31, s[2:3] offset:40
	v_mov_b32_e32 v12, s12
	v_mov_b32_e32 v13, s13
	s_waitcnt vmcnt(0)
	v_readfirstlane_b32 s16, v0
	v_readfirstlane_b32 s17, v1
	s_and_b64 s[16:17], s[16:17], s[12:13]
	s_mul_i32 s17, s17, 24
	s_mul_hi_u32 s18, s16, 24
	s_mul_i32 s16, s16, 24
	s_add_i32 s17, s18, s17
	v_lshl_add_u64 v[10:11], v[22:23], 0, s[16:17]
	global_store_dwordx2 v[10:11], v[14:15], off
	buffer_wbl2 sc0 sc1
	s_waitcnt vmcnt(0)
	global_atomic_cmpswap_x2 v[2:3], v31, v[12:15], s[2:3] offset:32 sc0 sc1
	s_waitcnt vmcnt(0)
	v_cmp_ne_u64_e32 vcc, v[2:3], v[14:15]
	s_and_saveexec_b64 s[16:17], vcc
	s_cbranch_execz .LBB73_96
; %bb.94:                               ;   in Loop: Header=BB73_28 Depth=1
	s_mov_b64 s[18:19], 0
.LBB73_95:                              ;   Parent Loop BB73_28 Depth=1
                                        ; =>  This Inner Loop Header: Depth=2
	s_sleep 1
	global_store_dwordx2 v[10:11], v[2:3], off
	v_mov_b32_e32 v0, s12
	v_mov_b32_e32 v1, s13
	buffer_wbl2 sc0 sc1
	s_waitcnt vmcnt(0)
	global_atomic_cmpswap_x2 v[0:1], v31, v[0:3], s[2:3] offset:32 sc0 sc1
	s_waitcnt vmcnt(0)
	v_cmp_eq_u64_e32 vcc, v[0:1], v[2:3]
	s_or_b64 s[18:19], vcc, s[18:19]
	v_mov_b64_e32 v[2:3], v[0:1]
	s_andn2_b64 exec, exec, s[18:19]
	s_cbranch_execnz .LBB73_95
.LBB73_96:                              ;   in Loop: Header=BB73_28 Depth=1
	s_or_b64 exec, exec, s[16:17]
	global_load_dwordx2 v[0:1], v31, s[2:3] offset:16
	s_mov_b64 s[18:19], exec
	v_mbcnt_lo_u32_b32 v2, s18, 0
	v_mbcnt_hi_u32_b32 v2, s19, v2
	v_cmp_eq_u32_e32 vcc, 0, v2
	s_and_saveexec_b64 s[16:17], vcc
	s_cbranch_execz .LBB73_98
; %bb.97:                               ;   in Loop: Header=BB73_28 Depth=1
	s_bcnt1_i32_b64 s18, s[18:19]
	v_mov_b32_e32 v30, s18
	buffer_wbl2 sc0 sc1
	s_waitcnt vmcnt(0)
	global_atomic_add_x2 v[0:1], v[30:31], off offset:8 sc1
.LBB73_98:                              ;   in Loop: Header=BB73_28 Depth=1
	s_or_b64 exec, exec, s[16:17]
	s_waitcnt vmcnt(0)
	global_load_dwordx2 v[2:3], v[0:1], off offset:16
	s_waitcnt vmcnt(0)
	v_cmp_eq_u64_e32 vcc, 0, v[2:3]
	s_cbranch_vccnz .LBB73_100
; %bb.99:                               ;   in Loop: Header=BB73_28 Depth=1
	global_load_dword v30, v[0:1], off offset:24
	s_waitcnt vmcnt(0)
	v_readfirstlane_b32 s16, v30
	s_and_b32 m0, s16, 0xffffff
	buffer_wbl2 sc0 sc1
	global_store_dwordx2 v[2:3], v[30:31], off sc0 sc1
	s_sendmsg sendmsg(MSG_INTERRUPT)
.LBB73_100:                             ;   in Loop: Header=BB73_28 Depth=1
	s_or_b64 exec, exec, s[14:15]
	v_mov_b32_e32 v27, v31
	v_lshl_add_u64 v[0:1], v[6:7], 0, v[26:27]
	s_branch .LBB73_104
.LBB73_101:                             ;   in Loop: Header=BB73_104 Depth=2
	s_or_b64 exec, exec, s[14:15]
	v_readfirstlane_b32 s14, v2
	s_cmp_eq_u32 s14, 0
	s_cbranch_scc1 .LBB73_103
; %bb.102:                              ;   in Loop: Header=BB73_104 Depth=2
	s_sleep 1
	s_cbranch_execnz .LBB73_104
	s_branch .LBB73_106
.LBB73_103:                             ;   in Loop: Header=BB73_28 Depth=1
	s_branch .LBB73_106
.LBB73_104:                             ;   Parent Loop BB73_28 Depth=1
                                        ; =>  This Inner Loop Header: Depth=2
	v_mov_b32_e32 v2, 1
	s_and_saveexec_b64 s[14:15], s[0:1]
	s_cbranch_execz .LBB73_101
; %bb.105:                              ;   in Loop: Header=BB73_104 Depth=2
	global_load_dword v2, v[32:33], off offset:20 sc0 sc1
	s_waitcnt vmcnt(0)
	buffer_inv sc0 sc1
	v_and_b32_e32 v2, 1, v2
	s_branch .LBB73_101
.LBB73_106:                             ;   in Loop: Header=BB73_28 Depth=1
	global_load_dwordx2 v[0:1], v[0:1], off
	s_and_saveexec_b64 s[14:15], s[0:1]
	s_cbranch_execz .LBB73_27
; %bb.107:                              ;   in Loop: Header=BB73_28 Depth=1
	global_load_dwordx2 v[2:3], v31, s[2:3] offset:40
	global_load_dwordx2 v[14:15], v31, s[2:3] offset:24 sc0 sc1
	global_load_dwordx2 v[6:7], v31, s[2:3]
	s_waitcnt vmcnt(2)
	v_readfirstlane_b32 s16, v2
	v_readfirstlane_b32 s17, v3
	s_add_u32 s18, s16, 1
	s_addc_u32 s19, s17, 0
	s_add_u32 s0, s18, s12
	s_addc_u32 s1, s19, s13
	s_cmp_eq_u64 s[0:1], 0
	s_cselect_b32 s1, s19, s1
	s_cselect_b32 s0, s18, s0
	s_and_b64 s[12:13], s[0:1], s[16:17]
	s_mul_i32 s13, s13, 24
	s_mul_hi_u32 s16, s12, 24
	s_mul_i32 s12, s12, 24
	s_add_i32 s13, s16, s13
	s_waitcnt vmcnt(0)
	v_lshl_add_u64 v[2:3], v[6:7], 0, s[12:13]
	v_mov_b32_e32 v12, s0
	global_store_dwordx2 v[2:3], v[14:15], off
	v_mov_b32_e32 v13, s1
	buffer_wbl2 sc0 sc1
	s_waitcnt vmcnt(0)
	global_atomic_cmpswap_x2 v[12:13], v31, v[12:15], s[2:3] offset:24 sc0 sc1
	s_waitcnt vmcnt(0)
	v_cmp_ne_u64_e32 vcc, v[12:13], v[14:15]
	s_and_b64 exec, exec, vcc
	s_cbranch_execz .LBB73_27
; %bb.108:                              ;   in Loop: Header=BB73_28 Depth=1
	s_mov_b64 s[12:13], 0
.LBB73_109:                             ;   Parent Loop BB73_28 Depth=1
                                        ; =>  This Inner Loop Header: Depth=2
	s_sleep 1
	global_store_dwordx2 v[2:3], v[12:13], off
	v_mov_b32_e32 v10, s0
	v_mov_b32_e32 v11, s1
	buffer_wbl2 sc0 sc1
	s_waitcnt vmcnt(0)
	global_atomic_cmpswap_x2 v[6:7], v31, v[10:13], s[2:3] offset:24 sc0 sc1
	s_waitcnt vmcnt(0)
	v_cmp_eq_u64_e32 vcc, v[6:7], v[12:13]
	s_or_b64 s[12:13], vcc, s[12:13]
	v_mov_b64_e32 v[12:13], v[6:7]
	s_andn2_b64 exec, exec, s[12:13]
	s_cbranch_execnz .LBB73_109
	s_branch .LBB73_27
.LBB73_110:
                                        ; implicit-def: $vgpr0_vgpr1
	s_cbranch_execnz .LBB73_112
	s_branch .LBB73_138
.LBB73_111:
	s_branch .LBB73_138
.LBB73_112:
	v_readfirstlane_b32 s0, v29
	v_mov_b64_e32 v[6:7], 0
	s_nop 0
	v_cmp_eq_u32_e64 s[0:1], s0, v29
	s_and_saveexec_b64 s[4:5], s[0:1]
	s_cbranch_execz .LBB73_118
; %bb.113:
	s_waitcnt vmcnt(0)
	v_mov_b32_e32 v0, 0
	global_load_dwordx2 v[8:9], v0, s[2:3] offset:24 sc0 sc1
	s_waitcnt vmcnt(0)
	buffer_inv sc0 sc1
	global_load_dwordx2 v[2:3], v0, s[2:3] offset:40
	global_load_dwordx2 v[6:7], v0, s[2:3]
	s_waitcnt vmcnt(1)
	v_and_b32_e32 v1, v2, v8
	v_and_b32_e32 v2, v3, v9
	v_mul_lo_u32 v2, v2, 24
	v_mul_hi_u32 v3, v1, 24
	v_add_u32_e32 v3, v3, v2
	v_mul_lo_u32 v2, v1, 24
	s_waitcnt vmcnt(0)
	v_lshl_add_u64 v[2:3], v[6:7], 0, v[2:3]
	global_load_dwordx2 v[6:7], v[2:3], off sc0 sc1
	s_waitcnt vmcnt(0)
	global_atomic_cmpswap_x2 v[6:7], v0, v[6:9], s[2:3] offset:24 sc0 sc1
	s_waitcnt vmcnt(0)
	buffer_inv sc0 sc1
	v_cmp_ne_u64_e32 vcc, v[6:7], v[8:9]
	s_and_saveexec_b64 s[6:7], vcc
	s_cbranch_execz .LBB73_117
; %bb.114:
	s_mov_b64 s[10:11], 0
.LBB73_115:                             ; =>This Inner Loop Header: Depth=1
	s_sleep 1
	global_load_dwordx2 v[2:3], v0, s[2:3] offset:40
	global_load_dwordx2 v[10:11], v0, s[2:3]
	v_mov_b64_e32 v[8:9], v[6:7]
	s_waitcnt vmcnt(1)
	v_and_b32_e32 v2, v2, v8
	v_and_b32_e32 v1, v3, v9
	s_waitcnt vmcnt(0)
	v_mad_u64_u32 v[2:3], s[12:13], v2, 24, v[10:11]
	v_mov_b32_e32 v6, v3
	v_mad_u64_u32 v[6:7], s[12:13], v1, 24, v[6:7]
	v_mov_b32_e32 v3, v6
	global_load_dwordx2 v[6:7], v[2:3], off sc0 sc1
	s_waitcnt vmcnt(0)
	global_atomic_cmpswap_x2 v[6:7], v0, v[6:9], s[2:3] offset:24 sc0 sc1
	s_waitcnt vmcnt(0)
	buffer_inv sc0 sc1
	v_cmp_eq_u64_e32 vcc, v[6:7], v[8:9]
	s_or_b64 s[10:11], vcc, s[10:11]
	s_andn2_b64 exec, exec, s[10:11]
	s_cbranch_execnz .LBB73_115
; %bb.116:
	s_or_b64 exec, exec, s[10:11]
.LBB73_117:
	s_or_b64 exec, exec, s[6:7]
.LBB73_118:
	s_or_b64 exec, exec, s[4:5]
	v_mov_b32_e32 v27, 0
	global_load_dwordx2 v[8:9], v27, s[2:3] offset:40
	global_load_dwordx4 v[0:3], v27, s[2:3]
	v_readfirstlane_b32 s5, v7
	v_readfirstlane_b32 s4, v6
	s_mov_b64 s[6:7], exec
	s_waitcnt vmcnt(1)
	v_readfirstlane_b32 s10, v8
	v_readfirstlane_b32 s11, v9
	s_and_b64 s[10:11], s[10:11], s[4:5]
	s_mul_i32 s12, s11, 24
	s_mul_hi_u32 s13, s10, 24
	s_add_i32 s13, s13, s12
	s_mul_i32 s12, s10, 24
	s_waitcnt vmcnt(0)
	v_lshl_add_u64 v[8:9], v[0:1], 0, s[12:13]
	s_and_saveexec_b64 s[12:13], s[0:1]
	s_cbranch_execz .LBB73_120
; %bb.119:
	v_mov_b64_e32 v[10:11], s[6:7]
	v_mov_b32_e32 v12, 2
	v_mov_b32_e32 v13, 1
	global_store_dwordx4 v[8:9], v[10:13], off offset:8
.LBB73_120:
	s_or_b64 exec, exec, s[12:13]
	s_lshl_b64 s[6:7], s[10:11], 12
	v_lshl_add_u64 v[10:11], v[2:3], 0, s[6:7]
	s_movk_i32 s6, 0xff1f
	s_mov_b32 s12, 0
	v_and_or_b32 v4, v4, s6, 32
	v_mov_b32_e32 v6, v27
	v_mov_b32_e32 v7, v27
	v_readfirstlane_b32 s6, v10
	v_readfirstlane_b32 s7, v11
	s_mov_b32 s13, s12
	s_mov_b32 s14, s12
	;; [unrolled: 1-line block ×3, first 2 shown]
	s_nop 1
	global_store_dwordx4 v26, v[4:7], s[6:7]
	v_mov_b64_e32 v[2:3], s[12:13]
	s_nop 0
	v_mov_b64_e32 v[4:5], s[14:15]
	global_store_dwordx4 v26, v[2:5], s[6:7] offset:16
	global_store_dwordx4 v26, v[2:5], s[6:7] offset:32
	;; [unrolled: 1-line block ×3, first 2 shown]
	s_and_saveexec_b64 s[6:7], s[0:1]
	s_cbranch_execz .LBB73_128
; %bb.121:
	v_mov_b32_e32 v6, 0
	global_load_dwordx2 v[14:15], v6, s[2:3] offset:32 sc0 sc1
	global_load_dwordx2 v[2:3], v6, s[2:3] offset:40
	v_mov_b32_e32 v12, s4
	v_mov_b32_e32 v13, s5
	s_waitcnt vmcnt(0)
	v_readfirstlane_b32 s10, v2
	v_readfirstlane_b32 s11, v3
	s_and_b64 s[10:11], s[10:11], s[4:5]
	s_mul_i32 s11, s11, 24
	s_mul_hi_u32 s12, s10, 24
	s_mul_i32 s10, s10, 24
	s_add_i32 s11, s12, s11
	v_lshl_add_u64 v[4:5], v[0:1], 0, s[10:11]
	global_store_dwordx2 v[4:5], v[14:15], off
	buffer_wbl2 sc0 sc1
	s_waitcnt vmcnt(0)
	global_atomic_cmpswap_x2 v[2:3], v6, v[12:15], s[2:3] offset:32 sc0 sc1
	s_waitcnt vmcnt(0)
	v_cmp_ne_u64_e32 vcc, v[2:3], v[14:15]
	s_and_saveexec_b64 s[10:11], vcc
	s_cbranch_execz .LBB73_124
; %bb.122:
	s_mov_b64 s[12:13], 0
.LBB73_123:                             ; =>This Inner Loop Header: Depth=1
	s_sleep 1
	global_store_dwordx2 v[4:5], v[2:3], off
	v_mov_b32_e32 v0, s4
	v_mov_b32_e32 v1, s5
	buffer_wbl2 sc0 sc1
	s_waitcnt vmcnt(0)
	global_atomic_cmpswap_x2 v[0:1], v6, v[0:3], s[2:3] offset:32 sc0 sc1
	s_waitcnt vmcnt(0)
	v_cmp_eq_u64_e32 vcc, v[0:1], v[2:3]
	s_or_b64 s[12:13], vcc, s[12:13]
	v_mov_b64_e32 v[2:3], v[0:1]
	s_andn2_b64 exec, exec, s[12:13]
	s_cbranch_execnz .LBB73_123
.LBB73_124:
	s_or_b64 exec, exec, s[10:11]
	v_mov_b32_e32 v3, 0
	global_load_dwordx2 v[0:1], v3, s[2:3] offset:16
	s_mov_b64 s[10:11], exec
	v_mbcnt_lo_u32_b32 v2, s10, 0
	v_mbcnt_hi_u32_b32 v2, s11, v2
	v_cmp_eq_u32_e32 vcc, 0, v2
	s_and_saveexec_b64 s[12:13], vcc
	s_cbranch_execz .LBB73_126
; %bb.125:
	s_bcnt1_i32_b64 s10, s[10:11]
	v_mov_b32_e32 v2, s10
	buffer_wbl2 sc0 sc1
	s_waitcnt vmcnt(0)
	global_atomic_add_x2 v[0:1], v[2:3], off offset:8 sc1
.LBB73_126:
	s_or_b64 exec, exec, s[12:13]
	s_waitcnt vmcnt(0)
	global_load_dwordx2 v[2:3], v[0:1], off offset:16
	s_waitcnt vmcnt(0)
	v_cmp_eq_u64_e32 vcc, 0, v[2:3]
	s_cbranch_vccnz .LBB73_128
; %bb.127:
	global_load_dword v0, v[0:1], off offset:24
	v_mov_b32_e32 v1, 0
	s_waitcnt vmcnt(0)
	v_readfirstlane_b32 s10, v0
	s_and_b32 m0, s10, 0xffffff
	buffer_wbl2 sc0 sc1
	global_store_dwordx2 v[2:3], v[0:1], off sc0 sc1
	s_sendmsg sendmsg(MSG_INTERRUPT)
.LBB73_128:
	s_or_b64 exec, exec, s[6:7]
	v_lshl_add_u64 v[0:1], v[10:11], 0, v[26:27]
	s_branch .LBB73_132
.LBB73_129:                             ;   in Loop: Header=BB73_132 Depth=1
	s_or_b64 exec, exec, s[6:7]
	v_readfirstlane_b32 s6, v2
	s_cmp_eq_u32 s6, 0
	s_cbranch_scc1 .LBB73_131
; %bb.130:                              ;   in Loop: Header=BB73_132 Depth=1
	s_sleep 1
	s_cbranch_execnz .LBB73_132
	s_branch .LBB73_134
.LBB73_131:
	s_branch .LBB73_134
.LBB73_132:                             ; =>This Inner Loop Header: Depth=1
	v_mov_b32_e32 v2, 1
	s_and_saveexec_b64 s[6:7], s[0:1]
	s_cbranch_execz .LBB73_129
; %bb.133:                              ;   in Loop: Header=BB73_132 Depth=1
	global_load_dword v2, v[8:9], off offset:20 sc0 sc1
	s_waitcnt vmcnt(0)
	buffer_inv sc0 sc1
	v_and_b32_e32 v2, 1, v2
	s_branch .LBB73_129
.LBB73_134:
	global_load_dwordx2 v[0:1], v[0:1], off
	s_and_saveexec_b64 s[6:7], s[0:1]
	s_cbranch_execz .LBB73_137
; %bb.135:
	v_mov_b32_e32 v8, 0
	global_load_dwordx2 v[2:3], v8, s[2:3] offset:40
	global_load_dwordx2 v[12:13], v8, s[2:3] offset:24 sc0 sc1
	global_load_dwordx2 v[4:5], v8, s[2:3]
	s_waitcnt vmcnt(2)
	v_readfirstlane_b32 s10, v2
	v_readfirstlane_b32 s11, v3
	s_add_u32 s12, s10, 1
	s_addc_u32 s13, s11, 0
	s_add_u32 s0, s12, s4
	s_addc_u32 s1, s13, s5
	s_cmp_eq_u64 s[0:1], 0
	s_cselect_b32 s1, s13, s1
	s_cselect_b32 s0, s12, s0
	s_and_b64 s[4:5], s[0:1], s[10:11]
	s_mul_i32 s5, s5, 24
	s_mul_hi_u32 s10, s4, 24
	s_mul_i32 s4, s4, 24
	s_add_i32 s5, s10, s5
	s_waitcnt vmcnt(0)
	v_lshl_add_u64 v[6:7], v[4:5], 0, s[4:5]
	v_mov_b32_e32 v10, s0
	global_store_dwordx2 v[6:7], v[12:13], off
	v_mov_b32_e32 v11, s1
	buffer_wbl2 sc0 sc1
	s_waitcnt vmcnt(0)
	global_atomic_cmpswap_x2 v[4:5], v8, v[10:13], s[2:3] offset:24 sc0 sc1
	s_mov_b64 s[4:5], 0
	s_waitcnt vmcnt(0)
	v_cmp_ne_u64_e32 vcc, v[4:5], v[12:13]
	s_and_b64 exec, exec, vcc
	s_cbranch_execz .LBB73_137
.LBB73_136:                             ; =>This Inner Loop Header: Depth=1
	s_sleep 1
	global_store_dwordx2 v[6:7], v[4:5], off
	v_mov_b32_e32 v2, s0
	v_mov_b32_e32 v3, s1
	buffer_wbl2 sc0 sc1
	s_waitcnt vmcnt(0)
	global_atomic_cmpswap_x2 v[2:3], v8, v[2:5], s[2:3] offset:24 sc0 sc1
	s_waitcnt vmcnt(0)
	v_cmp_eq_u64_e32 vcc, v[2:3], v[4:5]
	s_or_b64 s[4:5], vcc, s[4:5]
	v_mov_b64_e32 v[4:5], v[2:3]
	s_andn2_b64 exec, exec, s[4:5]
	s_cbranch_execnz .LBB73_136
.LBB73_137:
	s_or_b64 exec, exec, s[6:7]
.LBB73_138:
	s_getpc_b64 s[4:5]
	s_add_u32 s4, s4, .str.3@rel32@lo+4
	s_addc_u32 s5, s5, .str.3@rel32@hi+12
	s_cmp_lg_u64 s[4:5], 0
	s_cselect_b64 s[0:1], -1, 0
	s_cmp_eq_u64 s[4:5], 0
	s_mov_b64 s[4:5], 0
	s_cbranch_scc1 .LBB73_142
; %bb.139:
	v_mov_b32_e32 v2, 0
	s_getpc_b64 s[4:5]
	s_add_u32 s4, s4, .str.3@rel32@lo+3
	s_addc_u32 s5, s5, .str.3@rel32@hi+11
.LBB73_140:                             ; =>This Inner Loop Header: Depth=1
	global_load_ubyte v3, v2, s[4:5] offset:1
	s_add_u32 s6, s4, 1
	s_addc_u32 s7, s5, 0
	s_mov_b64 s[4:5], s[6:7]
	s_waitcnt vmcnt(0)
	v_cmp_ne_u32_e32 vcc, 0, v3
	s_cbranch_vccnz .LBB73_140
; %bb.141:
	s_getpc_b64 s[4:5]
	s_add_u32 s4, s4, .str.3@rel32@lo+4
	s_addc_u32 s5, s5, .str.3@rel32@hi+12
	s_sub_u32 s4, s6, s4
	s_subb_u32 s5, s7, s5
	s_add_u32 s4, s4, 1
	s_addc_u32 s5, s5, 0
.LBB73_142:
	s_and_b64 vcc, exec, s[0:1]
	s_cbranch_vccz .LBB73_227
; %bb.143:
	s_waitcnt vmcnt(0)
	v_and_b32_e32 v28, 2, v0
	v_mov_b32_e32 v31, 0
	v_and_b32_e32 v2, -3, v0
	v_mov_b32_e32 v3, v1
	v_mov_b32_e32 v8, 2
	;; [unrolled: 1-line block ×3, first 2 shown]
	s_getpc_b64 s[6:7]
	s_add_u32 s6, s6, .str.3@rel32@lo+4
	s_addc_u32 s7, s7, .str.3@rel32@hi+12
	s_branch .LBB73_145
.LBB73_144:                             ;   in Loop: Header=BB73_145 Depth=1
	s_or_b64 exec, exec, s[14:15]
	s_sub_u32 s4, s4, s10
	s_subb_u32 s5, s5, s11
	s_add_u32 s6, s6, s10
	s_addc_u32 s7, s7, s11
	s_cmp_lg_u64 s[4:5], 0
	s_cbranch_scc0 .LBB73_228
.LBB73_145:                             ; =>This Loop Header: Depth=1
                                        ;     Child Loop BB73_148 Depth 2
                                        ;     Child Loop BB73_156 Depth 2
	;; [unrolled: 1-line block ×11, first 2 shown]
	v_cmp_lt_u64_e64 s[0:1], s[4:5], 56
	s_and_b64 s[0:1], s[0:1], exec
	s_cselect_b32 s11, s5, 0
	s_cselect_b32 s10, s4, 56
	v_cmp_gt_u64_e64 s[12:13], s[4:5], 7
	s_add_u32 s0, s6, 8
	s_addc_u32 s1, s7, 0
	s_and_b64 vcc, exec, s[12:13]
	s_cbranch_vccnz .LBB73_149
; %bb.146:                              ;   in Loop: Header=BB73_145 Depth=1
	s_cmp_eq_u64 s[4:5], 0
	s_cbranch_scc1 .LBB73_150
; %bb.147:                              ;   in Loop: Header=BB73_145 Depth=1
	s_lshl_b64 s[0:1], s[10:11], 3
	s_mov_b64 s[12:13], 0
	v_mov_b64_e32 v[4:5], 0
	s_mov_b64 s[14:15], s[6:7]
.LBB73_148:                             ;   Parent Loop BB73_145 Depth=1
                                        ; =>  This Inner Loop Header: Depth=2
	global_load_ubyte v6, v31, s[14:15]
	s_waitcnt vmcnt(0)
	v_and_b32_e32 v30, 0xffff, v6
	v_lshlrev_b64 v[6:7], s12, v[30:31]
	s_add_u32 s12, s12, 8
	s_addc_u32 s13, s13, 0
	s_add_u32 s14, s14, 1
	s_addc_u32 s15, s15, 0
	v_or_b32_e32 v4, v6, v4
	s_cmp_lg_u32 s0, s12
	v_or_b32_e32 v5, v7, v5
	s_cbranch_scc1 .LBB73_148
	s_branch .LBB73_151
.LBB73_149:                             ;   in Loop: Header=BB73_145 Depth=1
	s_mov_b32 s16, 0
	s_branch .LBB73_152
.LBB73_150:                             ;   in Loop: Header=BB73_145 Depth=1
	v_mov_b64_e32 v[4:5], 0
.LBB73_151:                             ;   in Loop: Header=BB73_145 Depth=1
	s_mov_b64 s[0:1], s[6:7]
	s_mov_b32 s16, 0
	s_cbranch_execnz .LBB73_153
.LBB73_152:                             ;   in Loop: Header=BB73_145 Depth=1
	global_load_dwordx2 v[4:5], v31, s[6:7]
	s_add_i32 s16, s10, -8
.LBB73_153:                             ;   in Loop: Header=BB73_145 Depth=1
	s_add_u32 s12, s0, 8
	s_addc_u32 s13, s1, 0
	s_cmp_gt_u32 s16, 7
	s_cbranch_scc1 .LBB73_157
; %bb.154:                              ;   in Loop: Header=BB73_145 Depth=1
	s_cmp_eq_u32 s16, 0
	s_cbranch_scc1 .LBB73_158
; %bb.155:                              ;   in Loop: Header=BB73_145 Depth=1
	s_mov_b64 s[12:13], 0
	v_mov_b64_e32 v[10:11], 0
	s_mov_b64 s[14:15], 0
.LBB73_156:                             ;   Parent Loop BB73_145 Depth=1
                                        ; =>  This Inner Loop Header: Depth=2
	s_add_u32 s18, s0, s14
	s_addc_u32 s19, s1, s15
	global_load_ubyte v6, v31, s[18:19]
	s_add_u32 s14, s14, 1
	s_addc_u32 s15, s15, 0
	s_waitcnt vmcnt(0)
	v_and_b32_e32 v30, 0xffff, v6
	v_lshlrev_b64 v[6:7], s12, v[30:31]
	s_add_u32 s12, s12, 8
	s_addc_u32 s13, s13, 0
	v_or_b32_e32 v10, v6, v10
	s_cmp_lg_u32 s16, s14
	v_or_b32_e32 v11, v7, v11
	s_cbranch_scc1 .LBB73_156
	s_branch .LBB73_159
.LBB73_157:                             ;   in Loop: Header=BB73_145 Depth=1
                                        ; implicit-def: $vgpr10_vgpr11
	s_mov_b32 s17, 0
	s_branch .LBB73_160
.LBB73_158:                             ;   in Loop: Header=BB73_145 Depth=1
	v_mov_b64_e32 v[10:11], 0
.LBB73_159:                             ;   in Loop: Header=BB73_145 Depth=1
	s_mov_b64 s[12:13], s[0:1]
	s_mov_b32 s17, 0
	s_cbranch_execnz .LBB73_161
.LBB73_160:                             ;   in Loop: Header=BB73_145 Depth=1
	global_load_dwordx2 v[10:11], v31, s[0:1]
	s_add_i32 s17, s16, -8
.LBB73_161:                             ;   in Loop: Header=BB73_145 Depth=1
	s_add_u32 s0, s12, 8
	s_addc_u32 s1, s13, 0
	s_cmp_gt_u32 s17, 7
	s_cbranch_scc1 .LBB73_165
; %bb.162:                              ;   in Loop: Header=BB73_145 Depth=1
	s_cmp_eq_u32 s17, 0
	s_cbranch_scc1 .LBB73_166
; %bb.163:                              ;   in Loop: Header=BB73_145 Depth=1
	s_mov_b64 s[0:1], 0
	v_mov_b64_e32 v[12:13], 0
	s_mov_b64 s[14:15], 0
.LBB73_164:                             ;   Parent Loop BB73_145 Depth=1
                                        ; =>  This Inner Loop Header: Depth=2
	s_add_u32 s18, s12, s14
	s_addc_u32 s19, s13, s15
	global_load_ubyte v6, v31, s[18:19]
	s_add_u32 s14, s14, 1
	s_addc_u32 s15, s15, 0
	s_waitcnt vmcnt(0)
	v_and_b32_e32 v30, 0xffff, v6
	v_lshlrev_b64 v[6:7], s0, v[30:31]
	s_add_u32 s0, s0, 8
	s_addc_u32 s1, s1, 0
	v_or_b32_e32 v12, v6, v12
	s_cmp_lg_u32 s17, s14
	v_or_b32_e32 v13, v7, v13
	s_cbranch_scc1 .LBB73_164
	s_branch .LBB73_167
.LBB73_165:                             ;   in Loop: Header=BB73_145 Depth=1
	s_mov_b32 s16, 0
	s_branch .LBB73_168
.LBB73_166:                             ;   in Loop: Header=BB73_145 Depth=1
	v_mov_b64_e32 v[12:13], 0
.LBB73_167:                             ;   in Loop: Header=BB73_145 Depth=1
	s_mov_b64 s[0:1], s[12:13]
	s_mov_b32 s16, 0
	s_cbranch_execnz .LBB73_169
.LBB73_168:                             ;   in Loop: Header=BB73_145 Depth=1
	global_load_dwordx2 v[12:13], v31, s[12:13]
	s_add_i32 s16, s17, -8
.LBB73_169:                             ;   in Loop: Header=BB73_145 Depth=1
	s_add_u32 s12, s0, 8
	s_addc_u32 s13, s1, 0
	s_cmp_gt_u32 s16, 7
	s_cbranch_scc1 .LBB73_173
; %bb.170:                              ;   in Loop: Header=BB73_145 Depth=1
	s_cmp_eq_u32 s16, 0
	s_cbranch_scc1 .LBB73_174
; %bb.171:                              ;   in Loop: Header=BB73_145 Depth=1
	s_mov_b64 s[12:13], 0
	v_mov_b64_e32 v[14:15], 0
	s_mov_b64 s[14:15], 0
.LBB73_172:                             ;   Parent Loop BB73_145 Depth=1
                                        ; =>  This Inner Loop Header: Depth=2
	s_add_u32 s18, s0, s14
	s_addc_u32 s19, s1, s15
	global_load_ubyte v6, v31, s[18:19]
	s_add_u32 s14, s14, 1
	s_addc_u32 s15, s15, 0
	s_waitcnt vmcnt(0)
	v_and_b32_e32 v30, 0xffff, v6
	v_lshlrev_b64 v[6:7], s12, v[30:31]
	s_add_u32 s12, s12, 8
	s_addc_u32 s13, s13, 0
	v_or_b32_e32 v14, v6, v14
	s_cmp_lg_u32 s16, s14
	v_or_b32_e32 v15, v7, v15
	s_cbranch_scc1 .LBB73_172
	s_branch .LBB73_175
.LBB73_173:                             ;   in Loop: Header=BB73_145 Depth=1
                                        ; implicit-def: $vgpr14_vgpr15
	s_mov_b32 s17, 0
	s_branch .LBB73_176
.LBB73_174:                             ;   in Loop: Header=BB73_145 Depth=1
	v_mov_b64_e32 v[14:15], 0
.LBB73_175:                             ;   in Loop: Header=BB73_145 Depth=1
	s_mov_b64 s[12:13], s[0:1]
	s_mov_b32 s17, 0
	s_cbranch_execnz .LBB73_177
.LBB73_176:                             ;   in Loop: Header=BB73_145 Depth=1
	global_load_dwordx2 v[14:15], v31, s[0:1]
	s_add_i32 s17, s16, -8
.LBB73_177:                             ;   in Loop: Header=BB73_145 Depth=1
	s_add_u32 s0, s12, 8
	s_addc_u32 s1, s13, 0
	s_cmp_gt_u32 s17, 7
	s_cbranch_scc1 .LBB73_181
; %bb.178:                              ;   in Loop: Header=BB73_145 Depth=1
	s_cmp_eq_u32 s17, 0
	s_cbranch_scc1 .LBB73_182
; %bb.179:                              ;   in Loop: Header=BB73_145 Depth=1
	s_mov_b64 s[0:1], 0
	v_mov_b64_e32 v[16:17], 0
	s_mov_b64 s[14:15], 0
.LBB73_180:                             ;   Parent Loop BB73_145 Depth=1
                                        ; =>  This Inner Loop Header: Depth=2
	s_add_u32 s18, s12, s14
	s_addc_u32 s19, s13, s15
	global_load_ubyte v6, v31, s[18:19]
	s_add_u32 s14, s14, 1
	s_addc_u32 s15, s15, 0
	s_waitcnt vmcnt(0)
	v_and_b32_e32 v30, 0xffff, v6
	v_lshlrev_b64 v[6:7], s0, v[30:31]
	s_add_u32 s0, s0, 8
	s_addc_u32 s1, s1, 0
	v_or_b32_e32 v16, v6, v16
	s_cmp_lg_u32 s17, s14
	v_or_b32_e32 v17, v7, v17
	s_cbranch_scc1 .LBB73_180
	s_branch .LBB73_183
.LBB73_181:                             ;   in Loop: Header=BB73_145 Depth=1
	s_mov_b32 s16, 0
	s_branch .LBB73_184
.LBB73_182:                             ;   in Loop: Header=BB73_145 Depth=1
	v_mov_b64_e32 v[16:17], 0
.LBB73_183:                             ;   in Loop: Header=BB73_145 Depth=1
	s_mov_b64 s[0:1], s[12:13]
	s_mov_b32 s16, 0
	s_cbranch_execnz .LBB73_185
.LBB73_184:                             ;   in Loop: Header=BB73_145 Depth=1
	global_load_dwordx2 v[16:17], v31, s[12:13]
	s_add_i32 s16, s17, -8
.LBB73_185:                             ;   in Loop: Header=BB73_145 Depth=1
	s_add_u32 s12, s0, 8
	s_addc_u32 s13, s1, 0
	s_cmp_gt_u32 s16, 7
	s_cbranch_scc1 .LBB73_189
; %bb.186:                              ;   in Loop: Header=BB73_145 Depth=1
	s_cmp_eq_u32 s16, 0
	s_cbranch_scc1 .LBB73_190
; %bb.187:                              ;   in Loop: Header=BB73_145 Depth=1
	s_mov_b64 s[12:13], 0
	v_mov_b64_e32 v[18:19], 0
	s_mov_b64 s[14:15], 0
.LBB73_188:                             ;   Parent Loop BB73_145 Depth=1
                                        ; =>  This Inner Loop Header: Depth=2
	s_add_u32 s18, s0, s14
	s_addc_u32 s19, s1, s15
	global_load_ubyte v6, v31, s[18:19]
	s_add_u32 s14, s14, 1
	s_addc_u32 s15, s15, 0
	s_waitcnt vmcnt(0)
	v_and_b32_e32 v30, 0xffff, v6
	v_lshlrev_b64 v[6:7], s12, v[30:31]
	s_add_u32 s12, s12, 8
	s_addc_u32 s13, s13, 0
	v_or_b32_e32 v18, v6, v18
	s_cmp_lg_u32 s16, s14
	v_or_b32_e32 v19, v7, v19
	s_cbranch_scc1 .LBB73_188
	s_branch .LBB73_191
.LBB73_189:                             ;   in Loop: Header=BB73_145 Depth=1
                                        ; implicit-def: $vgpr18_vgpr19
	s_mov_b32 s17, 0
	s_branch .LBB73_192
.LBB73_190:                             ;   in Loop: Header=BB73_145 Depth=1
	v_mov_b64_e32 v[18:19], 0
.LBB73_191:                             ;   in Loop: Header=BB73_145 Depth=1
	s_mov_b64 s[12:13], s[0:1]
	s_mov_b32 s17, 0
	s_cbranch_execnz .LBB73_193
.LBB73_192:                             ;   in Loop: Header=BB73_145 Depth=1
	global_load_dwordx2 v[18:19], v31, s[0:1]
	s_add_i32 s17, s16, -8
.LBB73_193:                             ;   in Loop: Header=BB73_145 Depth=1
	s_cmp_gt_u32 s17, 7
	s_cbranch_scc1 .LBB73_197
; %bb.194:                              ;   in Loop: Header=BB73_145 Depth=1
	s_cmp_eq_u32 s17, 0
	s_cbranch_scc1 .LBB73_198
; %bb.195:                              ;   in Loop: Header=BB73_145 Depth=1
	s_mov_b64 s[0:1], 0
	v_mov_b64_e32 v[20:21], 0
	s_mov_b64 s[14:15], s[12:13]
.LBB73_196:                             ;   Parent Loop BB73_145 Depth=1
                                        ; =>  This Inner Loop Header: Depth=2
	global_load_ubyte v6, v31, s[14:15]
	s_add_i32 s17, s17, -1
	s_waitcnt vmcnt(0)
	v_and_b32_e32 v30, 0xffff, v6
	v_lshlrev_b64 v[6:7], s0, v[30:31]
	s_add_u32 s0, s0, 8
	s_addc_u32 s1, s1, 0
	s_add_u32 s14, s14, 1
	s_addc_u32 s15, s15, 0
	v_or_b32_e32 v20, v6, v20
	s_cmp_lg_u32 s17, 0
	v_or_b32_e32 v21, v7, v21
	s_cbranch_scc1 .LBB73_196
	s_branch .LBB73_199
.LBB73_197:                             ;   in Loop: Header=BB73_145 Depth=1
	s_branch .LBB73_200
.LBB73_198:                             ;   in Loop: Header=BB73_145 Depth=1
	v_mov_b64_e32 v[20:21], 0
.LBB73_199:                             ;   in Loop: Header=BB73_145 Depth=1
	s_cbranch_execnz .LBB73_201
.LBB73_200:                             ;   in Loop: Header=BB73_145 Depth=1
	global_load_dwordx2 v[20:21], v31, s[12:13]
.LBB73_201:                             ;   in Loop: Header=BB73_145 Depth=1
	v_readfirstlane_b32 s0, v29
	v_mov_b64_e32 v[6:7], 0
	s_nop 0
	v_cmp_eq_u32_e64 s[0:1], s0, v29
	s_and_saveexec_b64 s[12:13], s[0:1]
	s_cbranch_execz .LBB73_207
; %bb.202:                              ;   in Loop: Header=BB73_145 Depth=1
	global_load_dwordx2 v[24:25], v31, s[2:3] offset:24 sc0 sc1
	s_waitcnt vmcnt(0)
	buffer_inv sc0 sc1
	global_load_dwordx2 v[6:7], v31, s[2:3] offset:40
	global_load_dwordx2 v[22:23], v31, s[2:3]
	s_waitcnt vmcnt(1)
	v_and_b32_e32 v6, v6, v24
	v_and_b32_e32 v7, v7, v25
	v_mul_lo_u32 v7, v7, 24
	v_mul_hi_u32 v27, v6, 24
	v_add_u32_e32 v7, v27, v7
	v_mul_lo_u32 v6, v6, 24
	s_waitcnt vmcnt(0)
	v_lshl_add_u64 v[6:7], v[22:23], 0, v[6:7]
	global_load_dwordx2 v[22:23], v[6:7], off sc0 sc1
	s_waitcnt vmcnt(0)
	global_atomic_cmpswap_x2 v[6:7], v31, v[22:25], s[2:3] offset:24 sc0 sc1
	s_waitcnt vmcnt(0)
	buffer_inv sc0 sc1
	v_cmp_ne_u64_e32 vcc, v[6:7], v[24:25]
	s_and_saveexec_b64 s[14:15], vcc
	s_cbranch_execz .LBB73_206
; %bb.203:                              ;   in Loop: Header=BB73_145 Depth=1
	s_mov_b64 s[16:17], 0
.LBB73_204:                             ;   Parent Loop BB73_145 Depth=1
                                        ; =>  This Inner Loop Header: Depth=2
	s_sleep 1
	global_load_dwordx2 v[22:23], v31, s[2:3] offset:40
	global_load_dwordx2 v[32:33], v31, s[2:3]
	v_mov_b64_e32 v[24:25], v[6:7]
	s_waitcnt vmcnt(1)
	v_and_b32_e32 v6, v22, v24
	s_waitcnt vmcnt(0)
	v_mad_u64_u32 v[6:7], s[18:19], v6, 24, v[32:33]
	v_and_b32_e32 v23, v23, v25
	v_mov_b32_e32 v22, v7
	v_mad_u64_u32 v[22:23], s[18:19], v23, 24, v[22:23]
	v_mov_b32_e32 v7, v22
	global_load_dwordx2 v[22:23], v[6:7], off sc0 sc1
	s_waitcnt vmcnt(0)
	global_atomic_cmpswap_x2 v[6:7], v31, v[22:25], s[2:3] offset:24 sc0 sc1
	s_waitcnt vmcnt(0)
	buffer_inv sc0 sc1
	v_cmp_eq_u64_e32 vcc, v[6:7], v[24:25]
	s_or_b64 s[16:17], vcc, s[16:17]
	s_andn2_b64 exec, exec, s[16:17]
	s_cbranch_execnz .LBB73_204
; %bb.205:                              ;   in Loop: Header=BB73_145 Depth=1
	s_or_b64 exec, exec, s[16:17]
.LBB73_206:                             ;   in Loop: Header=BB73_145 Depth=1
	s_or_b64 exec, exec, s[14:15]
.LBB73_207:                             ;   in Loop: Header=BB73_145 Depth=1
	s_or_b64 exec, exec, s[12:13]
	global_load_dwordx2 v[32:33], v31, s[2:3] offset:40
	global_load_dwordx4 v[22:25], v31, s[2:3]
	v_readfirstlane_b32 s13, v7
	v_readfirstlane_b32 s12, v6
	s_mov_b64 s[14:15], exec
	s_waitcnt vmcnt(1)
	v_readfirstlane_b32 s16, v32
	v_readfirstlane_b32 s17, v33
	s_and_b64 s[16:17], s[16:17], s[12:13]
	s_mul_i32 s18, s17, 24
	s_mul_hi_u32 s19, s16, 24
	s_add_i32 s19, s19, s18
	s_mul_i32 s18, s16, 24
	s_waitcnt vmcnt(0)
	v_lshl_add_u64 v[32:33], v[22:23], 0, s[18:19]
	s_and_saveexec_b64 s[18:19], s[0:1]
	s_cbranch_execz .LBB73_209
; %bb.208:                              ;   in Loop: Header=BB73_145 Depth=1
	v_mov_b64_e32 v[6:7], s[14:15]
	global_store_dwordx4 v[32:33], v[6:9], off offset:8
.LBB73_209:                             ;   in Loop: Header=BB73_145 Depth=1
	s_or_b64 exec, exec, s[18:19]
	s_lshl_b64 s[14:15], s[16:17], 12
	v_lshl_add_u64 v[6:7], v[24:25], 0, s[14:15]
	v_cmp_lt_u64_e64 vcc, s[4:5], 57
	s_lshl_b32 s14, s10, 2
	s_add_i32 s14, s14, 28
	v_cndmask_b32_e32 v24, 0, v28, vcc
	v_and_b32_e32 v2, 0xffffff1f, v2
	s_and_b32 s14, s14, 0x1e0
	v_or_b32_e32 v2, v2, v24
	v_or_b32_e32 v2, s14, v2
	v_readfirstlane_b32 s14, v6
	v_readfirstlane_b32 s15, v7
	s_nop 4
	global_store_dwordx4 v26, v[2:5], s[14:15]
	global_store_dwordx4 v26, v[10:13], s[14:15] offset:16
	global_store_dwordx4 v26, v[14:17], s[14:15] offset:32
	;; [unrolled: 1-line block ×3, first 2 shown]
	s_and_saveexec_b64 s[14:15], s[0:1]
	s_cbranch_execz .LBB73_217
; %bb.210:                              ;   in Loop: Header=BB73_145 Depth=1
	global_load_dwordx2 v[14:15], v31, s[2:3] offset:32 sc0 sc1
	global_load_dwordx2 v[2:3], v31, s[2:3] offset:40
	v_mov_b32_e32 v12, s12
	v_mov_b32_e32 v13, s13
	s_waitcnt vmcnt(0)
	v_readfirstlane_b32 s16, v2
	v_readfirstlane_b32 s17, v3
	s_and_b64 s[16:17], s[16:17], s[12:13]
	s_mul_i32 s17, s17, 24
	s_mul_hi_u32 s18, s16, 24
	s_mul_i32 s16, s16, 24
	s_add_i32 s17, s18, s17
	v_lshl_add_u64 v[10:11], v[22:23], 0, s[16:17]
	global_store_dwordx2 v[10:11], v[14:15], off
	buffer_wbl2 sc0 sc1
	s_waitcnt vmcnt(0)
	global_atomic_cmpswap_x2 v[4:5], v31, v[12:15], s[2:3] offset:32 sc0 sc1
	s_waitcnt vmcnt(0)
	v_cmp_ne_u64_e32 vcc, v[4:5], v[14:15]
	s_and_saveexec_b64 s[16:17], vcc
	s_cbranch_execz .LBB73_213
; %bb.211:                              ;   in Loop: Header=BB73_145 Depth=1
	s_mov_b64 s[18:19], 0
.LBB73_212:                             ;   Parent Loop BB73_145 Depth=1
                                        ; =>  This Inner Loop Header: Depth=2
	s_sleep 1
	global_store_dwordx2 v[10:11], v[4:5], off
	v_mov_b32_e32 v2, s12
	v_mov_b32_e32 v3, s13
	buffer_wbl2 sc0 sc1
	s_waitcnt vmcnt(0)
	global_atomic_cmpswap_x2 v[2:3], v31, v[2:5], s[2:3] offset:32 sc0 sc1
	s_waitcnt vmcnt(0)
	v_cmp_eq_u64_e32 vcc, v[2:3], v[4:5]
	s_or_b64 s[18:19], vcc, s[18:19]
	v_mov_b64_e32 v[4:5], v[2:3]
	s_andn2_b64 exec, exec, s[18:19]
	s_cbranch_execnz .LBB73_212
.LBB73_213:                             ;   in Loop: Header=BB73_145 Depth=1
	s_or_b64 exec, exec, s[16:17]
	global_load_dwordx2 v[2:3], v31, s[2:3] offset:16
	s_mov_b64 s[18:19], exec
	v_mbcnt_lo_u32_b32 v4, s18, 0
	v_mbcnt_hi_u32_b32 v4, s19, v4
	v_cmp_eq_u32_e32 vcc, 0, v4
	s_and_saveexec_b64 s[16:17], vcc
	s_cbranch_execz .LBB73_215
; %bb.214:                              ;   in Loop: Header=BB73_145 Depth=1
	s_bcnt1_i32_b64 s18, s[18:19]
	v_mov_b32_e32 v30, s18
	buffer_wbl2 sc0 sc1
	s_waitcnt vmcnt(0)
	global_atomic_add_x2 v[2:3], v[30:31], off offset:8 sc1
.LBB73_215:                             ;   in Loop: Header=BB73_145 Depth=1
	s_or_b64 exec, exec, s[16:17]
	s_waitcnt vmcnt(0)
	global_load_dwordx2 v[4:5], v[2:3], off offset:16
	s_waitcnt vmcnt(0)
	v_cmp_eq_u64_e32 vcc, 0, v[4:5]
	s_cbranch_vccnz .LBB73_217
; %bb.216:                              ;   in Loop: Header=BB73_145 Depth=1
	global_load_dword v30, v[2:3], off offset:24
	s_waitcnt vmcnt(0)
	v_readfirstlane_b32 s16, v30
	s_and_b32 m0, s16, 0xffffff
	buffer_wbl2 sc0 sc1
	global_store_dwordx2 v[4:5], v[30:31], off sc0 sc1
	s_sendmsg sendmsg(MSG_INTERRUPT)
.LBB73_217:                             ;   in Loop: Header=BB73_145 Depth=1
	s_or_b64 exec, exec, s[14:15]
	v_mov_b32_e32 v27, v31
	v_lshl_add_u64 v[2:3], v[6:7], 0, v[26:27]
	s_branch .LBB73_221
.LBB73_218:                             ;   in Loop: Header=BB73_221 Depth=2
	s_or_b64 exec, exec, s[14:15]
	v_readfirstlane_b32 s14, v4
	s_cmp_eq_u32 s14, 0
	s_cbranch_scc1 .LBB73_220
; %bb.219:                              ;   in Loop: Header=BB73_221 Depth=2
	s_sleep 1
	s_cbranch_execnz .LBB73_221
	s_branch .LBB73_223
.LBB73_220:                             ;   in Loop: Header=BB73_145 Depth=1
	s_branch .LBB73_223
.LBB73_221:                             ;   Parent Loop BB73_145 Depth=1
                                        ; =>  This Inner Loop Header: Depth=2
	v_mov_b32_e32 v4, 1
	s_and_saveexec_b64 s[14:15], s[0:1]
	s_cbranch_execz .LBB73_218
; %bb.222:                              ;   in Loop: Header=BB73_221 Depth=2
	global_load_dword v4, v[32:33], off offset:20 sc0 sc1
	s_waitcnt vmcnt(0)
	buffer_inv sc0 sc1
	v_and_b32_e32 v4, 1, v4
	s_branch .LBB73_218
.LBB73_223:                             ;   in Loop: Header=BB73_145 Depth=1
	global_load_dwordx2 v[2:3], v[2:3], off
	s_and_saveexec_b64 s[14:15], s[0:1]
	s_cbranch_execz .LBB73_144
; %bb.224:                              ;   in Loop: Header=BB73_145 Depth=1
	global_load_dwordx2 v[4:5], v31, s[2:3] offset:40
	global_load_dwordx2 v[14:15], v31, s[2:3] offset:24 sc0 sc1
	global_load_dwordx2 v[6:7], v31, s[2:3]
	s_waitcnt vmcnt(2)
	v_readfirstlane_b32 s16, v4
	v_readfirstlane_b32 s17, v5
	s_add_u32 s18, s16, 1
	s_addc_u32 s19, s17, 0
	s_add_u32 s0, s18, s12
	s_addc_u32 s1, s19, s13
	s_cmp_eq_u64 s[0:1], 0
	s_cselect_b32 s1, s19, s1
	s_cselect_b32 s0, s18, s0
	s_and_b64 s[12:13], s[0:1], s[16:17]
	s_mul_i32 s13, s13, 24
	s_mul_hi_u32 s16, s12, 24
	s_mul_i32 s12, s12, 24
	s_add_i32 s13, s16, s13
	s_waitcnt vmcnt(0)
	v_lshl_add_u64 v[10:11], v[6:7], 0, s[12:13]
	v_mov_b32_e32 v12, s0
	global_store_dwordx2 v[10:11], v[14:15], off
	v_mov_b32_e32 v13, s1
	buffer_wbl2 sc0 sc1
	s_waitcnt vmcnt(0)
	global_atomic_cmpswap_x2 v[6:7], v31, v[12:15], s[2:3] offset:24 sc0 sc1
	s_waitcnt vmcnt(0)
	v_cmp_ne_u64_e32 vcc, v[6:7], v[14:15]
	s_and_b64 exec, exec, vcc
	s_cbranch_execz .LBB73_144
; %bb.225:                              ;   in Loop: Header=BB73_145 Depth=1
	s_mov_b64 s[12:13], 0
.LBB73_226:                             ;   Parent Loop BB73_145 Depth=1
                                        ; =>  This Inner Loop Header: Depth=2
	s_sleep 1
	global_store_dwordx2 v[10:11], v[6:7], off
	v_mov_b32_e32 v4, s0
	v_mov_b32_e32 v5, s1
	buffer_wbl2 sc0 sc1
	s_waitcnt vmcnt(0)
	global_atomic_cmpswap_x2 v[4:5], v31, v[4:7], s[2:3] offset:24 sc0 sc1
	s_waitcnt vmcnt(0)
	v_cmp_eq_u64_e32 vcc, v[4:5], v[6:7]
	s_or_b64 s[12:13], vcc, s[12:13]
	v_mov_b64_e32 v[6:7], v[4:5]
	s_andn2_b64 exec, exec, s[12:13]
	s_cbranch_execnz .LBB73_226
	s_branch .LBB73_144
.LBB73_227:
                                        ; implicit-def: $vgpr2_vgpr3
	s_cbranch_execnz .LBB73_229
	s_branch .LBB73_255
.LBB73_228:
	s_branch .LBB73_255
.LBB73_229:
	v_readfirstlane_b32 s0, v29
	s_waitcnt vmcnt(0)
	v_mov_b64_e32 v[2:3], 0
	v_cmp_eq_u32_e64 s[0:1], s0, v29
	s_and_saveexec_b64 s[4:5], s[0:1]
	s_cbranch_execz .LBB73_235
; %bb.230:
	v_mov_b32_e32 v4, 0
	global_load_dwordx2 v[8:9], v4, s[2:3] offset:24 sc0 sc1
	s_waitcnt vmcnt(0)
	buffer_inv sc0 sc1
	global_load_dwordx2 v[2:3], v4, s[2:3] offset:40
	global_load_dwordx2 v[6:7], v4, s[2:3]
	s_waitcnt vmcnt(1)
	v_and_b32_e32 v2, v2, v8
	v_and_b32_e32 v3, v3, v9
	v_mul_lo_u32 v3, v3, 24
	v_mul_hi_u32 v5, v2, 24
	v_add_u32_e32 v3, v5, v3
	v_mul_lo_u32 v2, v2, 24
	s_waitcnt vmcnt(0)
	v_lshl_add_u64 v[2:3], v[6:7], 0, v[2:3]
	global_load_dwordx2 v[6:7], v[2:3], off sc0 sc1
	s_waitcnt vmcnt(0)
	global_atomic_cmpswap_x2 v[2:3], v4, v[6:9], s[2:3] offset:24 sc0 sc1
	s_waitcnt vmcnt(0)
	buffer_inv sc0 sc1
	v_cmp_ne_u64_e32 vcc, v[2:3], v[8:9]
	s_and_saveexec_b64 s[6:7], vcc
	s_cbranch_execz .LBB73_234
; %bb.231:
	s_mov_b64 s[10:11], 0
.LBB73_232:                             ; =>This Inner Loop Header: Depth=1
	s_sleep 1
	global_load_dwordx2 v[6:7], v4, s[2:3] offset:40
	global_load_dwordx2 v[10:11], v4, s[2:3]
	v_mov_b64_e32 v[8:9], v[2:3]
	s_waitcnt vmcnt(1)
	v_and_b32_e32 v2, v6, v8
	s_waitcnt vmcnt(0)
	v_mad_u64_u32 v[2:3], s[12:13], v2, 24, v[10:11]
	v_and_b32_e32 v5, v7, v9
	v_mov_b32_e32 v6, v3
	v_mad_u64_u32 v[6:7], s[12:13], v5, 24, v[6:7]
	v_mov_b32_e32 v3, v6
	global_load_dwordx2 v[6:7], v[2:3], off sc0 sc1
	s_waitcnt vmcnt(0)
	global_atomic_cmpswap_x2 v[2:3], v4, v[6:9], s[2:3] offset:24 sc0 sc1
	s_waitcnt vmcnt(0)
	buffer_inv sc0 sc1
	v_cmp_eq_u64_e32 vcc, v[2:3], v[8:9]
	s_or_b64 s[10:11], vcc, s[10:11]
	s_andn2_b64 exec, exec, s[10:11]
	s_cbranch_execnz .LBB73_232
; %bb.233:
	s_or_b64 exec, exec, s[10:11]
.LBB73_234:
	s_or_b64 exec, exec, s[6:7]
.LBB73_235:
	s_or_b64 exec, exec, s[4:5]
	v_mov_b32_e32 v27, 0
	global_load_dwordx2 v[8:9], v27, s[2:3] offset:40
	global_load_dwordx4 v[4:7], v27, s[2:3]
	v_readfirstlane_b32 s5, v3
	v_readfirstlane_b32 s4, v2
	s_mov_b64 s[6:7], exec
	s_waitcnt vmcnt(1)
	v_readfirstlane_b32 s10, v8
	v_readfirstlane_b32 s11, v9
	s_and_b64 s[10:11], s[10:11], s[4:5]
	s_mul_i32 s12, s11, 24
	s_mul_hi_u32 s13, s10, 24
	s_add_i32 s13, s13, s12
	s_mul_i32 s12, s10, 24
	s_waitcnt vmcnt(0)
	v_lshl_add_u64 v[8:9], v[4:5], 0, s[12:13]
	s_and_saveexec_b64 s[12:13], s[0:1]
	s_cbranch_execz .LBB73_237
; %bb.236:
	v_mov_b64_e32 v[10:11], s[6:7]
	v_mov_b32_e32 v12, 2
	v_mov_b32_e32 v13, 1
	global_store_dwordx4 v[8:9], v[10:13], off offset:8
.LBB73_237:
	s_or_b64 exec, exec, s[12:13]
	s_lshl_b64 s[6:7], s[10:11], 12
	v_lshl_add_u64 v[6:7], v[6:7], 0, s[6:7]
	s_movk_i32 s6, 0xff1f
	s_mov_b32 s12, 0
	v_and_or_b32 v0, v0, s6, 32
	v_mov_b32_e32 v2, v27
	v_mov_b32_e32 v3, v27
	v_readfirstlane_b32 s6, v6
	v_readfirstlane_b32 s7, v7
	s_mov_b32 s13, s12
	s_mov_b32 s14, s12
	;; [unrolled: 1-line block ×3, first 2 shown]
	s_nop 1
	global_store_dwordx4 v26, v[0:3], s[6:7]
	s_nop 1
	v_mov_b64_e32 v[0:1], s[12:13]
	v_mov_b64_e32 v[2:3], s[14:15]
	global_store_dwordx4 v26, v[0:3], s[6:7] offset:16
	global_store_dwordx4 v26, v[0:3], s[6:7] offset:32
	;; [unrolled: 1-line block ×3, first 2 shown]
	s_and_saveexec_b64 s[6:7], s[0:1]
	s_cbranch_execz .LBB73_245
; %bb.238:
	v_mov_b32_e32 v10, 0
	global_load_dwordx2 v[14:15], v10, s[2:3] offset:32 sc0 sc1
	global_load_dwordx2 v[0:1], v10, s[2:3] offset:40
	v_mov_b32_e32 v12, s4
	v_mov_b32_e32 v13, s5
	s_waitcnt vmcnt(0)
	v_readfirstlane_b32 s10, v0
	v_readfirstlane_b32 s11, v1
	s_and_b64 s[10:11], s[10:11], s[4:5]
	s_mul_i32 s11, s11, 24
	s_mul_hi_u32 s12, s10, 24
	s_mul_i32 s10, s10, 24
	s_add_i32 s11, s12, s11
	v_lshl_add_u64 v[4:5], v[4:5], 0, s[10:11]
	global_store_dwordx2 v[4:5], v[14:15], off
	buffer_wbl2 sc0 sc1
	s_waitcnt vmcnt(0)
	global_atomic_cmpswap_x2 v[2:3], v10, v[12:15], s[2:3] offset:32 sc0 sc1
	s_waitcnt vmcnt(0)
	v_cmp_ne_u64_e32 vcc, v[2:3], v[14:15]
	s_and_saveexec_b64 s[10:11], vcc
	s_cbranch_execz .LBB73_241
; %bb.239:
	s_mov_b64 s[12:13], 0
.LBB73_240:                             ; =>This Inner Loop Header: Depth=1
	s_sleep 1
	global_store_dwordx2 v[4:5], v[2:3], off
	v_mov_b32_e32 v0, s4
	v_mov_b32_e32 v1, s5
	buffer_wbl2 sc0 sc1
	s_waitcnt vmcnt(0)
	global_atomic_cmpswap_x2 v[0:1], v10, v[0:3], s[2:3] offset:32 sc0 sc1
	s_waitcnt vmcnt(0)
	v_cmp_eq_u64_e32 vcc, v[0:1], v[2:3]
	s_or_b64 s[12:13], vcc, s[12:13]
	v_mov_b64_e32 v[2:3], v[0:1]
	s_andn2_b64 exec, exec, s[12:13]
	s_cbranch_execnz .LBB73_240
.LBB73_241:
	s_or_b64 exec, exec, s[10:11]
	v_mov_b32_e32 v3, 0
	global_load_dwordx2 v[0:1], v3, s[2:3] offset:16
	s_mov_b64 s[10:11], exec
	v_mbcnt_lo_u32_b32 v2, s10, 0
	v_mbcnt_hi_u32_b32 v2, s11, v2
	v_cmp_eq_u32_e32 vcc, 0, v2
	s_and_saveexec_b64 s[12:13], vcc
	s_cbranch_execz .LBB73_243
; %bb.242:
	s_bcnt1_i32_b64 s10, s[10:11]
	v_mov_b32_e32 v2, s10
	buffer_wbl2 sc0 sc1
	s_waitcnt vmcnt(0)
	global_atomic_add_x2 v[0:1], v[2:3], off offset:8 sc1
.LBB73_243:
	s_or_b64 exec, exec, s[12:13]
	s_waitcnt vmcnt(0)
	global_load_dwordx2 v[2:3], v[0:1], off offset:16
	s_waitcnt vmcnt(0)
	v_cmp_eq_u64_e32 vcc, 0, v[2:3]
	s_cbranch_vccnz .LBB73_245
; %bb.244:
	global_load_dword v0, v[0:1], off offset:24
	v_mov_b32_e32 v1, 0
	s_waitcnt vmcnt(0)
	v_readfirstlane_b32 s10, v0
	s_and_b32 m0, s10, 0xffffff
	buffer_wbl2 sc0 sc1
	global_store_dwordx2 v[2:3], v[0:1], off sc0 sc1
	s_sendmsg sendmsg(MSG_INTERRUPT)
.LBB73_245:
	s_or_b64 exec, exec, s[6:7]
	v_lshl_add_u64 v[0:1], v[6:7], 0, v[26:27]
	s_branch .LBB73_249
.LBB73_246:                             ;   in Loop: Header=BB73_249 Depth=1
	s_or_b64 exec, exec, s[6:7]
	v_readfirstlane_b32 s6, v2
	s_cmp_eq_u32 s6, 0
	s_cbranch_scc1 .LBB73_248
; %bb.247:                              ;   in Loop: Header=BB73_249 Depth=1
	s_sleep 1
	s_cbranch_execnz .LBB73_249
	s_branch .LBB73_251
.LBB73_248:
	s_branch .LBB73_251
.LBB73_249:                             ; =>This Inner Loop Header: Depth=1
	v_mov_b32_e32 v2, 1
	s_and_saveexec_b64 s[6:7], s[0:1]
	s_cbranch_execz .LBB73_246
; %bb.250:                              ;   in Loop: Header=BB73_249 Depth=1
	global_load_dword v2, v[8:9], off offset:20 sc0 sc1
	s_waitcnt vmcnt(0)
	buffer_inv sc0 sc1
	v_and_b32_e32 v2, 1, v2
	s_branch .LBB73_246
.LBB73_251:
	global_load_dwordx2 v[2:3], v[0:1], off
	s_and_saveexec_b64 s[6:7], s[0:1]
	s_cbranch_execz .LBB73_254
; %bb.252:
	v_mov_b32_e32 v8, 0
	global_load_dwordx2 v[0:1], v8, s[2:3] offset:40
	global_load_dwordx2 v[12:13], v8, s[2:3] offset:24 sc0 sc1
	global_load_dwordx2 v[4:5], v8, s[2:3]
	s_waitcnt vmcnt(2)
	v_readfirstlane_b32 s10, v0
	v_readfirstlane_b32 s11, v1
	s_add_u32 s12, s10, 1
	s_addc_u32 s13, s11, 0
	s_add_u32 s0, s12, s4
	s_addc_u32 s1, s13, s5
	s_cmp_eq_u64 s[0:1], 0
	s_cselect_b32 s1, s13, s1
	s_cselect_b32 s0, s12, s0
	s_and_b64 s[4:5], s[0:1], s[10:11]
	s_mul_i32 s5, s5, 24
	s_mul_hi_u32 s10, s4, 24
	s_mul_i32 s4, s4, 24
	s_add_i32 s5, s10, s5
	s_waitcnt vmcnt(0)
	v_lshl_add_u64 v[0:1], v[4:5], 0, s[4:5]
	v_mov_b32_e32 v10, s0
	global_store_dwordx2 v[0:1], v[12:13], off
	v_mov_b32_e32 v11, s1
	buffer_wbl2 sc0 sc1
	s_waitcnt vmcnt(0)
	global_atomic_cmpswap_x2 v[6:7], v8, v[10:13], s[2:3] offset:24 sc0 sc1
	s_mov_b64 s[4:5], 0
	s_waitcnt vmcnt(0)
	v_cmp_ne_u64_e32 vcc, v[6:7], v[12:13]
	s_and_b64 exec, exec, vcc
	s_cbranch_execz .LBB73_254
.LBB73_253:                             ; =>This Inner Loop Header: Depth=1
	s_sleep 1
	global_store_dwordx2 v[0:1], v[6:7], off
	v_mov_b32_e32 v4, s0
	v_mov_b32_e32 v5, s1
	buffer_wbl2 sc0 sc1
	s_waitcnt vmcnt(0)
	global_atomic_cmpswap_x2 v[4:5], v8, v[4:7], s[2:3] offset:24 sc0 sc1
	s_waitcnt vmcnt(0)
	v_cmp_eq_u64_e32 vcc, v[4:5], v[6:7]
	s_or_b64 s[4:5], vcc, s[4:5]
	v_mov_b64_e32 v[6:7], v[4:5]
	s_andn2_b64 exec, exec, s[4:5]
	s_cbranch_execnz .LBB73_253
.LBB73_254:
	s_or_b64 exec, exec, s[6:7]
.LBB73_255:
	v_readfirstlane_b32 s0, v29
	s_waitcnt vmcnt(0)
	v_mov_b64_e32 v[0:1], 0
	v_cmp_eq_u32_e64 s[0:1], s0, v29
	s_and_saveexec_b64 s[4:5], s[0:1]
	s_cbranch_execz .LBB73_261
; %bb.256:
	v_mov_b32_e32 v4, 0
	global_load_dwordx2 v[8:9], v4, s[2:3] offset:24 sc0 sc1
	s_waitcnt vmcnt(0)
	buffer_inv sc0 sc1
	global_load_dwordx2 v[0:1], v4, s[2:3] offset:40
	global_load_dwordx2 v[6:7], v4, s[2:3]
	s_waitcnt vmcnt(1)
	v_and_b32_e32 v0, v0, v8
	v_and_b32_e32 v1, v1, v9
	v_mul_lo_u32 v1, v1, 24
	v_mul_hi_u32 v5, v0, 24
	v_add_u32_e32 v1, v5, v1
	v_mul_lo_u32 v0, v0, 24
	s_waitcnt vmcnt(0)
	v_lshl_add_u64 v[0:1], v[6:7], 0, v[0:1]
	global_load_dwordx2 v[6:7], v[0:1], off sc0 sc1
	s_waitcnt vmcnt(0)
	global_atomic_cmpswap_x2 v[0:1], v4, v[6:9], s[2:3] offset:24 sc0 sc1
	s_waitcnt vmcnt(0)
	buffer_inv sc0 sc1
	v_cmp_ne_u64_e32 vcc, v[0:1], v[8:9]
	s_and_saveexec_b64 s[6:7], vcc
	s_cbranch_execz .LBB73_260
; %bb.257:
	s_mov_b64 s[10:11], 0
.LBB73_258:                             ; =>This Inner Loop Header: Depth=1
	s_sleep 1
	global_load_dwordx2 v[6:7], v4, s[2:3] offset:40
	global_load_dwordx2 v[10:11], v4, s[2:3]
	v_mov_b64_e32 v[8:9], v[0:1]
	s_waitcnt vmcnt(1)
	v_and_b32_e32 v0, v6, v8
	s_waitcnt vmcnt(0)
	v_mad_u64_u32 v[0:1], s[12:13], v0, 24, v[10:11]
	v_and_b32_e32 v5, v7, v9
	v_mov_b32_e32 v6, v1
	v_mad_u64_u32 v[6:7], s[12:13], v5, 24, v[6:7]
	v_mov_b32_e32 v1, v6
	global_load_dwordx2 v[6:7], v[0:1], off sc0 sc1
	s_waitcnt vmcnt(0)
	global_atomic_cmpswap_x2 v[0:1], v4, v[6:9], s[2:3] offset:24 sc0 sc1
	s_waitcnt vmcnt(0)
	buffer_inv sc0 sc1
	v_cmp_eq_u64_e32 vcc, v[0:1], v[8:9]
	s_or_b64 s[10:11], vcc, s[10:11]
	s_andn2_b64 exec, exec, s[10:11]
	s_cbranch_execnz .LBB73_258
; %bb.259:
	s_or_b64 exec, exec, s[10:11]
.LBB73_260:
	s_or_b64 exec, exec, s[6:7]
.LBB73_261:
	s_or_b64 exec, exec, s[4:5]
	v_mov_b32_e32 v27, 0
	global_load_dwordx2 v[4:5], v27, s[2:3] offset:40
	global_load_dwordx4 v[6:9], v27, s[2:3]
	v_readfirstlane_b32 s5, v1
	v_readfirstlane_b32 s4, v0
	s_mov_b64 s[6:7], exec
	s_waitcnt vmcnt(1)
	v_readfirstlane_b32 s10, v4
	v_readfirstlane_b32 s11, v5
	s_and_b64 s[10:11], s[10:11], s[4:5]
	s_mul_i32 s12, s11, 24
	s_mul_hi_u32 s13, s10, 24
	s_add_i32 s13, s13, s12
	s_mul_i32 s12, s10, 24
	s_waitcnt vmcnt(0)
	v_lshl_add_u64 v[10:11], v[6:7], 0, s[12:13]
	s_and_saveexec_b64 s[12:13], s[0:1]
	s_cbranch_execz .LBB73_263
; %bb.262:
	v_mov_b64_e32 v[12:13], s[6:7]
	v_mov_b32_e32 v14, 2
	v_mov_b32_e32 v15, 1
	global_store_dwordx4 v[10:11], v[12:15], off offset:8
.LBB73_263:
	s_or_b64 exec, exec, s[12:13]
	s_lshl_b64 s[6:7], s[10:11], 12
	v_lshl_add_u64 v[8:9], v[8:9], 0, s[6:7]
	s_movk_i32 s6, 0xff1f
	s_mov_b32 s12, 0
	v_and_or_b32 v2, v2, s6, 32
	v_mov_b32_e32 v4, 0x347
	v_mov_b32_e32 v5, v27
	v_readfirstlane_b32 s6, v8
	v_readfirstlane_b32 s7, v9
	s_mov_b32 s13, s12
	s_mov_b32 s14, s12
	;; [unrolled: 1-line block ×3, first 2 shown]
	s_nop 1
	global_store_dwordx4 v26, v[2:5], s[6:7]
	v_mov_b64_e32 v[0:1], s[12:13]
	s_nop 0
	v_mov_b64_e32 v[2:3], s[14:15]
	global_store_dwordx4 v26, v[0:3], s[6:7] offset:16
	global_store_dwordx4 v26, v[0:3], s[6:7] offset:32
	global_store_dwordx4 v26, v[0:3], s[6:7] offset:48
	s_and_saveexec_b64 s[6:7], s[0:1]
	s_cbranch_execz .LBB73_271
; %bb.264:
	v_mov_b32_e32 v12, 0
	global_load_dwordx2 v[16:17], v12, s[2:3] offset:32 sc0 sc1
	global_load_dwordx2 v[0:1], v12, s[2:3] offset:40
	v_mov_b32_e32 v14, s4
	v_mov_b32_e32 v15, s5
	s_waitcnt vmcnt(0)
	v_readfirstlane_b32 s10, v0
	v_readfirstlane_b32 s11, v1
	s_and_b64 s[10:11], s[10:11], s[4:5]
	s_mul_i32 s11, s11, 24
	s_mul_hi_u32 s12, s10, 24
	s_mul_i32 s10, s10, 24
	s_add_i32 s11, s12, s11
	v_lshl_add_u64 v[4:5], v[6:7], 0, s[10:11]
	global_store_dwordx2 v[4:5], v[16:17], off
	buffer_wbl2 sc0 sc1
	s_waitcnt vmcnt(0)
	global_atomic_cmpswap_x2 v[2:3], v12, v[14:17], s[2:3] offset:32 sc0 sc1
	s_waitcnt vmcnt(0)
	v_cmp_ne_u64_e32 vcc, v[2:3], v[16:17]
	s_and_saveexec_b64 s[10:11], vcc
	s_cbranch_execz .LBB73_267
; %bb.265:
	s_mov_b64 s[12:13], 0
.LBB73_266:                             ; =>This Inner Loop Header: Depth=1
	s_sleep 1
	global_store_dwordx2 v[4:5], v[2:3], off
	v_mov_b32_e32 v0, s4
	v_mov_b32_e32 v1, s5
	buffer_wbl2 sc0 sc1
	s_waitcnt vmcnt(0)
	global_atomic_cmpswap_x2 v[0:1], v12, v[0:3], s[2:3] offset:32 sc0 sc1
	s_waitcnt vmcnt(0)
	v_cmp_eq_u64_e32 vcc, v[0:1], v[2:3]
	s_or_b64 s[12:13], vcc, s[12:13]
	v_mov_b64_e32 v[2:3], v[0:1]
	s_andn2_b64 exec, exec, s[12:13]
	s_cbranch_execnz .LBB73_266
.LBB73_267:
	s_or_b64 exec, exec, s[10:11]
	v_mov_b32_e32 v3, 0
	global_load_dwordx2 v[0:1], v3, s[2:3] offset:16
	s_mov_b64 s[10:11], exec
	v_mbcnt_lo_u32_b32 v2, s10, 0
	v_mbcnt_hi_u32_b32 v2, s11, v2
	v_cmp_eq_u32_e32 vcc, 0, v2
	s_and_saveexec_b64 s[12:13], vcc
	s_cbranch_execz .LBB73_269
; %bb.268:
	s_bcnt1_i32_b64 s10, s[10:11]
	v_mov_b32_e32 v2, s10
	buffer_wbl2 sc0 sc1
	s_waitcnt vmcnt(0)
	global_atomic_add_x2 v[0:1], v[2:3], off offset:8 sc1
.LBB73_269:
	s_or_b64 exec, exec, s[12:13]
	s_waitcnt vmcnt(0)
	global_load_dwordx2 v[2:3], v[0:1], off offset:16
	s_waitcnt vmcnt(0)
	v_cmp_eq_u64_e32 vcc, 0, v[2:3]
	s_cbranch_vccnz .LBB73_271
; %bb.270:
	global_load_dword v0, v[0:1], off offset:24
	v_mov_b32_e32 v1, 0
	s_waitcnt vmcnt(0)
	v_readfirstlane_b32 s10, v0
	s_and_b32 m0, s10, 0xffffff
	buffer_wbl2 sc0 sc1
	global_store_dwordx2 v[2:3], v[0:1], off sc0 sc1
	s_sendmsg sendmsg(MSG_INTERRUPT)
.LBB73_271:
	s_or_b64 exec, exec, s[6:7]
	v_lshl_add_u64 v[0:1], v[8:9], 0, v[26:27]
	s_branch .LBB73_275
.LBB73_272:                             ;   in Loop: Header=BB73_275 Depth=1
	s_or_b64 exec, exec, s[6:7]
	v_readfirstlane_b32 s6, v2
	s_cmp_eq_u32 s6, 0
	s_cbranch_scc1 .LBB73_274
; %bb.273:                              ;   in Loop: Header=BB73_275 Depth=1
	s_sleep 1
	s_cbranch_execnz .LBB73_275
	s_branch .LBB73_277
.LBB73_274:
	s_branch .LBB73_277
.LBB73_275:                             ; =>This Inner Loop Header: Depth=1
	v_mov_b32_e32 v2, 1
	s_and_saveexec_b64 s[6:7], s[0:1]
	s_cbranch_execz .LBB73_272
; %bb.276:                              ;   in Loop: Header=BB73_275 Depth=1
	global_load_dword v2, v[10:11], off offset:20 sc0 sc1
	s_waitcnt vmcnt(0)
	buffer_inv sc0 sc1
	v_and_b32_e32 v2, 1, v2
	s_branch .LBB73_272
.LBB73_277:
	global_load_dwordx2 v[0:1], v[0:1], off
	s_and_saveexec_b64 s[6:7], s[0:1]
	s_cbranch_execz .LBB73_280
; %bb.278:
	v_mov_b32_e32 v8, 0
	global_load_dwordx2 v[2:3], v8, s[2:3] offset:40
	global_load_dwordx2 v[12:13], v8, s[2:3] offset:24 sc0 sc1
	global_load_dwordx2 v[4:5], v8, s[2:3]
	s_waitcnt vmcnt(2)
	v_readfirstlane_b32 s10, v2
	v_readfirstlane_b32 s11, v3
	s_add_u32 s12, s10, 1
	s_addc_u32 s13, s11, 0
	s_add_u32 s0, s12, s4
	s_addc_u32 s1, s13, s5
	s_cmp_eq_u64 s[0:1], 0
	s_cselect_b32 s1, s13, s1
	s_cselect_b32 s0, s12, s0
	s_and_b64 s[4:5], s[0:1], s[10:11]
	s_mul_i32 s5, s5, 24
	s_mul_hi_u32 s10, s4, 24
	s_mul_i32 s4, s4, 24
	s_add_i32 s5, s10, s5
	s_waitcnt vmcnt(0)
	v_lshl_add_u64 v[6:7], v[4:5], 0, s[4:5]
	v_mov_b32_e32 v10, s0
	global_store_dwordx2 v[6:7], v[12:13], off
	v_mov_b32_e32 v11, s1
	buffer_wbl2 sc0 sc1
	s_waitcnt vmcnt(0)
	global_atomic_cmpswap_x2 v[4:5], v8, v[10:13], s[2:3] offset:24 sc0 sc1
	s_mov_b64 s[4:5], 0
	s_waitcnt vmcnt(0)
	v_cmp_ne_u64_e32 vcc, v[4:5], v[12:13]
	s_and_b64 exec, exec, vcc
	s_cbranch_execz .LBB73_280
.LBB73_279:                             ; =>This Inner Loop Header: Depth=1
	s_sleep 1
	global_store_dwordx2 v[6:7], v[4:5], off
	v_mov_b32_e32 v2, s0
	v_mov_b32_e32 v3, s1
	buffer_wbl2 sc0 sc1
	s_waitcnt vmcnt(0)
	global_atomic_cmpswap_x2 v[2:3], v8, v[2:5], s[2:3] offset:24 sc0 sc1
	s_waitcnt vmcnt(0)
	v_cmp_eq_u64_e32 vcc, v[2:3], v[4:5]
	s_or_b64 s[4:5], vcc, s[4:5]
	v_mov_b64_e32 v[4:5], v[2:3]
	s_andn2_b64 exec, exec, s[4:5]
	s_cbranch_execnz .LBB73_279
.LBB73_280:
	s_or_b64 exec, exec, s[6:7]
	s_getpc_b64 s[0:1]
	s_add_u32 s0, s0, __FUNCTION__._ZL15flash_attn_tileILi112ELi112ELi8ELi8ELb1EEvPKcS1_S1_S1_S1_PKiPfP15HIP_vector_typeIfLj2EEffffjfiS5_IjLj3EEiiiiiiiiiiiliiliiiiil@rel32@lo+4
	s_addc_u32 s1, s1, __FUNCTION__._ZL15flash_attn_tileILi112ELi112ELi8ELi8ELb1EEvPKcS1_S1_S1_S1_PKiPfP15HIP_vector_typeIfLj2EEffffjfiS5_IjLj3EEiiiiiiiiiiiliiliiiiil@rel32@hi+12
	s_cmp_lg_u64 s[0:1], 0
	s_cselect_b32 s4, 16, 0
	s_getpc_b64 s[2:3]
	s_add_u32 s2, s2, __ockl_printf_append_string_n@rel32@lo+4
	s_addc_u32 s3, s3, __ockl_printf_append_string_n@rel32@hi+12
	v_mov_b32_e32 v2, s0
	v_mov_b32_e32 v3, s1
	;; [unrolled: 1-line block ×4, first 2 shown]
	s_mov_b64 s[18:19], s[8:9]
	s_swappc_b64 s[30:31], s[2:3]
	s_getpc_b64 s[0:1]
	s_add_u32 s0, s0, __ockl_printf_append_args@rel32@lo+4
	s_addc_u32 s1, s1, __ockl_printf_append_args@rel32@hi+12
	s_mov_b64 s[8:9], s[18:19]
	v_mov_b32_e32 v2, 0x514
	v_mov_b32_e32 v3, 0
	;; [unrolled: 1-line block ×3, first 2 shown]
	s_swappc_b64 s[30:31], s[0:1]
	s_trap 2
.Lfunc_end73:
	.size	_ZL14no_device_codePKciS0_iS0_, .Lfunc_end73-_ZL14no_device_codePKciS0_iS0_
                                        ; -- End function
	.set .L_ZL14no_device_codePKciS0_iS0_.num_vgpr, max(36, .L__ockl_printf_append_string_n.num_vgpr, .L__ockl_printf_append_args.num_vgpr)
	.set .L_ZL14no_device_codePKciS0_iS0_.num_agpr, max(0, .L__ockl_printf_append_string_n.num_agpr, .L__ockl_printf_append_args.num_agpr)
	.set .L_ZL14no_device_codePKciS0_iS0_.numbered_sgpr, max(34, .L__ockl_printf_append_string_n.numbered_sgpr, .L__ockl_printf_append_args.numbered_sgpr)
	.set .L_ZL14no_device_codePKciS0_iS0_.num_named_barrier, max(0, .L__ockl_printf_append_string_n.num_named_barrier, .L__ockl_printf_append_args.num_named_barrier)
	.set .L_ZL14no_device_codePKciS0_iS0_.private_seg_size, 16+max(.L__ockl_printf_append_string_n.private_seg_size, .L__ockl_printf_append_args.private_seg_size)
	.set .L_ZL14no_device_codePKciS0_iS0_.uses_vcc, or(1, .L__ockl_printf_append_string_n.uses_vcc, .L__ockl_printf_append_args.uses_vcc)
	.set .L_ZL14no_device_codePKciS0_iS0_.uses_flat_scratch, or(0, .L__ockl_printf_append_string_n.uses_flat_scratch, .L__ockl_printf_append_args.uses_flat_scratch)
	.set .L_ZL14no_device_codePKciS0_iS0_.has_dyn_sized_stack, or(0, .L__ockl_printf_append_string_n.has_dyn_sized_stack, .L__ockl_printf_append_args.has_dyn_sized_stack)
	.set .L_ZL14no_device_codePKciS0_iS0_.has_recursion, or(0, .L__ockl_printf_append_string_n.has_recursion, .L__ockl_printf_append_args.has_recursion)
	.set .L_ZL14no_device_codePKciS0_iS0_.has_indirect_call, or(0, .L__ockl_printf_append_string_n.has_indirect_call, .L__ockl_printf_append_args.has_indirect_call)
	.section	.AMDGPU.csdata,"",@progbits
; Function info:
; codeLenInByte = 9536
; TotalNumSgprs: 40
; NumVgprs: 50
; NumAgprs: 0
; TotalNumVgprs: 50
; ScratchSize: 16
; MemoryBound: 0
	.section	.text._ZL15flash_attn_tileILi112ELi112ELi8ELi8ELb1EEvPKcS1_S1_S1_S1_PKiPfP15HIP_vector_typeIfLj2EEffffjfiS5_IjLj3EEiiiiiiiiiiiliiliiiiil,"axG",@progbits,_ZL15flash_attn_tileILi112ELi112ELi8ELi8ELb1EEvPKcS1_S1_S1_S1_PKiPfP15HIP_vector_typeIfLj2EEffffjfiS5_IjLj3EEiiiiiiiiiiiliiliiiiil,comdat
	.globl	_ZL15flash_attn_tileILi112ELi112ELi8ELi8ELb1EEvPKcS1_S1_S1_S1_PKiPfP15HIP_vector_typeIfLj2EEffffjfiS5_IjLj3EEiiiiiiiiiiiliiliiiiil ; -- Begin function _ZL15flash_attn_tileILi112ELi112ELi8ELi8ELb1EEvPKcS1_S1_S1_S1_PKiPfP15HIP_vector_typeIfLj2EEffffjfiS5_IjLj3EEiiiiiiiiiiiliiliiiiil
	.p2align	8
	.type	_ZL15flash_attn_tileILi112ELi112ELi8ELi8ELb1EEvPKcS1_S1_S1_S1_PKiPfP15HIP_vector_typeIfLj2EEffffjfiS5_IjLj3EEiiiiiiiiiiiliiliiiiil,@function
_ZL15flash_attn_tileILi112ELi112ELi8ELi8ELb1EEvPKcS1_S1_S1_S1_PKiPfP15HIP_vector_typeIfLj2EEffffjfiS5_IjLj3EEiiiiiiiiiiiliiliiiiil: ; @_ZL15flash_attn_tileILi112ELi112ELi8ELi8ELb1EEvPKcS1_S1_S1_S1_PKiPfP15HIP_vector_typeIfLj2EEffffjfiS5_IjLj3EEiiiiiiiiiiiliiliiiiil
; %bb.0:
	s_add_u32 s8, s0, 0xd0
	s_addc_u32 s9, s1, 0
	s_getpc_b64 s[0:1]
	s_add_u32 s0, s0, _ZL14no_device_codePKciS0_iS0_@rel32@lo+4
	s_addc_u32 s1, s1, _ZL14no_device_codePKciS0_iS0_@rel32@hi+12
	s_mov_b32 s32, 0
	s_swappc_b64 s[30:31], s[0:1]
	.section	.rodata,"a",@progbits
	.p2align	6, 0x0
	.amdhsa_kernel _ZL15flash_attn_tileILi112ELi112ELi8ELi8ELb1EEvPKcS1_S1_S1_S1_PKiPfP15HIP_vector_typeIfLj2EEffffjfiS5_IjLj3EEiiiiiiiiiiiliiliiiiil
		.amdhsa_group_segment_fixed_size 0
		.amdhsa_private_segment_fixed_size 16
		.amdhsa_kernarg_size 464
		.amdhsa_user_sgpr_count 2
		.amdhsa_user_sgpr_dispatch_ptr 0
		.amdhsa_user_sgpr_queue_ptr 0
		.amdhsa_user_sgpr_kernarg_segment_ptr 1
		.amdhsa_user_sgpr_dispatch_id 0
		.amdhsa_user_sgpr_kernarg_preload_length 0
		.amdhsa_user_sgpr_kernarg_preload_offset 0
		.amdhsa_user_sgpr_private_segment_size 0
		.amdhsa_uses_dynamic_stack 0
		.amdhsa_enable_private_segment 1
		.amdhsa_system_sgpr_workgroup_id_x 1
		.amdhsa_system_sgpr_workgroup_id_y 0
		.amdhsa_system_sgpr_workgroup_id_z 0
		.amdhsa_system_sgpr_workgroup_info 0
		.amdhsa_system_vgpr_workitem_id 0
		.amdhsa_next_free_vgpr 50
		.amdhsa_next_free_sgpr 34
		.amdhsa_accum_offset 52
		.amdhsa_reserve_vcc 1
		.amdhsa_float_round_mode_32 0
		.amdhsa_float_round_mode_16_64 0
		.amdhsa_float_denorm_mode_32 3
		.amdhsa_float_denorm_mode_16_64 3
		.amdhsa_dx10_clamp 1
		.amdhsa_ieee_mode 1
		.amdhsa_fp16_overflow 0
		.amdhsa_tg_split 0
		.amdhsa_exception_fp_ieee_invalid_op 0
		.amdhsa_exception_fp_denorm_src 0
		.amdhsa_exception_fp_ieee_div_zero 0
		.amdhsa_exception_fp_ieee_overflow 0
		.amdhsa_exception_fp_ieee_underflow 0
		.amdhsa_exception_fp_ieee_inexact 0
		.amdhsa_exception_int_div_zero 0
	.end_amdhsa_kernel
	.section	.text._ZL15flash_attn_tileILi112ELi112ELi8ELi8ELb1EEvPKcS1_S1_S1_S1_PKiPfP15HIP_vector_typeIfLj2EEffffjfiS5_IjLj3EEiiiiiiiiiiiliiliiiiil,"axG",@progbits,_ZL15flash_attn_tileILi112ELi112ELi8ELi8ELb1EEvPKcS1_S1_S1_S1_PKiPfP15HIP_vector_typeIfLj2EEffffjfiS5_IjLj3EEiiiiiiiiiiiliiliiiiil,comdat
.Lfunc_end74:
	.size	_ZL15flash_attn_tileILi112ELi112ELi8ELi8ELb1EEvPKcS1_S1_S1_S1_PKiPfP15HIP_vector_typeIfLj2EEffffjfiS5_IjLj3EEiiiiiiiiiiiliiliiiiil, .Lfunc_end74-_ZL15flash_attn_tileILi112ELi112ELi8ELi8ELb1EEvPKcS1_S1_S1_S1_PKiPfP15HIP_vector_typeIfLj2EEffffjfiS5_IjLj3EEiiiiiiiiiiiliiliiiiil
                                        ; -- End function
	.set _ZL15flash_attn_tileILi112ELi112ELi8ELi8ELb1EEvPKcS1_S1_S1_S1_PKiPfP15HIP_vector_typeIfLj2EEffffjfiS5_IjLj3EEiiiiiiiiiiiliiliiiiil.num_vgpr, max(0, .L_ZL14no_device_codePKciS0_iS0_.num_vgpr)
	.set _ZL15flash_attn_tileILi112ELi112ELi8ELi8ELb1EEvPKcS1_S1_S1_S1_PKiPfP15HIP_vector_typeIfLj2EEffffjfiS5_IjLj3EEiiiiiiiiiiiliiliiiiil.num_agpr, max(0, .L_ZL14no_device_codePKciS0_iS0_.num_agpr)
	.set _ZL15flash_attn_tileILi112ELi112ELi8ELi8ELb1EEvPKcS1_S1_S1_S1_PKiPfP15HIP_vector_typeIfLj2EEffffjfiS5_IjLj3EEiiiiiiiiiiiliiliiiiil.numbered_sgpr, max(33, .L_ZL14no_device_codePKciS0_iS0_.numbered_sgpr)
	.set _ZL15flash_attn_tileILi112ELi112ELi8ELi8ELb1EEvPKcS1_S1_S1_S1_PKiPfP15HIP_vector_typeIfLj2EEffffjfiS5_IjLj3EEiiiiiiiiiiiliiliiiiil.num_named_barrier, max(0, .L_ZL14no_device_codePKciS0_iS0_.num_named_barrier)
	.set _ZL15flash_attn_tileILi112ELi112ELi8ELi8ELb1EEvPKcS1_S1_S1_S1_PKiPfP15HIP_vector_typeIfLj2EEffffjfiS5_IjLj3EEiiiiiiiiiiiliiliiiiil.private_seg_size, 0+max(.L_ZL14no_device_codePKciS0_iS0_.private_seg_size)
	.set _ZL15flash_attn_tileILi112ELi112ELi8ELi8ELb1EEvPKcS1_S1_S1_S1_PKiPfP15HIP_vector_typeIfLj2EEffffjfiS5_IjLj3EEiiiiiiiiiiiliiliiiiil.uses_vcc, or(1, .L_ZL14no_device_codePKciS0_iS0_.uses_vcc)
	.set _ZL15flash_attn_tileILi112ELi112ELi8ELi8ELb1EEvPKcS1_S1_S1_S1_PKiPfP15HIP_vector_typeIfLj2EEffffjfiS5_IjLj3EEiiiiiiiiiiiliiliiiiil.uses_flat_scratch, or(0, .L_ZL14no_device_codePKciS0_iS0_.uses_flat_scratch)
	.set _ZL15flash_attn_tileILi112ELi112ELi8ELi8ELb1EEvPKcS1_S1_S1_S1_PKiPfP15HIP_vector_typeIfLj2EEffffjfiS5_IjLj3EEiiiiiiiiiiiliiliiiiil.has_dyn_sized_stack, or(0, .L_ZL14no_device_codePKciS0_iS0_.has_dyn_sized_stack)
	.set _ZL15flash_attn_tileILi112ELi112ELi8ELi8ELb1EEvPKcS1_S1_S1_S1_PKiPfP15HIP_vector_typeIfLj2EEffffjfiS5_IjLj3EEiiiiiiiiiiiliiliiiiil.has_recursion, or(0, .L_ZL14no_device_codePKciS0_iS0_.has_recursion)
	.set _ZL15flash_attn_tileILi112ELi112ELi8ELi8ELb1EEvPKcS1_S1_S1_S1_PKiPfP15HIP_vector_typeIfLj2EEffffjfiS5_IjLj3EEiiiiiiiiiiiliiliiiiil.has_indirect_call, or(0, .L_ZL14no_device_codePKciS0_iS0_.has_indirect_call)
	.section	.AMDGPU.csdata,"",@progbits
; Kernel info:
; codeLenInByte = 40
; TotalNumSgprs: 40
; NumVgprs: 50
; NumAgprs: 0
; TotalNumVgprs: 50
; ScratchSize: 16
; MemoryBound: 0
; FloatMode: 240
; IeeeMode: 1
; LDSByteSize: 0 bytes/workgroup (compile time only)
; SGPRBlocks: 4
; VGPRBlocks: 6
; NumSGPRsForWavesPerEU: 40
; NumVGPRsForWavesPerEU: 50
; AccumOffset: 52
; Occupancy: 8
; WaveLimiterHint : 1
; COMPUTE_PGM_RSRC2:SCRATCH_EN: 1
; COMPUTE_PGM_RSRC2:USER_SGPR: 2
; COMPUTE_PGM_RSRC2:TRAP_HANDLER: 0
; COMPUTE_PGM_RSRC2:TGID_X_EN: 1
; COMPUTE_PGM_RSRC2:TGID_Y_EN: 0
; COMPUTE_PGM_RSRC2:TGID_Z_EN: 0
; COMPUTE_PGM_RSRC2:TIDIG_COMP_CNT: 0
; COMPUTE_PGM_RSRC3_GFX90A:ACCUM_OFFSET: 12
; COMPUTE_PGM_RSRC3_GFX90A:TG_SPLIT: 0
	.section	.text._ZL15flash_attn_tileILi112ELi112ELi4ELi8ELb1EEvPKcS1_S1_S1_S1_PKiPfP15HIP_vector_typeIfLj2EEffffjfiS5_IjLj3EEiiiiiiiiiiiliiliiiiil,"axG",@progbits,_ZL15flash_attn_tileILi112ELi112ELi4ELi8ELb1EEvPKcS1_S1_S1_S1_PKiPfP15HIP_vector_typeIfLj2EEffffjfiS5_IjLj3EEiiiiiiiiiiiliiliiiiil,comdat
	.globl	_ZL15flash_attn_tileILi112ELi112ELi4ELi8ELb1EEvPKcS1_S1_S1_S1_PKiPfP15HIP_vector_typeIfLj2EEffffjfiS5_IjLj3EEiiiiiiiiiiiliiliiiiil ; -- Begin function _ZL15flash_attn_tileILi112ELi112ELi4ELi8ELb1EEvPKcS1_S1_S1_S1_PKiPfP15HIP_vector_typeIfLj2EEffffjfiS5_IjLj3EEiiiiiiiiiiiliiliiiiil
	.p2align	8
	.type	_ZL15flash_attn_tileILi112ELi112ELi4ELi8ELb1EEvPKcS1_S1_S1_S1_PKiPfP15HIP_vector_typeIfLj2EEffffjfiS5_IjLj3EEiiiiiiiiiiiliiliiiiil,@function
_ZL15flash_attn_tileILi112ELi112ELi4ELi8ELb1EEvPKcS1_S1_S1_S1_PKiPfP15HIP_vector_typeIfLj2EEffffjfiS5_IjLj3EEiiiiiiiiiiiliiliiiiil: ; @_ZL15flash_attn_tileILi112ELi112ELi4ELi8ELb1EEvPKcS1_S1_S1_S1_PKiPfP15HIP_vector_typeIfLj2EEffffjfiS5_IjLj3EEiiiiiiiiiiiliiliiiiil
; %bb.0:
	s_add_u32 s8, s0, 0xd0
	s_addc_u32 s9, s1, 0
	s_getpc_b64 s[0:1]
	s_add_u32 s0, s0, _ZL14no_device_codePKciS0_iS0_@rel32@lo+4
	s_addc_u32 s1, s1, _ZL14no_device_codePKciS0_iS0_@rel32@hi+12
	s_mov_b32 s32, 0
	s_swappc_b64 s[30:31], s[0:1]
	.section	.rodata,"a",@progbits
	.p2align	6, 0x0
	.amdhsa_kernel _ZL15flash_attn_tileILi112ELi112ELi4ELi8ELb1EEvPKcS1_S1_S1_S1_PKiPfP15HIP_vector_typeIfLj2EEffffjfiS5_IjLj3EEiiiiiiiiiiiliiliiiiil
		.amdhsa_group_segment_fixed_size 0
		.amdhsa_private_segment_fixed_size 16
		.amdhsa_kernarg_size 464
		.amdhsa_user_sgpr_count 2
		.amdhsa_user_sgpr_dispatch_ptr 0
		.amdhsa_user_sgpr_queue_ptr 0
		.amdhsa_user_sgpr_kernarg_segment_ptr 1
		.amdhsa_user_sgpr_dispatch_id 0
		.amdhsa_user_sgpr_kernarg_preload_length 0
		.amdhsa_user_sgpr_kernarg_preload_offset 0
		.amdhsa_user_sgpr_private_segment_size 0
		.amdhsa_uses_dynamic_stack 0
		.amdhsa_enable_private_segment 1
		.amdhsa_system_sgpr_workgroup_id_x 1
		.amdhsa_system_sgpr_workgroup_id_y 0
		.amdhsa_system_sgpr_workgroup_id_z 0
		.amdhsa_system_sgpr_workgroup_info 0
		.amdhsa_system_vgpr_workitem_id 0
		.amdhsa_next_free_vgpr 50
		.amdhsa_next_free_sgpr 34
		.amdhsa_accum_offset 52
		.amdhsa_reserve_vcc 1
		.amdhsa_float_round_mode_32 0
		.amdhsa_float_round_mode_16_64 0
		.amdhsa_float_denorm_mode_32 3
		.amdhsa_float_denorm_mode_16_64 3
		.amdhsa_dx10_clamp 1
		.amdhsa_ieee_mode 1
		.amdhsa_fp16_overflow 0
		.amdhsa_tg_split 0
		.amdhsa_exception_fp_ieee_invalid_op 0
		.amdhsa_exception_fp_denorm_src 0
		.amdhsa_exception_fp_ieee_div_zero 0
		.amdhsa_exception_fp_ieee_overflow 0
		.amdhsa_exception_fp_ieee_underflow 0
		.amdhsa_exception_fp_ieee_inexact 0
		.amdhsa_exception_int_div_zero 0
	.end_amdhsa_kernel
	.section	.text._ZL15flash_attn_tileILi112ELi112ELi4ELi8ELb1EEvPKcS1_S1_S1_S1_PKiPfP15HIP_vector_typeIfLj2EEffffjfiS5_IjLj3EEiiiiiiiiiiiliiliiiiil,"axG",@progbits,_ZL15flash_attn_tileILi112ELi112ELi4ELi8ELb1EEvPKcS1_S1_S1_S1_PKiPfP15HIP_vector_typeIfLj2EEffffjfiS5_IjLj3EEiiiiiiiiiiiliiliiiiil,comdat
.Lfunc_end75:
	.size	_ZL15flash_attn_tileILi112ELi112ELi4ELi8ELb1EEvPKcS1_S1_S1_S1_PKiPfP15HIP_vector_typeIfLj2EEffffjfiS5_IjLj3EEiiiiiiiiiiiliiliiiiil, .Lfunc_end75-_ZL15flash_attn_tileILi112ELi112ELi4ELi8ELb1EEvPKcS1_S1_S1_S1_PKiPfP15HIP_vector_typeIfLj2EEffffjfiS5_IjLj3EEiiiiiiiiiiiliiliiiiil
                                        ; -- End function
	.set _ZL15flash_attn_tileILi112ELi112ELi4ELi8ELb1EEvPKcS1_S1_S1_S1_PKiPfP15HIP_vector_typeIfLj2EEffffjfiS5_IjLj3EEiiiiiiiiiiiliiliiiiil.num_vgpr, max(0, .L_ZL14no_device_codePKciS0_iS0_.num_vgpr)
	.set _ZL15flash_attn_tileILi112ELi112ELi4ELi8ELb1EEvPKcS1_S1_S1_S1_PKiPfP15HIP_vector_typeIfLj2EEffffjfiS5_IjLj3EEiiiiiiiiiiiliiliiiiil.num_agpr, max(0, .L_ZL14no_device_codePKciS0_iS0_.num_agpr)
	.set _ZL15flash_attn_tileILi112ELi112ELi4ELi8ELb1EEvPKcS1_S1_S1_S1_PKiPfP15HIP_vector_typeIfLj2EEffffjfiS5_IjLj3EEiiiiiiiiiiiliiliiiiil.numbered_sgpr, max(33, .L_ZL14no_device_codePKciS0_iS0_.numbered_sgpr)
	.set _ZL15flash_attn_tileILi112ELi112ELi4ELi8ELb1EEvPKcS1_S1_S1_S1_PKiPfP15HIP_vector_typeIfLj2EEffffjfiS5_IjLj3EEiiiiiiiiiiiliiliiiiil.num_named_barrier, max(0, .L_ZL14no_device_codePKciS0_iS0_.num_named_barrier)
	.set _ZL15flash_attn_tileILi112ELi112ELi4ELi8ELb1EEvPKcS1_S1_S1_S1_PKiPfP15HIP_vector_typeIfLj2EEffffjfiS5_IjLj3EEiiiiiiiiiiiliiliiiiil.private_seg_size, 0+max(.L_ZL14no_device_codePKciS0_iS0_.private_seg_size)
	.set _ZL15flash_attn_tileILi112ELi112ELi4ELi8ELb1EEvPKcS1_S1_S1_S1_PKiPfP15HIP_vector_typeIfLj2EEffffjfiS5_IjLj3EEiiiiiiiiiiiliiliiiiil.uses_vcc, or(1, .L_ZL14no_device_codePKciS0_iS0_.uses_vcc)
	.set _ZL15flash_attn_tileILi112ELi112ELi4ELi8ELb1EEvPKcS1_S1_S1_S1_PKiPfP15HIP_vector_typeIfLj2EEffffjfiS5_IjLj3EEiiiiiiiiiiiliiliiiiil.uses_flat_scratch, or(0, .L_ZL14no_device_codePKciS0_iS0_.uses_flat_scratch)
	.set _ZL15flash_attn_tileILi112ELi112ELi4ELi8ELb1EEvPKcS1_S1_S1_S1_PKiPfP15HIP_vector_typeIfLj2EEffffjfiS5_IjLj3EEiiiiiiiiiiiliiliiiiil.has_dyn_sized_stack, or(0, .L_ZL14no_device_codePKciS0_iS0_.has_dyn_sized_stack)
	.set _ZL15flash_attn_tileILi112ELi112ELi4ELi8ELb1EEvPKcS1_S1_S1_S1_PKiPfP15HIP_vector_typeIfLj2EEffffjfiS5_IjLj3EEiiiiiiiiiiiliiliiiiil.has_recursion, or(0, .L_ZL14no_device_codePKciS0_iS0_.has_recursion)
	.set _ZL15flash_attn_tileILi112ELi112ELi4ELi8ELb1EEvPKcS1_S1_S1_S1_PKiPfP15HIP_vector_typeIfLj2EEffffjfiS5_IjLj3EEiiiiiiiiiiiliiliiiiil.has_indirect_call, or(0, .L_ZL14no_device_codePKciS0_iS0_.has_indirect_call)
	.section	.AMDGPU.csdata,"",@progbits
; Kernel info:
; codeLenInByte = 40
; TotalNumSgprs: 40
; NumVgprs: 50
; NumAgprs: 0
; TotalNumVgprs: 50
; ScratchSize: 16
; MemoryBound: 0
; FloatMode: 240
; IeeeMode: 1
; LDSByteSize: 0 bytes/workgroup (compile time only)
; SGPRBlocks: 4
; VGPRBlocks: 6
; NumSGPRsForWavesPerEU: 40
; NumVGPRsForWavesPerEU: 50
; AccumOffset: 52
; Occupancy: 8
; WaveLimiterHint : 1
; COMPUTE_PGM_RSRC2:SCRATCH_EN: 1
; COMPUTE_PGM_RSRC2:USER_SGPR: 2
; COMPUTE_PGM_RSRC2:TRAP_HANDLER: 0
; COMPUTE_PGM_RSRC2:TGID_X_EN: 1
; COMPUTE_PGM_RSRC2:TGID_Y_EN: 0
; COMPUTE_PGM_RSRC2:TGID_Z_EN: 0
; COMPUTE_PGM_RSRC2:TIDIG_COMP_CNT: 0
; COMPUTE_PGM_RSRC3_GFX90A:ACCUM_OFFSET: 12
; COMPUTE_PGM_RSRC3_GFX90A:TG_SPLIT: 0
	.section	.text._ZL15flash_attn_tileILi112ELi112ELi2ELi8ELb1EEvPKcS1_S1_S1_S1_PKiPfP15HIP_vector_typeIfLj2EEffffjfiS5_IjLj3EEiiiiiiiiiiiliiliiiiil,"axG",@progbits,_ZL15flash_attn_tileILi112ELi112ELi2ELi8ELb1EEvPKcS1_S1_S1_S1_PKiPfP15HIP_vector_typeIfLj2EEffffjfiS5_IjLj3EEiiiiiiiiiiiliiliiiiil,comdat
	.globl	_ZL15flash_attn_tileILi112ELi112ELi2ELi8ELb1EEvPKcS1_S1_S1_S1_PKiPfP15HIP_vector_typeIfLj2EEffffjfiS5_IjLj3EEiiiiiiiiiiiliiliiiiil ; -- Begin function _ZL15flash_attn_tileILi112ELi112ELi2ELi8ELb1EEvPKcS1_S1_S1_S1_PKiPfP15HIP_vector_typeIfLj2EEffffjfiS5_IjLj3EEiiiiiiiiiiiliiliiiiil
	.p2align	8
	.type	_ZL15flash_attn_tileILi112ELi112ELi2ELi8ELb1EEvPKcS1_S1_S1_S1_PKiPfP15HIP_vector_typeIfLj2EEffffjfiS5_IjLj3EEiiiiiiiiiiiliiliiiiil,@function
_ZL15flash_attn_tileILi112ELi112ELi2ELi8ELb1EEvPKcS1_S1_S1_S1_PKiPfP15HIP_vector_typeIfLj2EEffffjfiS5_IjLj3EEiiiiiiiiiiiliiliiiiil: ; @_ZL15flash_attn_tileILi112ELi112ELi2ELi8ELb1EEvPKcS1_S1_S1_S1_PKiPfP15HIP_vector_typeIfLj2EEffffjfiS5_IjLj3EEiiiiiiiiiiiliiliiiiil
; %bb.0:
	s_add_u32 s8, s0, 0xd0
	s_addc_u32 s9, s1, 0
	s_getpc_b64 s[0:1]
	s_add_u32 s0, s0, _ZL14no_device_codePKciS0_iS0_@rel32@lo+4
	s_addc_u32 s1, s1, _ZL14no_device_codePKciS0_iS0_@rel32@hi+12
	s_mov_b32 s32, 0
	s_swappc_b64 s[30:31], s[0:1]
	.section	.rodata,"a",@progbits
	.p2align	6, 0x0
	.amdhsa_kernel _ZL15flash_attn_tileILi112ELi112ELi2ELi8ELb1EEvPKcS1_S1_S1_S1_PKiPfP15HIP_vector_typeIfLj2EEffffjfiS5_IjLj3EEiiiiiiiiiiiliiliiiiil
		.amdhsa_group_segment_fixed_size 0
		.amdhsa_private_segment_fixed_size 16
		.amdhsa_kernarg_size 464
		.amdhsa_user_sgpr_count 2
		.amdhsa_user_sgpr_dispatch_ptr 0
		.amdhsa_user_sgpr_queue_ptr 0
		.amdhsa_user_sgpr_kernarg_segment_ptr 1
		.amdhsa_user_sgpr_dispatch_id 0
		.amdhsa_user_sgpr_kernarg_preload_length 0
		.amdhsa_user_sgpr_kernarg_preload_offset 0
		.amdhsa_user_sgpr_private_segment_size 0
		.amdhsa_uses_dynamic_stack 0
		.amdhsa_enable_private_segment 1
		.amdhsa_system_sgpr_workgroup_id_x 1
		.amdhsa_system_sgpr_workgroup_id_y 0
		.amdhsa_system_sgpr_workgroup_id_z 0
		.amdhsa_system_sgpr_workgroup_info 0
		.amdhsa_system_vgpr_workitem_id 0
		.amdhsa_next_free_vgpr 50
		.amdhsa_next_free_sgpr 34
		.amdhsa_accum_offset 52
		.amdhsa_reserve_vcc 1
		.amdhsa_float_round_mode_32 0
		.amdhsa_float_round_mode_16_64 0
		.amdhsa_float_denorm_mode_32 3
		.amdhsa_float_denorm_mode_16_64 3
		.amdhsa_dx10_clamp 1
		.amdhsa_ieee_mode 1
		.amdhsa_fp16_overflow 0
		.amdhsa_tg_split 0
		.amdhsa_exception_fp_ieee_invalid_op 0
		.amdhsa_exception_fp_denorm_src 0
		.amdhsa_exception_fp_ieee_div_zero 0
		.amdhsa_exception_fp_ieee_overflow 0
		.amdhsa_exception_fp_ieee_underflow 0
		.amdhsa_exception_fp_ieee_inexact 0
		.amdhsa_exception_int_div_zero 0
	.end_amdhsa_kernel
	.section	.text._ZL15flash_attn_tileILi112ELi112ELi2ELi8ELb1EEvPKcS1_S1_S1_S1_PKiPfP15HIP_vector_typeIfLj2EEffffjfiS5_IjLj3EEiiiiiiiiiiiliiliiiiil,"axG",@progbits,_ZL15flash_attn_tileILi112ELi112ELi2ELi8ELb1EEvPKcS1_S1_S1_S1_PKiPfP15HIP_vector_typeIfLj2EEffffjfiS5_IjLj3EEiiiiiiiiiiiliiliiiiil,comdat
.Lfunc_end76:
	.size	_ZL15flash_attn_tileILi112ELi112ELi2ELi8ELb1EEvPKcS1_S1_S1_S1_PKiPfP15HIP_vector_typeIfLj2EEffffjfiS5_IjLj3EEiiiiiiiiiiiliiliiiiil, .Lfunc_end76-_ZL15flash_attn_tileILi112ELi112ELi2ELi8ELb1EEvPKcS1_S1_S1_S1_PKiPfP15HIP_vector_typeIfLj2EEffffjfiS5_IjLj3EEiiiiiiiiiiiliiliiiiil
                                        ; -- End function
	.set _ZL15flash_attn_tileILi112ELi112ELi2ELi8ELb1EEvPKcS1_S1_S1_S1_PKiPfP15HIP_vector_typeIfLj2EEffffjfiS5_IjLj3EEiiiiiiiiiiiliiliiiiil.num_vgpr, max(0, .L_ZL14no_device_codePKciS0_iS0_.num_vgpr)
	.set _ZL15flash_attn_tileILi112ELi112ELi2ELi8ELb1EEvPKcS1_S1_S1_S1_PKiPfP15HIP_vector_typeIfLj2EEffffjfiS5_IjLj3EEiiiiiiiiiiiliiliiiiil.num_agpr, max(0, .L_ZL14no_device_codePKciS0_iS0_.num_agpr)
	.set _ZL15flash_attn_tileILi112ELi112ELi2ELi8ELb1EEvPKcS1_S1_S1_S1_PKiPfP15HIP_vector_typeIfLj2EEffffjfiS5_IjLj3EEiiiiiiiiiiiliiliiiiil.numbered_sgpr, max(33, .L_ZL14no_device_codePKciS0_iS0_.numbered_sgpr)
	.set _ZL15flash_attn_tileILi112ELi112ELi2ELi8ELb1EEvPKcS1_S1_S1_S1_PKiPfP15HIP_vector_typeIfLj2EEffffjfiS5_IjLj3EEiiiiiiiiiiiliiliiiiil.num_named_barrier, max(0, .L_ZL14no_device_codePKciS0_iS0_.num_named_barrier)
	.set _ZL15flash_attn_tileILi112ELi112ELi2ELi8ELb1EEvPKcS1_S1_S1_S1_PKiPfP15HIP_vector_typeIfLj2EEffffjfiS5_IjLj3EEiiiiiiiiiiiliiliiiiil.private_seg_size, 0+max(.L_ZL14no_device_codePKciS0_iS0_.private_seg_size)
	.set _ZL15flash_attn_tileILi112ELi112ELi2ELi8ELb1EEvPKcS1_S1_S1_S1_PKiPfP15HIP_vector_typeIfLj2EEffffjfiS5_IjLj3EEiiiiiiiiiiiliiliiiiil.uses_vcc, or(1, .L_ZL14no_device_codePKciS0_iS0_.uses_vcc)
	.set _ZL15flash_attn_tileILi112ELi112ELi2ELi8ELb1EEvPKcS1_S1_S1_S1_PKiPfP15HIP_vector_typeIfLj2EEffffjfiS5_IjLj3EEiiiiiiiiiiiliiliiiiil.uses_flat_scratch, or(0, .L_ZL14no_device_codePKciS0_iS0_.uses_flat_scratch)
	.set _ZL15flash_attn_tileILi112ELi112ELi2ELi8ELb1EEvPKcS1_S1_S1_S1_PKiPfP15HIP_vector_typeIfLj2EEffffjfiS5_IjLj3EEiiiiiiiiiiiliiliiiiil.has_dyn_sized_stack, or(0, .L_ZL14no_device_codePKciS0_iS0_.has_dyn_sized_stack)
	.set _ZL15flash_attn_tileILi112ELi112ELi2ELi8ELb1EEvPKcS1_S1_S1_S1_PKiPfP15HIP_vector_typeIfLj2EEffffjfiS5_IjLj3EEiiiiiiiiiiiliiliiiiil.has_recursion, or(0, .L_ZL14no_device_codePKciS0_iS0_.has_recursion)
	.set _ZL15flash_attn_tileILi112ELi112ELi2ELi8ELb1EEvPKcS1_S1_S1_S1_PKiPfP15HIP_vector_typeIfLj2EEffffjfiS5_IjLj3EEiiiiiiiiiiiliiliiiiil.has_indirect_call, or(0, .L_ZL14no_device_codePKciS0_iS0_.has_indirect_call)
	.section	.AMDGPU.csdata,"",@progbits
; Kernel info:
; codeLenInByte = 40
; TotalNumSgprs: 40
; NumVgprs: 50
; NumAgprs: 0
; TotalNumVgprs: 50
; ScratchSize: 16
; MemoryBound: 0
; FloatMode: 240
; IeeeMode: 1
; LDSByteSize: 0 bytes/workgroup (compile time only)
; SGPRBlocks: 4
; VGPRBlocks: 6
; NumSGPRsForWavesPerEU: 40
; NumVGPRsForWavesPerEU: 50
; AccumOffset: 52
; Occupancy: 8
; WaveLimiterHint : 1
; COMPUTE_PGM_RSRC2:SCRATCH_EN: 1
; COMPUTE_PGM_RSRC2:USER_SGPR: 2
; COMPUTE_PGM_RSRC2:TRAP_HANDLER: 0
; COMPUTE_PGM_RSRC2:TGID_X_EN: 1
; COMPUTE_PGM_RSRC2:TGID_Y_EN: 0
; COMPUTE_PGM_RSRC2:TGID_Z_EN: 0
; COMPUTE_PGM_RSRC2:TIDIG_COMP_CNT: 0
; COMPUTE_PGM_RSRC3_GFX90A:ACCUM_OFFSET: 12
; COMPUTE_PGM_RSRC3_GFX90A:TG_SPLIT: 0
	.section	.text._ZL15flash_attn_tileILi112ELi112ELi1ELi8ELb1EEvPKcS1_S1_S1_S1_PKiPfP15HIP_vector_typeIfLj2EEffffjfiS5_IjLj3EEiiiiiiiiiiiliiliiiiil,"axG",@progbits,_ZL15flash_attn_tileILi112ELi112ELi1ELi8ELb1EEvPKcS1_S1_S1_S1_PKiPfP15HIP_vector_typeIfLj2EEffffjfiS5_IjLj3EEiiiiiiiiiiiliiliiiiil,comdat
	.globl	_ZL15flash_attn_tileILi112ELi112ELi1ELi8ELb1EEvPKcS1_S1_S1_S1_PKiPfP15HIP_vector_typeIfLj2EEffffjfiS5_IjLj3EEiiiiiiiiiiiliiliiiiil ; -- Begin function _ZL15flash_attn_tileILi112ELi112ELi1ELi8ELb1EEvPKcS1_S1_S1_S1_PKiPfP15HIP_vector_typeIfLj2EEffffjfiS5_IjLj3EEiiiiiiiiiiiliiliiiiil
	.p2align	8
	.type	_ZL15flash_attn_tileILi112ELi112ELi1ELi8ELb1EEvPKcS1_S1_S1_S1_PKiPfP15HIP_vector_typeIfLj2EEffffjfiS5_IjLj3EEiiiiiiiiiiiliiliiiiil,@function
_ZL15flash_attn_tileILi112ELi112ELi1ELi8ELb1EEvPKcS1_S1_S1_S1_PKiPfP15HIP_vector_typeIfLj2EEffffjfiS5_IjLj3EEiiiiiiiiiiiliiliiiiil: ; @_ZL15flash_attn_tileILi112ELi112ELi1ELi8ELb1EEvPKcS1_S1_S1_S1_PKiPfP15HIP_vector_typeIfLj2EEffffjfiS5_IjLj3EEiiiiiiiiiiiliiliiiiil
; %bb.0:
	s_add_u32 s8, s0, 0xd0
	s_addc_u32 s9, s1, 0
	s_getpc_b64 s[0:1]
	s_add_u32 s0, s0, _ZL14no_device_codePKciS0_iS0_@rel32@lo+4
	s_addc_u32 s1, s1, _ZL14no_device_codePKciS0_iS0_@rel32@hi+12
	s_mov_b32 s32, 0
	s_swappc_b64 s[30:31], s[0:1]
	.section	.rodata,"a",@progbits
	.p2align	6, 0x0
	.amdhsa_kernel _ZL15flash_attn_tileILi112ELi112ELi1ELi8ELb1EEvPKcS1_S1_S1_S1_PKiPfP15HIP_vector_typeIfLj2EEffffjfiS5_IjLj3EEiiiiiiiiiiiliiliiiiil
		.amdhsa_group_segment_fixed_size 0
		.amdhsa_private_segment_fixed_size 16
		.amdhsa_kernarg_size 464
		.amdhsa_user_sgpr_count 2
		.amdhsa_user_sgpr_dispatch_ptr 0
		.amdhsa_user_sgpr_queue_ptr 0
		.amdhsa_user_sgpr_kernarg_segment_ptr 1
		.amdhsa_user_sgpr_dispatch_id 0
		.amdhsa_user_sgpr_kernarg_preload_length 0
		.amdhsa_user_sgpr_kernarg_preload_offset 0
		.amdhsa_user_sgpr_private_segment_size 0
		.amdhsa_uses_dynamic_stack 0
		.amdhsa_enable_private_segment 1
		.amdhsa_system_sgpr_workgroup_id_x 1
		.amdhsa_system_sgpr_workgroup_id_y 0
		.amdhsa_system_sgpr_workgroup_id_z 0
		.amdhsa_system_sgpr_workgroup_info 0
		.amdhsa_system_vgpr_workitem_id 0
		.amdhsa_next_free_vgpr 50
		.amdhsa_next_free_sgpr 34
		.amdhsa_accum_offset 52
		.amdhsa_reserve_vcc 1
		.amdhsa_float_round_mode_32 0
		.amdhsa_float_round_mode_16_64 0
		.amdhsa_float_denorm_mode_32 3
		.amdhsa_float_denorm_mode_16_64 3
		.amdhsa_dx10_clamp 1
		.amdhsa_ieee_mode 1
		.amdhsa_fp16_overflow 0
		.amdhsa_tg_split 0
		.amdhsa_exception_fp_ieee_invalid_op 0
		.amdhsa_exception_fp_denorm_src 0
		.amdhsa_exception_fp_ieee_div_zero 0
		.amdhsa_exception_fp_ieee_overflow 0
		.amdhsa_exception_fp_ieee_underflow 0
		.amdhsa_exception_fp_ieee_inexact 0
		.amdhsa_exception_int_div_zero 0
	.end_amdhsa_kernel
	.section	.text._ZL15flash_attn_tileILi112ELi112ELi1ELi8ELb1EEvPKcS1_S1_S1_S1_PKiPfP15HIP_vector_typeIfLj2EEffffjfiS5_IjLj3EEiiiiiiiiiiiliiliiiiil,"axG",@progbits,_ZL15flash_attn_tileILi112ELi112ELi1ELi8ELb1EEvPKcS1_S1_S1_S1_PKiPfP15HIP_vector_typeIfLj2EEffffjfiS5_IjLj3EEiiiiiiiiiiiliiliiiiil,comdat
.Lfunc_end77:
	.size	_ZL15flash_attn_tileILi112ELi112ELi1ELi8ELb1EEvPKcS1_S1_S1_S1_PKiPfP15HIP_vector_typeIfLj2EEffffjfiS5_IjLj3EEiiiiiiiiiiiliiliiiiil, .Lfunc_end77-_ZL15flash_attn_tileILi112ELi112ELi1ELi8ELb1EEvPKcS1_S1_S1_S1_PKiPfP15HIP_vector_typeIfLj2EEffffjfiS5_IjLj3EEiiiiiiiiiiiliiliiiiil
                                        ; -- End function
	.set _ZL15flash_attn_tileILi112ELi112ELi1ELi8ELb1EEvPKcS1_S1_S1_S1_PKiPfP15HIP_vector_typeIfLj2EEffffjfiS5_IjLj3EEiiiiiiiiiiiliiliiiiil.num_vgpr, max(0, .L_ZL14no_device_codePKciS0_iS0_.num_vgpr)
	.set _ZL15flash_attn_tileILi112ELi112ELi1ELi8ELb1EEvPKcS1_S1_S1_S1_PKiPfP15HIP_vector_typeIfLj2EEffffjfiS5_IjLj3EEiiiiiiiiiiiliiliiiiil.num_agpr, max(0, .L_ZL14no_device_codePKciS0_iS0_.num_agpr)
	.set _ZL15flash_attn_tileILi112ELi112ELi1ELi8ELb1EEvPKcS1_S1_S1_S1_PKiPfP15HIP_vector_typeIfLj2EEffffjfiS5_IjLj3EEiiiiiiiiiiiliiliiiiil.numbered_sgpr, max(33, .L_ZL14no_device_codePKciS0_iS0_.numbered_sgpr)
	.set _ZL15flash_attn_tileILi112ELi112ELi1ELi8ELb1EEvPKcS1_S1_S1_S1_PKiPfP15HIP_vector_typeIfLj2EEffffjfiS5_IjLj3EEiiiiiiiiiiiliiliiiiil.num_named_barrier, max(0, .L_ZL14no_device_codePKciS0_iS0_.num_named_barrier)
	.set _ZL15flash_attn_tileILi112ELi112ELi1ELi8ELb1EEvPKcS1_S1_S1_S1_PKiPfP15HIP_vector_typeIfLj2EEffffjfiS5_IjLj3EEiiiiiiiiiiiliiliiiiil.private_seg_size, 0+max(.L_ZL14no_device_codePKciS0_iS0_.private_seg_size)
	.set _ZL15flash_attn_tileILi112ELi112ELi1ELi8ELb1EEvPKcS1_S1_S1_S1_PKiPfP15HIP_vector_typeIfLj2EEffffjfiS5_IjLj3EEiiiiiiiiiiiliiliiiiil.uses_vcc, or(1, .L_ZL14no_device_codePKciS0_iS0_.uses_vcc)
	.set _ZL15flash_attn_tileILi112ELi112ELi1ELi8ELb1EEvPKcS1_S1_S1_S1_PKiPfP15HIP_vector_typeIfLj2EEffffjfiS5_IjLj3EEiiiiiiiiiiiliiliiiiil.uses_flat_scratch, or(0, .L_ZL14no_device_codePKciS0_iS0_.uses_flat_scratch)
	.set _ZL15flash_attn_tileILi112ELi112ELi1ELi8ELb1EEvPKcS1_S1_S1_S1_PKiPfP15HIP_vector_typeIfLj2EEffffjfiS5_IjLj3EEiiiiiiiiiiiliiliiiiil.has_dyn_sized_stack, or(0, .L_ZL14no_device_codePKciS0_iS0_.has_dyn_sized_stack)
	.set _ZL15flash_attn_tileILi112ELi112ELi1ELi8ELb1EEvPKcS1_S1_S1_S1_PKiPfP15HIP_vector_typeIfLj2EEffffjfiS5_IjLj3EEiiiiiiiiiiiliiliiiiil.has_recursion, or(0, .L_ZL14no_device_codePKciS0_iS0_.has_recursion)
	.set _ZL15flash_attn_tileILi112ELi112ELi1ELi8ELb1EEvPKcS1_S1_S1_S1_PKiPfP15HIP_vector_typeIfLj2EEffffjfiS5_IjLj3EEiiiiiiiiiiiliiliiiiil.has_indirect_call, or(0, .L_ZL14no_device_codePKciS0_iS0_.has_indirect_call)
	.section	.AMDGPU.csdata,"",@progbits
; Kernel info:
; codeLenInByte = 40
; TotalNumSgprs: 40
; NumVgprs: 50
; NumAgprs: 0
; TotalNumVgprs: 50
; ScratchSize: 16
; MemoryBound: 0
; FloatMode: 240
; IeeeMode: 1
; LDSByteSize: 0 bytes/workgroup (compile time only)
; SGPRBlocks: 4
; VGPRBlocks: 6
; NumSGPRsForWavesPerEU: 40
; NumVGPRsForWavesPerEU: 50
; AccumOffset: 52
; Occupancy: 8
; WaveLimiterHint : 1
; COMPUTE_PGM_RSRC2:SCRATCH_EN: 1
; COMPUTE_PGM_RSRC2:USER_SGPR: 2
; COMPUTE_PGM_RSRC2:TRAP_HANDLER: 0
; COMPUTE_PGM_RSRC2:TGID_X_EN: 1
; COMPUTE_PGM_RSRC2:TGID_Y_EN: 0
; COMPUTE_PGM_RSRC2:TGID_Z_EN: 0
; COMPUTE_PGM_RSRC2:TIDIG_COMP_CNT: 0
; COMPUTE_PGM_RSRC3_GFX90A:ACCUM_OFFSET: 12
; COMPUTE_PGM_RSRC3_GFX90A:TG_SPLIT: 0
	.section	.text._ZL15flash_attn_tileILi112ELi112ELi16ELi4ELb1EEvPKcS1_S1_S1_S1_PKiPfP15HIP_vector_typeIfLj2EEffffjfiS5_IjLj3EEiiiiiiiiiiiliiliiiiil,"axG",@progbits,_ZL15flash_attn_tileILi112ELi112ELi16ELi4ELb1EEvPKcS1_S1_S1_S1_PKiPfP15HIP_vector_typeIfLj2EEffffjfiS5_IjLj3EEiiiiiiiiiiiliiliiiiil,comdat
	.globl	_ZL15flash_attn_tileILi112ELi112ELi16ELi4ELb1EEvPKcS1_S1_S1_S1_PKiPfP15HIP_vector_typeIfLj2EEffffjfiS5_IjLj3EEiiiiiiiiiiiliiliiiiil ; -- Begin function _ZL15flash_attn_tileILi112ELi112ELi16ELi4ELb1EEvPKcS1_S1_S1_S1_PKiPfP15HIP_vector_typeIfLj2EEffffjfiS5_IjLj3EEiiiiiiiiiiiliiliiiiil
	.p2align	8
	.type	_ZL15flash_attn_tileILi112ELi112ELi16ELi4ELb1EEvPKcS1_S1_S1_S1_PKiPfP15HIP_vector_typeIfLj2EEffffjfiS5_IjLj3EEiiiiiiiiiiiliiliiiiil,@function
_ZL15flash_attn_tileILi112ELi112ELi16ELi4ELb1EEvPKcS1_S1_S1_S1_PKiPfP15HIP_vector_typeIfLj2EEffffjfiS5_IjLj3EEiiiiiiiiiiiliiliiiiil: ; @_ZL15flash_attn_tileILi112ELi112ELi16ELi4ELb1EEvPKcS1_S1_S1_S1_PKiPfP15HIP_vector_typeIfLj2EEffffjfiS5_IjLj3EEiiiiiiiiiiiliiliiiiil
; %bb.0:
	s_add_u32 s8, s0, 0xd0
	s_addc_u32 s9, s1, 0
	s_getpc_b64 s[0:1]
	s_add_u32 s0, s0, _ZL14no_device_codePKciS0_iS0_@rel32@lo+4
	s_addc_u32 s1, s1, _ZL14no_device_codePKciS0_iS0_@rel32@hi+12
	s_mov_b32 s32, 0
	s_swappc_b64 s[30:31], s[0:1]
	.section	.rodata,"a",@progbits
	.p2align	6, 0x0
	.amdhsa_kernel _ZL15flash_attn_tileILi112ELi112ELi16ELi4ELb1EEvPKcS1_S1_S1_S1_PKiPfP15HIP_vector_typeIfLj2EEffffjfiS5_IjLj3EEiiiiiiiiiiiliiliiiiil
		.amdhsa_group_segment_fixed_size 0
		.amdhsa_private_segment_fixed_size 16
		.amdhsa_kernarg_size 464
		.amdhsa_user_sgpr_count 2
		.amdhsa_user_sgpr_dispatch_ptr 0
		.amdhsa_user_sgpr_queue_ptr 0
		.amdhsa_user_sgpr_kernarg_segment_ptr 1
		.amdhsa_user_sgpr_dispatch_id 0
		.amdhsa_user_sgpr_kernarg_preload_length 0
		.amdhsa_user_sgpr_kernarg_preload_offset 0
		.amdhsa_user_sgpr_private_segment_size 0
		.amdhsa_uses_dynamic_stack 0
		.amdhsa_enable_private_segment 1
		.amdhsa_system_sgpr_workgroup_id_x 1
		.amdhsa_system_sgpr_workgroup_id_y 0
		.amdhsa_system_sgpr_workgroup_id_z 0
		.amdhsa_system_sgpr_workgroup_info 0
		.amdhsa_system_vgpr_workitem_id 0
		.amdhsa_next_free_vgpr 50
		.amdhsa_next_free_sgpr 34
		.amdhsa_accum_offset 52
		.amdhsa_reserve_vcc 1
		.amdhsa_float_round_mode_32 0
		.amdhsa_float_round_mode_16_64 0
		.amdhsa_float_denorm_mode_32 3
		.amdhsa_float_denorm_mode_16_64 3
		.amdhsa_dx10_clamp 1
		.amdhsa_ieee_mode 1
		.amdhsa_fp16_overflow 0
		.amdhsa_tg_split 0
		.amdhsa_exception_fp_ieee_invalid_op 0
		.amdhsa_exception_fp_denorm_src 0
		.amdhsa_exception_fp_ieee_div_zero 0
		.amdhsa_exception_fp_ieee_overflow 0
		.amdhsa_exception_fp_ieee_underflow 0
		.amdhsa_exception_fp_ieee_inexact 0
		.amdhsa_exception_int_div_zero 0
	.end_amdhsa_kernel
	.section	.text._ZL15flash_attn_tileILi112ELi112ELi16ELi4ELb1EEvPKcS1_S1_S1_S1_PKiPfP15HIP_vector_typeIfLj2EEffffjfiS5_IjLj3EEiiiiiiiiiiiliiliiiiil,"axG",@progbits,_ZL15flash_attn_tileILi112ELi112ELi16ELi4ELb1EEvPKcS1_S1_S1_S1_PKiPfP15HIP_vector_typeIfLj2EEffffjfiS5_IjLj3EEiiiiiiiiiiiliiliiiiil,comdat
.Lfunc_end78:
	.size	_ZL15flash_attn_tileILi112ELi112ELi16ELi4ELb1EEvPKcS1_S1_S1_S1_PKiPfP15HIP_vector_typeIfLj2EEffffjfiS5_IjLj3EEiiiiiiiiiiiliiliiiiil, .Lfunc_end78-_ZL15flash_attn_tileILi112ELi112ELi16ELi4ELb1EEvPKcS1_S1_S1_S1_PKiPfP15HIP_vector_typeIfLj2EEffffjfiS5_IjLj3EEiiiiiiiiiiiliiliiiiil
                                        ; -- End function
	.set _ZL15flash_attn_tileILi112ELi112ELi16ELi4ELb1EEvPKcS1_S1_S1_S1_PKiPfP15HIP_vector_typeIfLj2EEffffjfiS5_IjLj3EEiiiiiiiiiiiliiliiiiil.num_vgpr, max(0, .L_ZL14no_device_codePKciS0_iS0_.num_vgpr)
	.set _ZL15flash_attn_tileILi112ELi112ELi16ELi4ELb1EEvPKcS1_S1_S1_S1_PKiPfP15HIP_vector_typeIfLj2EEffffjfiS5_IjLj3EEiiiiiiiiiiiliiliiiiil.num_agpr, max(0, .L_ZL14no_device_codePKciS0_iS0_.num_agpr)
	.set _ZL15flash_attn_tileILi112ELi112ELi16ELi4ELb1EEvPKcS1_S1_S1_S1_PKiPfP15HIP_vector_typeIfLj2EEffffjfiS5_IjLj3EEiiiiiiiiiiiliiliiiiil.numbered_sgpr, max(33, .L_ZL14no_device_codePKciS0_iS0_.numbered_sgpr)
	.set _ZL15flash_attn_tileILi112ELi112ELi16ELi4ELb1EEvPKcS1_S1_S1_S1_PKiPfP15HIP_vector_typeIfLj2EEffffjfiS5_IjLj3EEiiiiiiiiiiiliiliiiiil.num_named_barrier, max(0, .L_ZL14no_device_codePKciS0_iS0_.num_named_barrier)
	.set _ZL15flash_attn_tileILi112ELi112ELi16ELi4ELb1EEvPKcS1_S1_S1_S1_PKiPfP15HIP_vector_typeIfLj2EEffffjfiS5_IjLj3EEiiiiiiiiiiiliiliiiiil.private_seg_size, 0+max(.L_ZL14no_device_codePKciS0_iS0_.private_seg_size)
	.set _ZL15flash_attn_tileILi112ELi112ELi16ELi4ELb1EEvPKcS1_S1_S1_S1_PKiPfP15HIP_vector_typeIfLj2EEffffjfiS5_IjLj3EEiiiiiiiiiiiliiliiiiil.uses_vcc, or(1, .L_ZL14no_device_codePKciS0_iS0_.uses_vcc)
	.set _ZL15flash_attn_tileILi112ELi112ELi16ELi4ELb1EEvPKcS1_S1_S1_S1_PKiPfP15HIP_vector_typeIfLj2EEffffjfiS5_IjLj3EEiiiiiiiiiiiliiliiiiil.uses_flat_scratch, or(0, .L_ZL14no_device_codePKciS0_iS0_.uses_flat_scratch)
	.set _ZL15flash_attn_tileILi112ELi112ELi16ELi4ELb1EEvPKcS1_S1_S1_S1_PKiPfP15HIP_vector_typeIfLj2EEffffjfiS5_IjLj3EEiiiiiiiiiiiliiliiiiil.has_dyn_sized_stack, or(0, .L_ZL14no_device_codePKciS0_iS0_.has_dyn_sized_stack)
	.set _ZL15flash_attn_tileILi112ELi112ELi16ELi4ELb1EEvPKcS1_S1_S1_S1_PKiPfP15HIP_vector_typeIfLj2EEffffjfiS5_IjLj3EEiiiiiiiiiiiliiliiiiil.has_recursion, or(0, .L_ZL14no_device_codePKciS0_iS0_.has_recursion)
	.set _ZL15flash_attn_tileILi112ELi112ELi16ELi4ELb1EEvPKcS1_S1_S1_S1_PKiPfP15HIP_vector_typeIfLj2EEffffjfiS5_IjLj3EEiiiiiiiiiiiliiliiiiil.has_indirect_call, or(0, .L_ZL14no_device_codePKciS0_iS0_.has_indirect_call)
	.section	.AMDGPU.csdata,"",@progbits
; Kernel info:
; codeLenInByte = 40
; TotalNumSgprs: 40
; NumVgprs: 50
; NumAgprs: 0
; TotalNumVgprs: 50
; ScratchSize: 16
; MemoryBound: 0
; FloatMode: 240
; IeeeMode: 1
; LDSByteSize: 0 bytes/workgroup (compile time only)
; SGPRBlocks: 4
; VGPRBlocks: 6
; NumSGPRsForWavesPerEU: 40
; NumVGPRsForWavesPerEU: 50
; AccumOffset: 52
; Occupancy: 8
; WaveLimiterHint : 1
; COMPUTE_PGM_RSRC2:SCRATCH_EN: 1
; COMPUTE_PGM_RSRC2:USER_SGPR: 2
; COMPUTE_PGM_RSRC2:TRAP_HANDLER: 0
; COMPUTE_PGM_RSRC2:TGID_X_EN: 1
; COMPUTE_PGM_RSRC2:TGID_Y_EN: 0
; COMPUTE_PGM_RSRC2:TGID_Z_EN: 0
; COMPUTE_PGM_RSRC2:TIDIG_COMP_CNT: 0
; COMPUTE_PGM_RSRC3_GFX90A:ACCUM_OFFSET: 12
; COMPUTE_PGM_RSRC3_GFX90A:TG_SPLIT: 0
	.section	.text._ZL15flash_attn_tileILi112ELi112ELi8ELi4ELb1EEvPKcS1_S1_S1_S1_PKiPfP15HIP_vector_typeIfLj2EEffffjfiS5_IjLj3EEiiiiiiiiiiiliiliiiiil,"axG",@progbits,_ZL15flash_attn_tileILi112ELi112ELi8ELi4ELb1EEvPKcS1_S1_S1_S1_PKiPfP15HIP_vector_typeIfLj2EEffffjfiS5_IjLj3EEiiiiiiiiiiiliiliiiiil,comdat
	.globl	_ZL15flash_attn_tileILi112ELi112ELi8ELi4ELb1EEvPKcS1_S1_S1_S1_PKiPfP15HIP_vector_typeIfLj2EEffffjfiS5_IjLj3EEiiiiiiiiiiiliiliiiiil ; -- Begin function _ZL15flash_attn_tileILi112ELi112ELi8ELi4ELb1EEvPKcS1_S1_S1_S1_PKiPfP15HIP_vector_typeIfLj2EEffffjfiS5_IjLj3EEiiiiiiiiiiiliiliiiiil
	.p2align	8
	.type	_ZL15flash_attn_tileILi112ELi112ELi8ELi4ELb1EEvPKcS1_S1_S1_S1_PKiPfP15HIP_vector_typeIfLj2EEffffjfiS5_IjLj3EEiiiiiiiiiiiliiliiiiil,@function
_ZL15flash_attn_tileILi112ELi112ELi8ELi4ELb1EEvPKcS1_S1_S1_S1_PKiPfP15HIP_vector_typeIfLj2EEffffjfiS5_IjLj3EEiiiiiiiiiiiliiliiiiil: ; @_ZL15flash_attn_tileILi112ELi112ELi8ELi4ELb1EEvPKcS1_S1_S1_S1_PKiPfP15HIP_vector_typeIfLj2EEffffjfiS5_IjLj3EEiiiiiiiiiiiliiliiiiil
; %bb.0:
	s_add_u32 s8, s0, 0xd0
	s_addc_u32 s9, s1, 0
	s_getpc_b64 s[0:1]
	s_add_u32 s0, s0, _ZL14no_device_codePKciS0_iS0_@rel32@lo+4
	s_addc_u32 s1, s1, _ZL14no_device_codePKciS0_iS0_@rel32@hi+12
	s_mov_b32 s32, 0
	s_swappc_b64 s[30:31], s[0:1]
	.section	.rodata,"a",@progbits
	.p2align	6, 0x0
	.amdhsa_kernel _ZL15flash_attn_tileILi112ELi112ELi8ELi4ELb1EEvPKcS1_S1_S1_S1_PKiPfP15HIP_vector_typeIfLj2EEffffjfiS5_IjLj3EEiiiiiiiiiiiliiliiiiil
		.amdhsa_group_segment_fixed_size 0
		.amdhsa_private_segment_fixed_size 16
		.amdhsa_kernarg_size 464
		.amdhsa_user_sgpr_count 2
		.amdhsa_user_sgpr_dispatch_ptr 0
		.amdhsa_user_sgpr_queue_ptr 0
		.amdhsa_user_sgpr_kernarg_segment_ptr 1
		.amdhsa_user_sgpr_dispatch_id 0
		.amdhsa_user_sgpr_kernarg_preload_length 0
		.amdhsa_user_sgpr_kernarg_preload_offset 0
		.amdhsa_user_sgpr_private_segment_size 0
		.amdhsa_uses_dynamic_stack 0
		.amdhsa_enable_private_segment 1
		.amdhsa_system_sgpr_workgroup_id_x 1
		.amdhsa_system_sgpr_workgroup_id_y 0
		.amdhsa_system_sgpr_workgroup_id_z 0
		.amdhsa_system_sgpr_workgroup_info 0
		.amdhsa_system_vgpr_workitem_id 0
		.amdhsa_next_free_vgpr 50
		.amdhsa_next_free_sgpr 34
		.amdhsa_accum_offset 52
		.amdhsa_reserve_vcc 1
		.amdhsa_float_round_mode_32 0
		.amdhsa_float_round_mode_16_64 0
		.amdhsa_float_denorm_mode_32 3
		.amdhsa_float_denorm_mode_16_64 3
		.amdhsa_dx10_clamp 1
		.amdhsa_ieee_mode 1
		.amdhsa_fp16_overflow 0
		.amdhsa_tg_split 0
		.amdhsa_exception_fp_ieee_invalid_op 0
		.amdhsa_exception_fp_denorm_src 0
		.amdhsa_exception_fp_ieee_div_zero 0
		.amdhsa_exception_fp_ieee_overflow 0
		.amdhsa_exception_fp_ieee_underflow 0
		.amdhsa_exception_fp_ieee_inexact 0
		.amdhsa_exception_int_div_zero 0
	.end_amdhsa_kernel
	.section	.text._ZL15flash_attn_tileILi112ELi112ELi8ELi4ELb1EEvPKcS1_S1_S1_S1_PKiPfP15HIP_vector_typeIfLj2EEffffjfiS5_IjLj3EEiiiiiiiiiiiliiliiiiil,"axG",@progbits,_ZL15flash_attn_tileILi112ELi112ELi8ELi4ELb1EEvPKcS1_S1_S1_S1_PKiPfP15HIP_vector_typeIfLj2EEffffjfiS5_IjLj3EEiiiiiiiiiiiliiliiiiil,comdat
.Lfunc_end79:
	.size	_ZL15flash_attn_tileILi112ELi112ELi8ELi4ELb1EEvPKcS1_S1_S1_S1_PKiPfP15HIP_vector_typeIfLj2EEffffjfiS5_IjLj3EEiiiiiiiiiiiliiliiiiil, .Lfunc_end79-_ZL15flash_attn_tileILi112ELi112ELi8ELi4ELb1EEvPKcS1_S1_S1_S1_PKiPfP15HIP_vector_typeIfLj2EEffffjfiS5_IjLj3EEiiiiiiiiiiiliiliiiiil
                                        ; -- End function
	.set _ZL15flash_attn_tileILi112ELi112ELi8ELi4ELb1EEvPKcS1_S1_S1_S1_PKiPfP15HIP_vector_typeIfLj2EEffffjfiS5_IjLj3EEiiiiiiiiiiiliiliiiiil.num_vgpr, max(0, .L_ZL14no_device_codePKciS0_iS0_.num_vgpr)
	.set _ZL15flash_attn_tileILi112ELi112ELi8ELi4ELb1EEvPKcS1_S1_S1_S1_PKiPfP15HIP_vector_typeIfLj2EEffffjfiS5_IjLj3EEiiiiiiiiiiiliiliiiiil.num_agpr, max(0, .L_ZL14no_device_codePKciS0_iS0_.num_agpr)
	.set _ZL15flash_attn_tileILi112ELi112ELi8ELi4ELb1EEvPKcS1_S1_S1_S1_PKiPfP15HIP_vector_typeIfLj2EEffffjfiS5_IjLj3EEiiiiiiiiiiiliiliiiiil.numbered_sgpr, max(33, .L_ZL14no_device_codePKciS0_iS0_.numbered_sgpr)
	.set _ZL15flash_attn_tileILi112ELi112ELi8ELi4ELb1EEvPKcS1_S1_S1_S1_PKiPfP15HIP_vector_typeIfLj2EEffffjfiS5_IjLj3EEiiiiiiiiiiiliiliiiiil.num_named_barrier, max(0, .L_ZL14no_device_codePKciS0_iS0_.num_named_barrier)
	.set _ZL15flash_attn_tileILi112ELi112ELi8ELi4ELb1EEvPKcS1_S1_S1_S1_PKiPfP15HIP_vector_typeIfLj2EEffffjfiS5_IjLj3EEiiiiiiiiiiiliiliiiiil.private_seg_size, 0+max(.L_ZL14no_device_codePKciS0_iS0_.private_seg_size)
	.set _ZL15flash_attn_tileILi112ELi112ELi8ELi4ELb1EEvPKcS1_S1_S1_S1_PKiPfP15HIP_vector_typeIfLj2EEffffjfiS5_IjLj3EEiiiiiiiiiiiliiliiiiil.uses_vcc, or(1, .L_ZL14no_device_codePKciS0_iS0_.uses_vcc)
	.set _ZL15flash_attn_tileILi112ELi112ELi8ELi4ELb1EEvPKcS1_S1_S1_S1_PKiPfP15HIP_vector_typeIfLj2EEffffjfiS5_IjLj3EEiiiiiiiiiiiliiliiiiil.uses_flat_scratch, or(0, .L_ZL14no_device_codePKciS0_iS0_.uses_flat_scratch)
	.set _ZL15flash_attn_tileILi112ELi112ELi8ELi4ELb1EEvPKcS1_S1_S1_S1_PKiPfP15HIP_vector_typeIfLj2EEffffjfiS5_IjLj3EEiiiiiiiiiiiliiliiiiil.has_dyn_sized_stack, or(0, .L_ZL14no_device_codePKciS0_iS0_.has_dyn_sized_stack)
	.set _ZL15flash_attn_tileILi112ELi112ELi8ELi4ELb1EEvPKcS1_S1_S1_S1_PKiPfP15HIP_vector_typeIfLj2EEffffjfiS5_IjLj3EEiiiiiiiiiiiliiliiiiil.has_recursion, or(0, .L_ZL14no_device_codePKciS0_iS0_.has_recursion)
	.set _ZL15flash_attn_tileILi112ELi112ELi8ELi4ELb1EEvPKcS1_S1_S1_S1_PKiPfP15HIP_vector_typeIfLj2EEffffjfiS5_IjLj3EEiiiiiiiiiiiliiliiiiil.has_indirect_call, or(0, .L_ZL14no_device_codePKciS0_iS0_.has_indirect_call)
	.section	.AMDGPU.csdata,"",@progbits
; Kernel info:
; codeLenInByte = 40
; TotalNumSgprs: 40
; NumVgprs: 50
; NumAgprs: 0
; TotalNumVgprs: 50
; ScratchSize: 16
; MemoryBound: 0
; FloatMode: 240
; IeeeMode: 1
; LDSByteSize: 0 bytes/workgroup (compile time only)
; SGPRBlocks: 4
; VGPRBlocks: 6
; NumSGPRsForWavesPerEU: 40
; NumVGPRsForWavesPerEU: 50
; AccumOffset: 52
; Occupancy: 8
; WaveLimiterHint : 1
; COMPUTE_PGM_RSRC2:SCRATCH_EN: 1
; COMPUTE_PGM_RSRC2:USER_SGPR: 2
; COMPUTE_PGM_RSRC2:TRAP_HANDLER: 0
; COMPUTE_PGM_RSRC2:TGID_X_EN: 1
; COMPUTE_PGM_RSRC2:TGID_Y_EN: 0
; COMPUTE_PGM_RSRC2:TGID_Z_EN: 0
; COMPUTE_PGM_RSRC2:TIDIG_COMP_CNT: 0
; COMPUTE_PGM_RSRC3_GFX90A:ACCUM_OFFSET: 12
; COMPUTE_PGM_RSRC3_GFX90A:TG_SPLIT: 0
	.section	.text._ZL15flash_attn_tileILi112ELi112ELi4ELi4ELb1EEvPKcS1_S1_S1_S1_PKiPfP15HIP_vector_typeIfLj2EEffffjfiS5_IjLj3EEiiiiiiiiiiiliiliiiiil,"axG",@progbits,_ZL15flash_attn_tileILi112ELi112ELi4ELi4ELb1EEvPKcS1_S1_S1_S1_PKiPfP15HIP_vector_typeIfLj2EEffffjfiS5_IjLj3EEiiiiiiiiiiiliiliiiiil,comdat
	.globl	_ZL15flash_attn_tileILi112ELi112ELi4ELi4ELb1EEvPKcS1_S1_S1_S1_PKiPfP15HIP_vector_typeIfLj2EEffffjfiS5_IjLj3EEiiiiiiiiiiiliiliiiiil ; -- Begin function _ZL15flash_attn_tileILi112ELi112ELi4ELi4ELb1EEvPKcS1_S1_S1_S1_PKiPfP15HIP_vector_typeIfLj2EEffffjfiS5_IjLj3EEiiiiiiiiiiiliiliiiiil
	.p2align	8
	.type	_ZL15flash_attn_tileILi112ELi112ELi4ELi4ELb1EEvPKcS1_S1_S1_S1_PKiPfP15HIP_vector_typeIfLj2EEffffjfiS5_IjLj3EEiiiiiiiiiiiliiliiiiil,@function
_ZL15flash_attn_tileILi112ELi112ELi4ELi4ELb1EEvPKcS1_S1_S1_S1_PKiPfP15HIP_vector_typeIfLj2EEffffjfiS5_IjLj3EEiiiiiiiiiiiliiliiiiil: ; @_ZL15flash_attn_tileILi112ELi112ELi4ELi4ELb1EEvPKcS1_S1_S1_S1_PKiPfP15HIP_vector_typeIfLj2EEffffjfiS5_IjLj3EEiiiiiiiiiiiliiliiiiil
; %bb.0:
	s_add_u32 s8, s0, 0xd0
	s_addc_u32 s9, s1, 0
	s_getpc_b64 s[0:1]
	s_add_u32 s0, s0, _ZL14no_device_codePKciS0_iS0_@rel32@lo+4
	s_addc_u32 s1, s1, _ZL14no_device_codePKciS0_iS0_@rel32@hi+12
	s_mov_b32 s32, 0
	s_swappc_b64 s[30:31], s[0:1]
	.section	.rodata,"a",@progbits
	.p2align	6, 0x0
	.amdhsa_kernel _ZL15flash_attn_tileILi112ELi112ELi4ELi4ELb1EEvPKcS1_S1_S1_S1_PKiPfP15HIP_vector_typeIfLj2EEffffjfiS5_IjLj3EEiiiiiiiiiiiliiliiiiil
		.amdhsa_group_segment_fixed_size 0
		.amdhsa_private_segment_fixed_size 16
		.amdhsa_kernarg_size 464
		.amdhsa_user_sgpr_count 2
		.amdhsa_user_sgpr_dispatch_ptr 0
		.amdhsa_user_sgpr_queue_ptr 0
		.amdhsa_user_sgpr_kernarg_segment_ptr 1
		.amdhsa_user_sgpr_dispatch_id 0
		.amdhsa_user_sgpr_kernarg_preload_length 0
		.amdhsa_user_sgpr_kernarg_preload_offset 0
		.amdhsa_user_sgpr_private_segment_size 0
		.amdhsa_uses_dynamic_stack 0
		.amdhsa_enable_private_segment 1
		.amdhsa_system_sgpr_workgroup_id_x 1
		.amdhsa_system_sgpr_workgroup_id_y 0
		.amdhsa_system_sgpr_workgroup_id_z 0
		.amdhsa_system_sgpr_workgroup_info 0
		.amdhsa_system_vgpr_workitem_id 0
		.amdhsa_next_free_vgpr 50
		.amdhsa_next_free_sgpr 34
		.amdhsa_accum_offset 52
		.amdhsa_reserve_vcc 1
		.amdhsa_float_round_mode_32 0
		.amdhsa_float_round_mode_16_64 0
		.amdhsa_float_denorm_mode_32 3
		.amdhsa_float_denorm_mode_16_64 3
		.amdhsa_dx10_clamp 1
		.amdhsa_ieee_mode 1
		.amdhsa_fp16_overflow 0
		.amdhsa_tg_split 0
		.amdhsa_exception_fp_ieee_invalid_op 0
		.amdhsa_exception_fp_denorm_src 0
		.amdhsa_exception_fp_ieee_div_zero 0
		.amdhsa_exception_fp_ieee_overflow 0
		.amdhsa_exception_fp_ieee_underflow 0
		.amdhsa_exception_fp_ieee_inexact 0
		.amdhsa_exception_int_div_zero 0
	.end_amdhsa_kernel
	.section	.text._ZL15flash_attn_tileILi112ELi112ELi4ELi4ELb1EEvPKcS1_S1_S1_S1_PKiPfP15HIP_vector_typeIfLj2EEffffjfiS5_IjLj3EEiiiiiiiiiiiliiliiiiil,"axG",@progbits,_ZL15flash_attn_tileILi112ELi112ELi4ELi4ELb1EEvPKcS1_S1_S1_S1_PKiPfP15HIP_vector_typeIfLj2EEffffjfiS5_IjLj3EEiiiiiiiiiiiliiliiiiil,comdat
.Lfunc_end80:
	.size	_ZL15flash_attn_tileILi112ELi112ELi4ELi4ELb1EEvPKcS1_S1_S1_S1_PKiPfP15HIP_vector_typeIfLj2EEffffjfiS5_IjLj3EEiiiiiiiiiiiliiliiiiil, .Lfunc_end80-_ZL15flash_attn_tileILi112ELi112ELi4ELi4ELb1EEvPKcS1_S1_S1_S1_PKiPfP15HIP_vector_typeIfLj2EEffffjfiS5_IjLj3EEiiiiiiiiiiiliiliiiiil
                                        ; -- End function
	.set _ZL15flash_attn_tileILi112ELi112ELi4ELi4ELb1EEvPKcS1_S1_S1_S1_PKiPfP15HIP_vector_typeIfLj2EEffffjfiS5_IjLj3EEiiiiiiiiiiiliiliiiiil.num_vgpr, max(0, .L_ZL14no_device_codePKciS0_iS0_.num_vgpr)
	.set _ZL15flash_attn_tileILi112ELi112ELi4ELi4ELb1EEvPKcS1_S1_S1_S1_PKiPfP15HIP_vector_typeIfLj2EEffffjfiS5_IjLj3EEiiiiiiiiiiiliiliiiiil.num_agpr, max(0, .L_ZL14no_device_codePKciS0_iS0_.num_agpr)
	.set _ZL15flash_attn_tileILi112ELi112ELi4ELi4ELb1EEvPKcS1_S1_S1_S1_PKiPfP15HIP_vector_typeIfLj2EEffffjfiS5_IjLj3EEiiiiiiiiiiiliiliiiiil.numbered_sgpr, max(33, .L_ZL14no_device_codePKciS0_iS0_.numbered_sgpr)
	.set _ZL15flash_attn_tileILi112ELi112ELi4ELi4ELb1EEvPKcS1_S1_S1_S1_PKiPfP15HIP_vector_typeIfLj2EEffffjfiS5_IjLj3EEiiiiiiiiiiiliiliiiiil.num_named_barrier, max(0, .L_ZL14no_device_codePKciS0_iS0_.num_named_barrier)
	.set _ZL15flash_attn_tileILi112ELi112ELi4ELi4ELb1EEvPKcS1_S1_S1_S1_PKiPfP15HIP_vector_typeIfLj2EEffffjfiS5_IjLj3EEiiiiiiiiiiiliiliiiiil.private_seg_size, 0+max(.L_ZL14no_device_codePKciS0_iS0_.private_seg_size)
	.set _ZL15flash_attn_tileILi112ELi112ELi4ELi4ELb1EEvPKcS1_S1_S1_S1_PKiPfP15HIP_vector_typeIfLj2EEffffjfiS5_IjLj3EEiiiiiiiiiiiliiliiiiil.uses_vcc, or(1, .L_ZL14no_device_codePKciS0_iS0_.uses_vcc)
	.set _ZL15flash_attn_tileILi112ELi112ELi4ELi4ELb1EEvPKcS1_S1_S1_S1_PKiPfP15HIP_vector_typeIfLj2EEffffjfiS5_IjLj3EEiiiiiiiiiiiliiliiiiil.uses_flat_scratch, or(0, .L_ZL14no_device_codePKciS0_iS0_.uses_flat_scratch)
	.set _ZL15flash_attn_tileILi112ELi112ELi4ELi4ELb1EEvPKcS1_S1_S1_S1_PKiPfP15HIP_vector_typeIfLj2EEffffjfiS5_IjLj3EEiiiiiiiiiiiliiliiiiil.has_dyn_sized_stack, or(0, .L_ZL14no_device_codePKciS0_iS0_.has_dyn_sized_stack)
	.set _ZL15flash_attn_tileILi112ELi112ELi4ELi4ELb1EEvPKcS1_S1_S1_S1_PKiPfP15HIP_vector_typeIfLj2EEffffjfiS5_IjLj3EEiiiiiiiiiiiliiliiiiil.has_recursion, or(0, .L_ZL14no_device_codePKciS0_iS0_.has_recursion)
	.set _ZL15flash_attn_tileILi112ELi112ELi4ELi4ELb1EEvPKcS1_S1_S1_S1_PKiPfP15HIP_vector_typeIfLj2EEffffjfiS5_IjLj3EEiiiiiiiiiiiliiliiiiil.has_indirect_call, or(0, .L_ZL14no_device_codePKciS0_iS0_.has_indirect_call)
	.section	.AMDGPU.csdata,"",@progbits
; Kernel info:
; codeLenInByte = 40
; TotalNumSgprs: 40
; NumVgprs: 50
; NumAgprs: 0
; TotalNumVgprs: 50
; ScratchSize: 16
; MemoryBound: 0
; FloatMode: 240
; IeeeMode: 1
; LDSByteSize: 0 bytes/workgroup (compile time only)
; SGPRBlocks: 4
; VGPRBlocks: 6
; NumSGPRsForWavesPerEU: 40
; NumVGPRsForWavesPerEU: 50
; AccumOffset: 52
; Occupancy: 8
; WaveLimiterHint : 1
; COMPUTE_PGM_RSRC2:SCRATCH_EN: 1
; COMPUTE_PGM_RSRC2:USER_SGPR: 2
; COMPUTE_PGM_RSRC2:TRAP_HANDLER: 0
; COMPUTE_PGM_RSRC2:TGID_X_EN: 1
; COMPUTE_PGM_RSRC2:TGID_Y_EN: 0
; COMPUTE_PGM_RSRC2:TGID_Z_EN: 0
; COMPUTE_PGM_RSRC2:TIDIG_COMP_CNT: 0
; COMPUTE_PGM_RSRC3_GFX90A:ACCUM_OFFSET: 12
; COMPUTE_PGM_RSRC3_GFX90A:TG_SPLIT: 0
	.section	.text._ZL15flash_attn_tileILi112ELi112ELi2ELi4ELb1EEvPKcS1_S1_S1_S1_PKiPfP15HIP_vector_typeIfLj2EEffffjfiS5_IjLj3EEiiiiiiiiiiiliiliiiiil,"axG",@progbits,_ZL15flash_attn_tileILi112ELi112ELi2ELi4ELb1EEvPKcS1_S1_S1_S1_PKiPfP15HIP_vector_typeIfLj2EEffffjfiS5_IjLj3EEiiiiiiiiiiiliiliiiiil,comdat
	.globl	_ZL15flash_attn_tileILi112ELi112ELi2ELi4ELb1EEvPKcS1_S1_S1_S1_PKiPfP15HIP_vector_typeIfLj2EEffffjfiS5_IjLj3EEiiiiiiiiiiiliiliiiiil ; -- Begin function _ZL15flash_attn_tileILi112ELi112ELi2ELi4ELb1EEvPKcS1_S1_S1_S1_PKiPfP15HIP_vector_typeIfLj2EEffffjfiS5_IjLj3EEiiiiiiiiiiiliiliiiiil
	.p2align	8
	.type	_ZL15flash_attn_tileILi112ELi112ELi2ELi4ELb1EEvPKcS1_S1_S1_S1_PKiPfP15HIP_vector_typeIfLj2EEffffjfiS5_IjLj3EEiiiiiiiiiiiliiliiiiil,@function
_ZL15flash_attn_tileILi112ELi112ELi2ELi4ELb1EEvPKcS1_S1_S1_S1_PKiPfP15HIP_vector_typeIfLj2EEffffjfiS5_IjLj3EEiiiiiiiiiiiliiliiiiil: ; @_ZL15flash_attn_tileILi112ELi112ELi2ELi4ELb1EEvPKcS1_S1_S1_S1_PKiPfP15HIP_vector_typeIfLj2EEffffjfiS5_IjLj3EEiiiiiiiiiiiliiliiiiil
; %bb.0:
	s_add_u32 s8, s0, 0xd0
	s_addc_u32 s9, s1, 0
	s_getpc_b64 s[0:1]
	s_add_u32 s0, s0, _ZL14no_device_codePKciS0_iS0_@rel32@lo+4
	s_addc_u32 s1, s1, _ZL14no_device_codePKciS0_iS0_@rel32@hi+12
	s_mov_b32 s32, 0
	s_swappc_b64 s[30:31], s[0:1]
	.section	.rodata,"a",@progbits
	.p2align	6, 0x0
	.amdhsa_kernel _ZL15flash_attn_tileILi112ELi112ELi2ELi4ELb1EEvPKcS1_S1_S1_S1_PKiPfP15HIP_vector_typeIfLj2EEffffjfiS5_IjLj3EEiiiiiiiiiiiliiliiiiil
		.amdhsa_group_segment_fixed_size 0
		.amdhsa_private_segment_fixed_size 16
		.amdhsa_kernarg_size 464
		.amdhsa_user_sgpr_count 2
		.amdhsa_user_sgpr_dispatch_ptr 0
		.amdhsa_user_sgpr_queue_ptr 0
		.amdhsa_user_sgpr_kernarg_segment_ptr 1
		.amdhsa_user_sgpr_dispatch_id 0
		.amdhsa_user_sgpr_kernarg_preload_length 0
		.amdhsa_user_sgpr_kernarg_preload_offset 0
		.amdhsa_user_sgpr_private_segment_size 0
		.amdhsa_uses_dynamic_stack 0
		.amdhsa_enable_private_segment 1
		.amdhsa_system_sgpr_workgroup_id_x 1
		.amdhsa_system_sgpr_workgroup_id_y 0
		.amdhsa_system_sgpr_workgroup_id_z 0
		.amdhsa_system_sgpr_workgroup_info 0
		.amdhsa_system_vgpr_workitem_id 0
		.amdhsa_next_free_vgpr 50
		.amdhsa_next_free_sgpr 34
		.amdhsa_accum_offset 52
		.amdhsa_reserve_vcc 1
		.amdhsa_float_round_mode_32 0
		.amdhsa_float_round_mode_16_64 0
		.amdhsa_float_denorm_mode_32 3
		.amdhsa_float_denorm_mode_16_64 3
		.amdhsa_dx10_clamp 1
		.amdhsa_ieee_mode 1
		.amdhsa_fp16_overflow 0
		.amdhsa_tg_split 0
		.amdhsa_exception_fp_ieee_invalid_op 0
		.amdhsa_exception_fp_denorm_src 0
		.amdhsa_exception_fp_ieee_div_zero 0
		.amdhsa_exception_fp_ieee_overflow 0
		.amdhsa_exception_fp_ieee_underflow 0
		.amdhsa_exception_fp_ieee_inexact 0
		.amdhsa_exception_int_div_zero 0
	.end_amdhsa_kernel
	.section	.text._ZL15flash_attn_tileILi112ELi112ELi2ELi4ELb1EEvPKcS1_S1_S1_S1_PKiPfP15HIP_vector_typeIfLj2EEffffjfiS5_IjLj3EEiiiiiiiiiiiliiliiiiil,"axG",@progbits,_ZL15flash_attn_tileILi112ELi112ELi2ELi4ELb1EEvPKcS1_S1_S1_S1_PKiPfP15HIP_vector_typeIfLj2EEffffjfiS5_IjLj3EEiiiiiiiiiiiliiliiiiil,comdat
.Lfunc_end81:
	.size	_ZL15flash_attn_tileILi112ELi112ELi2ELi4ELb1EEvPKcS1_S1_S1_S1_PKiPfP15HIP_vector_typeIfLj2EEffffjfiS5_IjLj3EEiiiiiiiiiiiliiliiiiil, .Lfunc_end81-_ZL15flash_attn_tileILi112ELi112ELi2ELi4ELb1EEvPKcS1_S1_S1_S1_PKiPfP15HIP_vector_typeIfLj2EEffffjfiS5_IjLj3EEiiiiiiiiiiiliiliiiiil
                                        ; -- End function
	.set _ZL15flash_attn_tileILi112ELi112ELi2ELi4ELb1EEvPKcS1_S1_S1_S1_PKiPfP15HIP_vector_typeIfLj2EEffffjfiS5_IjLj3EEiiiiiiiiiiiliiliiiiil.num_vgpr, max(0, .L_ZL14no_device_codePKciS0_iS0_.num_vgpr)
	.set _ZL15flash_attn_tileILi112ELi112ELi2ELi4ELb1EEvPKcS1_S1_S1_S1_PKiPfP15HIP_vector_typeIfLj2EEffffjfiS5_IjLj3EEiiiiiiiiiiiliiliiiiil.num_agpr, max(0, .L_ZL14no_device_codePKciS0_iS0_.num_agpr)
	.set _ZL15flash_attn_tileILi112ELi112ELi2ELi4ELb1EEvPKcS1_S1_S1_S1_PKiPfP15HIP_vector_typeIfLj2EEffffjfiS5_IjLj3EEiiiiiiiiiiiliiliiiiil.numbered_sgpr, max(33, .L_ZL14no_device_codePKciS0_iS0_.numbered_sgpr)
	.set _ZL15flash_attn_tileILi112ELi112ELi2ELi4ELb1EEvPKcS1_S1_S1_S1_PKiPfP15HIP_vector_typeIfLj2EEffffjfiS5_IjLj3EEiiiiiiiiiiiliiliiiiil.num_named_barrier, max(0, .L_ZL14no_device_codePKciS0_iS0_.num_named_barrier)
	.set _ZL15flash_attn_tileILi112ELi112ELi2ELi4ELb1EEvPKcS1_S1_S1_S1_PKiPfP15HIP_vector_typeIfLj2EEffffjfiS5_IjLj3EEiiiiiiiiiiiliiliiiiil.private_seg_size, 0+max(.L_ZL14no_device_codePKciS0_iS0_.private_seg_size)
	.set _ZL15flash_attn_tileILi112ELi112ELi2ELi4ELb1EEvPKcS1_S1_S1_S1_PKiPfP15HIP_vector_typeIfLj2EEffffjfiS5_IjLj3EEiiiiiiiiiiiliiliiiiil.uses_vcc, or(1, .L_ZL14no_device_codePKciS0_iS0_.uses_vcc)
	.set _ZL15flash_attn_tileILi112ELi112ELi2ELi4ELb1EEvPKcS1_S1_S1_S1_PKiPfP15HIP_vector_typeIfLj2EEffffjfiS5_IjLj3EEiiiiiiiiiiiliiliiiiil.uses_flat_scratch, or(0, .L_ZL14no_device_codePKciS0_iS0_.uses_flat_scratch)
	.set _ZL15flash_attn_tileILi112ELi112ELi2ELi4ELb1EEvPKcS1_S1_S1_S1_PKiPfP15HIP_vector_typeIfLj2EEffffjfiS5_IjLj3EEiiiiiiiiiiiliiliiiiil.has_dyn_sized_stack, or(0, .L_ZL14no_device_codePKciS0_iS0_.has_dyn_sized_stack)
	.set _ZL15flash_attn_tileILi112ELi112ELi2ELi4ELb1EEvPKcS1_S1_S1_S1_PKiPfP15HIP_vector_typeIfLj2EEffffjfiS5_IjLj3EEiiiiiiiiiiiliiliiiiil.has_recursion, or(0, .L_ZL14no_device_codePKciS0_iS0_.has_recursion)
	.set _ZL15flash_attn_tileILi112ELi112ELi2ELi4ELb1EEvPKcS1_S1_S1_S1_PKiPfP15HIP_vector_typeIfLj2EEffffjfiS5_IjLj3EEiiiiiiiiiiiliiliiiiil.has_indirect_call, or(0, .L_ZL14no_device_codePKciS0_iS0_.has_indirect_call)
	.section	.AMDGPU.csdata,"",@progbits
; Kernel info:
; codeLenInByte = 40
; TotalNumSgprs: 40
; NumVgprs: 50
; NumAgprs: 0
; TotalNumVgprs: 50
; ScratchSize: 16
; MemoryBound: 0
; FloatMode: 240
; IeeeMode: 1
; LDSByteSize: 0 bytes/workgroup (compile time only)
; SGPRBlocks: 4
; VGPRBlocks: 6
; NumSGPRsForWavesPerEU: 40
; NumVGPRsForWavesPerEU: 50
; AccumOffset: 52
; Occupancy: 8
; WaveLimiterHint : 1
; COMPUTE_PGM_RSRC2:SCRATCH_EN: 1
; COMPUTE_PGM_RSRC2:USER_SGPR: 2
; COMPUTE_PGM_RSRC2:TRAP_HANDLER: 0
; COMPUTE_PGM_RSRC2:TGID_X_EN: 1
; COMPUTE_PGM_RSRC2:TGID_Y_EN: 0
; COMPUTE_PGM_RSRC2:TGID_Z_EN: 0
; COMPUTE_PGM_RSRC2:TIDIG_COMP_CNT: 0
; COMPUTE_PGM_RSRC3_GFX90A:ACCUM_OFFSET: 12
; COMPUTE_PGM_RSRC3_GFX90A:TG_SPLIT: 0
	.section	.text._ZL15flash_attn_tileILi112ELi112ELi1ELi4ELb1EEvPKcS1_S1_S1_S1_PKiPfP15HIP_vector_typeIfLj2EEffffjfiS5_IjLj3EEiiiiiiiiiiiliiliiiiil,"axG",@progbits,_ZL15flash_attn_tileILi112ELi112ELi1ELi4ELb1EEvPKcS1_S1_S1_S1_PKiPfP15HIP_vector_typeIfLj2EEffffjfiS5_IjLj3EEiiiiiiiiiiiliiliiiiil,comdat
	.globl	_ZL15flash_attn_tileILi112ELi112ELi1ELi4ELb1EEvPKcS1_S1_S1_S1_PKiPfP15HIP_vector_typeIfLj2EEffffjfiS5_IjLj3EEiiiiiiiiiiiliiliiiiil ; -- Begin function _ZL15flash_attn_tileILi112ELi112ELi1ELi4ELb1EEvPKcS1_S1_S1_S1_PKiPfP15HIP_vector_typeIfLj2EEffffjfiS5_IjLj3EEiiiiiiiiiiiliiliiiiil
	.p2align	8
	.type	_ZL15flash_attn_tileILi112ELi112ELi1ELi4ELb1EEvPKcS1_S1_S1_S1_PKiPfP15HIP_vector_typeIfLj2EEffffjfiS5_IjLj3EEiiiiiiiiiiiliiliiiiil,@function
_ZL15flash_attn_tileILi112ELi112ELi1ELi4ELb1EEvPKcS1_S1_S1_S1_PKiPfP15HIP_vector_typeIfLj2EEffffjfiS5_IjLj3EEiiiiiiiiiiiliiliiiiil: ; @_ZL15flash_attn_tileILi112ELi112ELi1ELi4ELb1EEvPKcS1_S1_S1_S1_PKiPfP15HIP_vector_typeIfLj2EEffffjfiS5_IjLj3EEiiiiiiiiiiiliiliiiiil
; %bb.0:
	s_add_u32 s8, s0, 0xd0
	s_addc_u32 s9, s1, 0
	s_getpc_b64 s[0:1]
	s_add_u32 s0, s0, _ZL14no_device_codePKciS0_iS0_@rel32@lo+4
	s_addc_u32 s1, s1, _ZL14no_device_codePKciS0_iS0_@rel32@hi+12
	s_mov_b32 s32, 0
	s_swappc_b64 s[30:31], s[0:1]
	.section	.rodata,"a",@progbits
	.p2align	6, 0x0
	.amdhsa_kernel _ZL15flash_attn_tileILi112ELi112ELi1ELi4ELb1EEvPKcS1_S1_S1_S1_PKiPfP15HIP_vector_typeIfLj2EEffffjfiS5_IjLj3EEiiiiiiiiiiiliiliiiiil
		.amdhsa_group_segment_fixed_size 0
		.amdhsa_private_segment_fixed_size 16
		.amdhsa_kernarg_size 464
		.amdhsa_user_sgpr_count 2
		.amdhsa_user_sgpr_dispatch_ptr 0
		.amdhsa_user_sgpr_queue_ptr 0
		.amdhsa_user_sgpr_kernarg_segment_ptr 1
		.amdhsa_user_sgpr_dispatch_id 0
		.amdhsa_user_sgpr_kernarg_preload_length 0
		.amdhsa_user_sgpr_kernarg_preload_offset 0
		.amdhsa_user_sgpr_private_segment_size 0
		.amdhsa_uses_dynamic_stack 0
		.amdhsa_enable_private_segment 1
		.amdhsa_system_sgpr_workgroup_id_x 1
		.amdhsa_system_sgpr_workgroup_id_y 0
		.amdhsa_system_sgpr_workgroup_id_z 0
		.amdhsa_system_sgpr_workgroup_info 0
		.amdhsa_system_vgpr_workitem_id 0
		.amdhsa_next_free_vgpr 50
		.amdhsa_next_free_sgpr 34
		.amdhsa_accum_offset 52
		.amdhsa_reserve_vcc 1
		.amdhsa_float_round_mode_32 0
		.amdhsa_float_round_mode_16_64 0
		.amdhsa_float_denorm_mode_32 3
		.amdhsa_float_denorm_mode_16_64 3
		.amdhsa_dx10_clamp 1
		.amdhsa_ieee_mode 1
		.amdhsa_fp16_overflow 0
		.amdhsa_tg_split 0
		.amdhsa_exception_fp_ieee_invalid_op 0
		.amdhsa_exception_fp_denorm_src 0
		.amdhsa_exception_fp_ieee_div_zero 0
		.amdhsa_exception_fp_ieee_overflow 0
		.amdhsa_exception_fp_ieee_underflow 0
		.amdhsa_exception_fp_ieee_inexact 0
		.amdhsa_exception_int_div_zero 0
	.end_amdhsa_kernel
	.section	.text._ZL15flash_attn_tileILi112ELi112ELi1ELi4ELb1EEvPKcS1_S1_S1_S1_PKiPfP15HIP_vector_typeIfLj2EEffffjfiS5_IjLj3EEiiiiiiiiiiiliiliiiiil,"axG",@progbits,_ZL15flash_attn_tileILi112ELi112ELi1ELi4ELb1EEvPKcS1_S1_S1_S1_PKiPfP15HIP_vector_typeIfLj2EEffffjfiS5_IjLj3EEiiiiiiiiiiiliiliiiiil,comdat
.Lfunc_end82:
	.size	_ZL15flash_attn_tileILi112ELi112ELi1ELi4ELb1EEvPKcS1_S1_S1_S1_PKiPfP15HIP_vector_typeIfLj2EEffffjfiS5_IjLj3EEiiiiiiiiiiiliiliiiiil, .Lfunc_end82-_ZL15flash_attn_tileILi112ELi112ELi1ELi4ELb1EEvPKcS1_S1_S1_S1_PKiPfP15HIP_vector_typeIfLj2EEffffjfiS5_IjLj3EEiiiiiiiiiiiliiliiiiil
                                        ; -- End function
	.set _ZL15flash_attn_tileILi112ELi112ELi1ELi4ELb1EEvPKcS1_S1_S1_S1_PKiPfP15HIP_vector_typeIfLj2EEffffjfiS5_IjLj3EEiiiiiiiiiiiliiliiiiil.num_vgpr, max(0, .L_ZL14no_device_codePKciS0_iS0_.num_vgpr)
	.set _ZL15flash_attn_tileILi112ELi112ELi1ELi4ELb1EEvPKcS1_S1_S1_S1_PKiPfP15HIP_vector_typeIfLj2EEffffjfiS5_IjLj3EEiiiiiiiiiiiliiliiiiil.num_agpr, max(0, .L_ZL14no_device_codePKciS0_iS0_.num_agpr)
	.set _ZL15flash_attn_tileILi112ELi112ELi1ELi4ELb1EEvPKcS1_S1_S1_S1_PKiPfP15HIP_vector_typeIfLj2EEffffjfiS5_IjLj3EEiiiiiiiiiiiliiliiiiil.numbered_sgpr, max(33, .L_ZL14no_device_codePKciS0_iS0_.numbered_sgpr)
	.set _ZL15flash_attn_tileILi112ELi112ELi1ELi4ELb1EEvPKcS1_S1_S1_S1_PKiPfP15HIP_vector_typeIfLj2EEffffjfiS5_IjLj3EEiiiiiiiiiiiliiliiiiil.num_named_barrier, max(0, .L_ZL14no_device_codePKciS0_iS0_.num_named_barrier)
	.set _ZL15flash_attn_tileILi112ELi112ELi1ELi4ELb1EEvPKcS1_S1_S1_S1_PKiPfP15HIP_vector_typeIfLj2EEffffjfiS5_IjLj3EEiiiiiiiiiiiliiliiiiil.private_seg_size, 0+max(.L_ZL14no_device_codePKciS0_iS0_.private_seg_size)
	.set _ZL15flash_attn_tileILi112ELi112ELi1ELi4ELb1EEvPKcS1_S1_S1_S1_PKiPfP15HIP_vector_typeIfLj2EEffffjfiS5_IjLj3EEiiiiiiiiiiiliiliiiiil.uses_vcc, or(1, .L_ZL14no_device_codePKciS0_iS0_.uses_vcc)
	.set _ZL15flash_attn_tileILi112ELi112ELi1ELi4ELb1EEvPKcS1_S1_S1_S1_PKiPfP15HIP_vector_typeIfLj2EEffffjfiS5_IjLj3EEiiiiiiiiiiiliiliiiiil.uses_flat_scratch, or(0, .L_ZL14no_device_codePKciS0_iS0_.uses_flat_scratch)
	.set _ZL15flash_attn_tileILi112ELi112ELi1ELi4ELb1EEvPKcS1_S1_S1_S1_PKiPfP15HIP_vector_typeIfLj2EEffffjfiS5_IjLj3EEiiiiiiiiiiiliiliiiiil.has_dyn_sized_stack, or(0, .L_ZL14no_device_codePKciS0_iS0_.has_dyn_sized_stack)
	.set _ZL15flash_attn_tileILi112ELi112ELi1ELi4ELb1EEvPKcS1_S1_S1_S1_PKiPfP15HIP_vector_typeIfLj2EEffffjfiS5_IjLj3EEiiiiiiiiiiiliiliiiiil.has_recursion, or(0, .L_ZL14no_device_codePKciS0_iS0_.has_recursion)
	.set _ZL15flash_attn_tileILi112ELi112ELi1ELi4ELb1EEvPKcS1_S1_S1_S1_PKiPfP15HIP_vector_typeIfLj2EEffffjfiS5_IjLj3EEiiiiiiiiiiiliiliiiiil.has_indirect_call, or(0, .L_ZL14no_device_codePKciS0_iS0_.has_indirect_call)
	.section	.AMDGPU.csdata,"",@progbits
; Kernel info:
; codeLenInByte = 40
; TotalNumSgprs: 40
; NumVgprs: 50
; NumAgprs: 0
; TotalNumVgprs: 50
; ScratchSize: 16
; MemoryBound: 0
; FloatMode: 240
; IeeeMode: 1
; LDSByteSize: 0 bytes/workgroup (compile time only)
; SGPRBlocks: 4
; VGPRBlocks: 6
; NumSGPRsForWavesPerEU: 40
; NumVGPRsForWavesPerEU: 50
; AccumOffset: 52
; Occupancy: 8
; WaveLimiterHint : 1
; COMPUTE_PGM_RSRC2:SCRATCH_EN: 1
; COMPUTE_PGM_RSRC2:USER_SGPR: 2
; COMPUTE_PGM_RSRC2:TRAP_HANDLER: 0
; COMPUTE_PGM_RSRC2:TGID_X_EN: 1
; COMPUTE_PGM_RSRC2:TGID_Y_EN: 0
; COMPUTE_PGM_RSRC2:TGID_Z_EN: 0
; COMPUTE_PGM_RSRC2:TIDIG_COMP_CNT: 0
; COMPUTE_PGM_RSRC3_GFX90A:ACCUM_OFFSET: 12
; COMPUTE_PGM_RSRC3_GFX90A:TG_SPLIT: 0
	.section	.text._ZL15flash_attn_tileILi112ELi112ELi32ELi2ELb1EEvPKcS1_S1_S1_S1_PKiPfP15HIP_vector_typeIfLj2EEffffjfiS5_IjLj3EEiiiiiiiiiiiliiliiiiil,"axG",@progbits,_ZL15flash_attn_tileILi112ELi112ELi32ELi2ELb1EEvPKcS1_S1_S1_S1_PKiPfP15HIP_vector_typeIfLj2EEffffjfiS5_IjLj3EEiiiiiiiiiiiliiliiiiil,comdat
	.globl	_ZL15flash_attn_tileILi112ELi112ELi32ELi2ELb1EEvPKcS1_S1_S1_S1_PKiPfP15HIP_vector_typeIfLj2EEffffjfiS5_IjLj3EEiiiiiiiiiiiliiliiiiil ; -- Begin function _ZL15flash_attn_tileILi112ELi112ELi32ELi2ELb1EEvPKcS1_S1_S1_S1_PKiPfP15HIP_vector_typeIfLj2EEffffjfiS5_IjLj3EEiiiiiiiiiiiliiliiiiil
	.p2align	8
	.type	_ZL15flash_attn_tileILi112ELi112ELi32ELi2ELb1EEvPKcS1_S1_S1_S1_PKiPfP15HIP_vector_typeIfLj2EEffffjfiS5_IjLj3EEiiiiiiiiiiiliiliiiiil,@function
_ZL15flash_attn_tileILi112ELi112ELi32ELi2ELb1EEvPKcS1_S1_S1_S1_PKiPfP15HIP_vector_typeIfLj2EEffffjfiS5_IjLj3EEiiiiiiiiiiiliiliiiiil: ; @_ZL15flash_attn_tileILi112ELi112ELi32ELi2ELb1EEvPKcS1_S1_S1_S1_PKiPfP15HIP_vector_typeIfLj2EEffffjfiS5_IjLj3EEiiiiiiiiiiiliiliiiiil
; %bb.0:
	s_add_u32 s8, s0, 0xd0
	s_addc_u32 s9, s1, 0
	s_getpc_b64 s[0:1]
	s_add_u32 s0, s0, _ZL14no_device_codePKciS0_iS0_@rel32@lo+4
	s_addc_u32 s1, s1, _ZL14no_device_codePKciS0_iS0_@rel32@hi+12
	s_mov_b32 s32, 0
	s_swappc_b64 s[30:31], s[0:1]
	.section	.rodata,"a",@progbits
	.p2align	6, 0x0
	.amdhsa_kernel _ZL15flash_attn_tileILi112ELi112ELi32ELi2ELb1EEvPKcS1_S1_S1_S1_PKiPfP15HIP_vector_typeIfLj2EEffffjfiS5_IjLj3EEiiiiiiiiiiiliiliiiiil
		.amdhsa_group_segment_fixed_size 0
		.amdhsa_private_segment_fixed_size 16
		.amdhsa_kernarg_size 464
		.amdhsa_user_sgpr_count 2
		.amdhsa_user_sgpr_dispatch_ptr 0
		.amdhsa_user_sgpr_queue_ptr 0
		.amdhsa_user_sgpr_kernarg_segment_ptr 1
		.amdhsa_user_sgpr_dispatch_id 0
		.amdhsa_user_sgpr_kernarg_preload_length 0
		.amdhsa_user_sgpr_kernarg_preload_offset 0
		.amdhsa_user_sgpr_private_segment_size 0
		.amdhsa_uses_dynamic_stack 0
		.amdhsa_enable_private_segment 1
		.amdhsa_system_sgpr_workgroup_id_x 1
		.amdhsa_system_sgpr_workgroup_id_y 0
		.amdhsa_system_sgpr_workgroup_id_z 0
		.amdhsa_system_sgpr_workgroup_info 0
		.amdhsa_system_vgpr_workitem_id 0
		.amdhsa_next_free_vgpr 50
		.amdhsa_next_free_sgpr 34
		.amdhsa_accum_offset 52
		.amdhsa_reserve_vcc 1
		.amdhsa_float_round_mode_32 0
		.amdhsa_float_round_mode_16_64 0
		.amdhsa_float_denorm_mode_32 3
		.amdhsa_float_denorm_mode_16_64 3
		.amdhsa_dx10_clamp 1
		.amdhsa_ieee_mode 1
		.amdhsa_fp16_overflow 0
		.amdhsa_tg_split 0
		.amdhsa_exception_fp_ieee_invalid_op 0
		.amdhsa_exception_fp_denorm_src 0
		.amdhsa_exception_fp_ieee_div_zero 0
		.amdhsa_exception_fp_ieee_overflow 0
		.amdhsa_exception_fp_ieee_underflow 0
		.amdhsa_exception_fp_ieee_inexact 0
		.amdhsa_exception_int_div_zero 0
	.end_amdhsa_kernel
	.section	.text._ZL15flash_attn_tileILi112ELi112ELi32ELi2ELb1EEvPKcS1_S1_S1_S1_PKiPfP15HIP_vector_typeIfLj2EEffffjfiS5_IjLj3EEiiiiiiiiiiiliiliiiiil,"axG",@progbits,_ZL15flash_attn_tileILi112ELi112ELi32ELi2ELb1EEvPKcS1_S1_S1_S1_PKiPfP15HIP_vector_typeIfLj2EEffffjfiS5_IjLj3EEiiiiiiiiiiiliiliiiiil,comdat
.Lfunc_end83:
	.size	_ZL15flash_attn_tileILi112ELi112ELi32ELi2ELb1EEvPKcS1_S1_S1_S1_PKiPfP15HIP_vector_typeIfLj2EEffffjfiS5_IjLj3EEiiiiiiiiiiiliiliiiiil, .Lfunc_end83-_ZL15flash_attn_tileILi112ELi112ELi32ELi2ELb1EEvPKcS1_S1_S1_S1_PKiPfP15HIP_vector_typeIfLj2EEffffjfiS5_IjLj3EEiiiiiiiiiiiliiliiiiil
                                        ; -- End function
	.set _ZL15flash_attn_tileILi112ELi112ELi32ELi2ELb1EEvPKcS1_S1_S1_S1_PKiPfP15HIP_vector_typeIfLj2EEffffjfiS5_IjLj3EEiiiiiiiiiiiliiliiiiil.num_vgpr, max(0, .L_ZL14no_device_codePKciS0_iS0_.num_vgpr)
	.set _ZL15flash_attn_tileILi112ELi112ELi32ELi2ELb1EEvPKcS1_S1_S1_S1_PKiPfP15HIP_vector_typeIfLj2EEffffjfiS5_IjLj3EEiiiiiiiiiiiliiliiiiil.num_agpr, max(0, .L_ZL14no_device_codePKciS0_iS0_.num_agpr)
	.set _ZL15flash_attn_tileILi112ELi112ELi32ELi2ELb1EEvPKcS1_S1_S1_S1_PKiPfP15HIP_vector_typeIfLj2EEffffjfiS5_IjLj3EEiiiiiiiiiiiliiliiiiil.numbered_sgpr, max(33, .L_ZL14no_device_codePKciS0_iS0_.numbered_sgpr)
	.set _ZL15flash_attn_tileILi112ELi112ELi32ELi2ELb1EEvPKcS1_S1_S1_S1_PKiPfP15HIP_vector_typeIfLj2EEffffjfiS5_IjLj3EEiiiiiiiiiiiliiliiiiil.num_named_barrier, max(0, .L_ZL14no_device_codePKciS0_iS0_.num_named_barrier)
	.set _ZL15flash_attn_tileILi112ELi112ELi32ELi2ELb1EEvPKcS1_S1_S1_S1_PKiPfP15HIP_vector_typeIfLj2EEffffjfiS5_IjLj3EEiiiiiiiiiiiliiliiiiil.private_seg_size, 0+max(.L_ZL14no_device_codePKciS0_iS0_.private_seg_size)
	.set _ZL15flash_attn_tileILi112ELi112ELi32ELi2ELb1EEvPKcS1_S1_S1_S1_PKiPfP15HIP_vector_typeIfLj2EEffffjfiS5_IjLj3EEiiiiiiiiiiiliiliiiiil.uses_vcc, or(1, .L_ZL14no_device_codePKciS0_iS0_.uses_vcc)
	.set _ZL15flash_attn_tileILi112ELi112ELi32ELi2ELb1EEvPKcS1_S1_S1_S1_PKiPfP15HIP_vector_typeIfLj2EEffffjfiS5_IjLj3EEiiiiiiiiiiiliiliiiiil.uses_flat_scratch, or(0, .L_ZL14no_device_codePKciS0_iS0_.uses_flat_scratch)
	.set _ZL15flash_attn_tileILi112ELi112ELi32ELi2ELb1EEvPKcS1_S1_S1_S1_PKiPfP15HIP_vector_typeIfLj2EEffffjfiS5_IjLj3EEiiiiiiiiiiiliiliiiiil.has_dyn_sized_stack, or(0, .L_ZL14no_device_codePKciS0_iS0_.has_dyn_sized_stack)
	.set _ZL15flash_attn_tileILi112ELi112ELi32ELi2ELb1EEvPKcS1_S1_S1_S1_PKiPfP15HIP_vector_typeIfLj2EEffffjfiS5_IjLj3EEiiiiiiiiiiiliiliiiiil.has_recursion, or(0, .L_ZL14no_device_codePKciS0_iS0_.has_recursion)
	.set _ZL15flash_attn_tileILi112ELi112ELi32ELi2ELb1EEvPKcS1_S1_S1_S1_PKiPfP15HIP_vector_typeIfLj2EEffffjfiS5_IjLj3EEiiiiiiiiiiiliiliiiiil.has_indirect_call, or(0, .L_ZL14no_device_codePKciS0_iS0_.has_indirect_call)
	.section	.AMDGPU.csdata,"",@progbits
; Kernel info:
; codeLenInByte = 40
; TotalNumSgprs: 40
; NumVgprs: 50
; NumAgprs: 0
; TotalNumVgprs: 50
; ScratchSize: 16
; MemoryBound: 0
; FloatMode: 240
; IeeeMode: 1
; LDSByteSize: 0 bytes/workgroup (compile time only)
; SGPRBlocks: 4
; VGPRBlocks: 6
; NumSGPRsForWavesPerEU: 40
; NumVGPRsForWavesPerEU: 50
; AccumOffset: 52
; Occupancy: 8
; WaveLimiterHint : 1
; COMPUTE_PGM_RSRC2:SCRATCH_EN: 1
; COMPUTE_PGM_RSRC2:USER_SGPR: 2
; COMPUTE_PGM_RSRC2:TRAP_HANDLER: 0
; COMPUTE_PGM_RSRC2:TGID_X_EN: 1
; COMPUTE_PGM_RSRC2:TGID_Y_EN: 0
; COMPUTE_PGM_RSRC2:TGID_Z_EN: 0
; COMPUTE_PGM_RSRC2:TIDIG_COMP_CNT: 0
; COMPUTE_PGM_RSRC3_GFX90A:ACCUM_OFFSET: 12
; COMPUTE_PGM_RSRC3_GFX90A:TG_SPLIT: 0
	.section	.text._ZL15flash_attn_tileILi112ELi112ELi16ELi2ELb1EEvPKcS1_S1_S1_S1_PKiPfP15HIP_vector_typeIfLj2EEffffjfiS5_IjLj3EEiiiiiiiiiiiliiliiiiil,"axG",@progbits,_ZL15flash_attn_tileILi112ELi112ELi16ELi2ELb1EEvPKcS1_S1_S1_S1_PKiPfP15HIP_vector_typeIfLj2EEffffjfiS5_IjLj3EEiiiiiiiiiiiliiliiiiil,comdat
	.globl	_ZL15flash_attn_tileILi112ELi112ELi16ELi2ELb1EEvPKcS1_S1_S1_S1_PKiPfP15HIP_vector_typeIfLj2EEffffjfiS5_IjLj3EEiiiiiiiiiiiliiliiiiil ; -- Begin function _ZL15flash_attn_tileILi112ELi112ELi16ELi2ELb1EEvPKcS1_S1_S1_S1_PKiPfP15HIP_vector_typeIfLj2EEffffjfiS5_IjLj3EEiiiiiiiiiiiliiliiiiil
	.p2align	8
	.type	_ZL15flash_attn_tileILi112ELi112ELi16ELi2ELb1EEvPKcS1_S1_S1_S1_PKiPfP15HIP_vector_typeIfLj2EEffffjfiS5_IjLj3EEiiiiiiiiiiiliiliiiiil,@function
_ZL15flash_attn_tileILi112ELi112ELi16ELi2ELb1EEvPKcS1_S1_S1_S1_PKiPfP15HIP_vector_typeIfLj2EEffffjfiS5_IjLj3EEiiiiiiiiiiiliiliiiiil: ; @_ZL15flash_attn_tileILi112ELi112ELi16ELi2ELb1EEvPKcS1_S1_S1_S1_PKiPfP15HIP_vector_typeIfLj2EEffffjfiS5_IjLj3EEiiiiiiiiiiiliiliiiiil
; %bb.0:
	s_add_u32 s8, s0, 0xd0
	s_addc_u32 s9, s1, 0
	s_getpc_b64 s[0:1]
	s_add_u32 s0, s0, _ZL14no_device_codePKciS0_iS0_@rel32@lo+4
	s_addc_u32 s1, s1, _ZL14no_device_codePKciS0_iS0_@rel32@hi+12
	s_mov_b32 s32, 0
	s_swappc_b64 s[30:31], s[0:1]
	.section	.rodata,"a",@progbits
	.p2align	6, 0x0
	.amdhsa_kernel _ZL15flash_attn_tileILi112ELi112ELi16ELi2ELb1EEvPKcS1_S1_S1_S1_PKiPfP15HIP_vector_typeIfLj2EEffffjfiS5_IjLj3EEiiiiiiiiiiiliiliiiiil
		.amdhsa_group_segment_fixed_size 0
		.amdhsa_private_segment_fixed_size 16
		.amdhsa_kernarg_size 464
		.amdhsa_user_sgpr_count 2
		.amdhsa_user_sgpr_dispatch_ptr 0
		.amdhsa_user_sgpr_queue_ptr 0
		.amdhsa_user_sgpr_kernarg_segment_ptr 1
		.amdhsa_user_sgpr_dispatch_id 0
		.amdhsa_user_sgpr_kernarg_preload_length 0
		.amdhsa_user_sgpr_kernarg_preload_offset 0
		.amdhsa_user_sgpr_private_segment_size 0
		.amdhsa_uses_dynamic_stack 0
		.amdhsa_enable_private_segment 1
		.amdhsa_system_sgpr_workgroup_id_x 1
		.amdhsa_system_sgpr_workgroup_id_y 0
		.amdhsa_system_sgpr_workgroup_id_z 0
		.amdhsa_system_sgpr_workgroup_info 0
		.amdhsa_system_vgpr_workitem_id 0
		.amdhsa_next_free_vgpr 50
		.amdhsa_next_free_sgpr 34
		.amdhsa_accum_offset 52
		.amdhsa_reserve_vcc 1
		.amdhsa_float_round_mode_32 0
		.amdhsa_float_round_mode_16_64 0
		.amdhsa_float_denorm_mode_32 3
		.amdhsa_float_denorm_mode_16_64 3
		.amdhsa_dx10_clamp 1
		.amdhsa_ieee_mode 1
		.amdhsa_fp16_overflow 0
		.amdhsa_tg_split 0
		.amdhsa_exception_fp_ieee_invalid_op 0
		.amdhsa_exception_fp_denorm_src 0
		.amdhsa_exception_fp_ieee_div_zero 0
		.amdhsa_exception_fp_ieee_overflow 0
		.amdhsa_exception_fp_ieee_underflow 0
		.amdhsa_exception_fp_ieee_inexact 0
		.amdhsa_exception_int_div_zero 0
	.end_amdhsa_kernel
	.section	.text._ZL15flash_attn_tileILi112ELi112ELi16ELi2ELb1EEvPKcS1_S1_S1_S1_PKiPfP15HIP_vector_typeIfLj2EEffffjfiS5_IjLj3EEiiiiiiiiiiiliiliiiiil,"axG",@progbits,_ZL15flash_attn_tileILi112ELi112ELi16ELi2ELb1EEvPKcS1_S1_S1_S1_PKiPfP15HIP_vector_typeIfLj2EEffffjfiS5_IjLj3EEiiiiiiiiiiiliiliiiiil,comdat
.Lfunc_end84:
	.size	_ZL15flash_attn_tileILi112ELi112ELi16ELi2ELb1EEvPKcS1_S1_S1_S1_PKiPfP15HIP_vector_typeIfLj2EEffffjfiS5_IjLj3EEiiiiiiiiiiiliiliiiiil, .Lfunc_end84-_ZL15flash_attn_tileILi112ELi112ELi16ELi2ELb1EEvPKcS1_S1_S1_S1_PKiPfP15HIP_vector_typeIfLj2EEffffjfiS5_IjLj3EEiiiiiiiiiiiliiliiiiil
                                        ; -- End function
	.set _ZL15flash_attn_tileILi112ELi112ELi16ELi2ELb1EEvPKcS1_S1_S1_S1_PKiPfP15HIP_vector_typeIfLj2EEffffjfiS5_IjLj3EEiiiiiiiiiiiliiliiiiil.num_vgpr, max(0, .L_ZL14no_device_codePKciS0_iS0_.num_vgpr)
	.set _ZL15flash_attn_tileILi112ELi112ELi16ELi2ELb1EEvPKcS1_S1_S1_S1_PKiPfP15HIP_vector_typeIfLj2EEffffjfiS5_IjLj3EEiiiiiiiiiiiliiliiiiil.num_agpr, max(0, .L_ZL14no_device_codePKciS0_iS0_.num_agpr)
	.set _ZL15flash_attn_tileILi112ELi112ELi16ELi2ELb1EEvPKcS1_S1_S1_S1_PKiPfP15HIP_vector_typeIfLj2EEffffjfiS5_IjLj3EEiiiiiiiiiiiliiliiiiil.numbered_sgpr, max(33, .L_ZL14no_device_codePKciS0_iS0_.numbered_sgpr)
	.set _ZL15flash_attn_tileILi112ELi112ELi16ELi2ELb1EEvPKcS1_S1_S1_S1_PKiPfP15HIP_vector_typeIfLj2EEffffjfiS5_IjLj3EEiiiiiiiiiiiliiliiiiil.num_named_barrier, max(0, .L_ZL14no_device_codePKciS0_iS0_.num_named_barrier)
	.set _ZL15flash_attn_tileILi112ELi112ELi16ELi2ELb1EEvPKcS1_S1_S1_S1_PKiPfP15HIP_vector_typeIfLj2EEffffjfiS5_IjLj3EEiiiiiiiiiiiliiliiiiil.private_seg_size, 0+max(.L_ZL14no_device_codePKciS0_iS0_.private_seg_size)
	.set _ZL15flash_attn_tileILi112ELi112ELi16ELi2ELb1EEvPKcS1_S1_S1_S1_PKiPfP15HIP_vector_typeIfLj2EEffffjfiS5_IjLj3EEiiiiiiiiiiiliiliiiiil.uses_vcc, or(1, .L_ZL14no_device_codePKciS0_iS0_.uses_vcc)
	.set _ZL15flash_attn_tileILi112ELi112ELi16ELi2ELb1EEvPKcS1_S1_S1_S1_PKiPfP15HIP_vector_typeIfLj2EEffffjfiS5_IjLj3EEiiiiiiiiiiiliiliiiiil.uses_flat_scratch, or(0, .L_ZL14no_device_codePKciS0_iS0_.uses_flat_scratch)
	.set _ZL15flash_attn_tileILi112ELi112ELi16ELi2ELb1EEvPKcS1_S1_S1_S1_PKiPfP15HIP_vector_typeIfLj2EEffffjfiS5_IjLj3EEiiiiiiiiiiiliiliiiiil.has_dyn_sized_stack, or(0, .L_ZL14no_device_codePKciS0_iS0_.has_dyn_sized_stack)
	.set _ZL15flash_attn_tileILi112ELi112ELi16ELi2ELb1EEvPKcS1_S1_S1_S1_PKiPfP15HIP_vector_typeIfLj2EEffffjfiS5_IjLj3EEiiiiiiiiiiiliiliiiiil.has_recursion, or(0, .L_ZL14no_device_codePKciS0_iS0_.has_recursion)
	.set _ZL15flash_attn_tileILi112ELi112ELi16ELi2ELb1EEvPKcS1_S1_S1_S1_PKiPfP15HIP_vector_typeIfLj2EEffffjfiS5_IjLj3EEiiiiiiiiiiiliiliiiiil.has_indirect_call, or(0, .L_ZL14no_device_codePKciS0_iS0_.has_indirect_call)
	.section	.AMDGPU.csdata,"",@progbits
; Kernel info:
; codeLenInByte = 40
; TotalNumSgprs: 40
; NumVgprs: 50
; NumAgprs: 0
; TotalNumVgprs: 50
; ScratchSize: 16
; MemoryBound: 0
; FloatMode: 240
; IeeeMode: 1
; LDSByteSize: 0 bytes/workgroup (compile time only)
; SGPRBlocks: 4
; VGPRBlocks: 6
; NumSGPRsForWavesPerEU: 40
; NumVGPRsForWavesPerEU: 50
; AccumOffset: 52
; Occupancy: 8
; WaveLimiterHint : 1
; COMPUTE_PGM_RSRC2:SCRATCH_EN: 1
; COMPUTE_PGM_RSRC2:USER_SGPR: 2
; COMPUTE_PGM_RSRC2:TRAP_HANDLER: 0
; COMPUTE_PGM_RSRC2:TGID_X_EN: 1
; COMPUTE_PGM_RSRC2:TGID_Y_EN: 0
; COMPUTE_PGM_RSRC2:TGID_Z_EN: 0
; COMPUTE_PGM_RSRC2:TIDIG_COMP_CNT: 0
; COMPUTE_PGM_RSRC3_GFX90A:ACCUM_OFFSET: 12
; COMPUTE_PGM_RSRC3_GFX90A:TG_SPLIT: 0
	.section	.text._ZL15flash_attn_tileILi112ELi112ELi8ELi2ELb1EEvPKcS1_S1_S1_S1_PKiPfP15HIP_vector_typeIfLj2EEffffjfiS5_IjLj3EEiiiiiiiiiiiliiliiiiil,"axG",@progbits,_ZL15flash_attn_tileILi112ELi112ELi8ELi2ELb1EEvPKcS1_S1_S1_S1_PKiPfP15HIP_vector_typeIfLj2EEffffjfiS5_IjLj3EEiiiiiiiiiiiliiliiiiil,comdat
	.globl	_ZL15flash_attn_tileILi112ELi112ELi8ELi2ELb1EEvPKcS1_S1_S1_S1_PKiPfP15HIP_vector_typeIfLj2EEffffjfiS5_IjLj3EEiiiiiiiiiiiliiliiiiil ; -- Begin function _ZL15flash_attn_tileILi112ELi112ELi8ELi2ELb1EEvPKcS1_S1_S1_S1_PKiPfP15HIP_vector_typeIfLj2EEffffjfiS5_IjLj3EEiiiiiiiiiiiliiliiiiil
	.p2align	8
	.type	_ZL15flash_attn_tileILi112ELi112ELi8ELi2ELb1EEvPKcS1_S1_S1_S1_PKiPfP15HIP_vector_typeIfLj2EEffffjfiS5_IjLj3EEiiiiiiiiiiiliiliiiiil,@function
_ZL15flash_attn_tileILi112ELi112ELi8ELi2ELb1EEvPKcS1_S1_S1_S1_PKiPfP15HIP_vector_typeIfLj2EEffffjfiS5_IjLj3EEiiiiiiiiiiiliiliiiiil: ; @_ZL15flash_attn_tileILi112ELi112ELi8ELi2ELb1EEvPKcS1_S1_S1_S1_PKiPfP15HIP_vector_typeIfLj2EEffffjfiS5_IjLj3EEiiiiiiiiiiiliiliiiiil
; %bb.0:
	s_add_u32 s8, s0, 0xd0
	s_addc_u32 s9, s1, 0
	s_getpc_b64 s[0:1]
	s_add_u32 s0, s0, _ZL14no_device_codePKciS0_iS0_@rel32@lo+4
	s_addc_u32 s1, s1, _ZL14no_device_codePKciS0_iS0_@rel32@hi+12
	s_mov_b32 s32, 0
	s_swappc_b64 s[30:31], s[0:1]
	.section	.rodata,"a",@progbits
	.p2align	6, 0x0
	.amdhsa_kernel _ZL15flash_attn_tileILi112ELi112ELi8ELi2ELb1EEvPKcS1_S1_S1_S1_PKiPfP15HIP_vector_typeIfLj2EEffffjfiS5_IjLj3EEiiiiiiiiiiiliiliiiiil
		.amdhsa_group_segment_fixed_size 0
		.amdhsa_private_segment_fixed_size 16
		.amdhsa_kernarg_size 464
		.amdhsa_user_sgpr_count 2
		.amdhsa_user_sgpr_dispatch_ptr 0
		.amdhsa_user_sgpr_queue_ptr 0
		.amdhsa_user_sgpr_kernarg_segment_ptr 1
		.amdhsa_user_sgpr_dispatch_id 0
		.amdhsa_user_sgpr_kernarg_preload_length 0
		.amdhsa_user_sgpr_kernarg_preload_offset 0
		.amdhsa_user_sgpr_private_segment_size 0
		.amdhsa_uses_dynamic_stack 0
		.amdhsa_enable_private_segment 1
		.amdhsa_system_sgpr_workgroup_id_x 1
		.amdhsa_system_sgpr_workgroup_id_y 0
		.amdhsa_system_sgpr_workgroup_id_z 0
		.amdhsa_system_sgpr_workgroup_info 0
		.amdhsa_system_vgpr_workitem_id 0
		.amdhsa_next_free_vgpr 50
		.amdhsa_next_free_sgpr 34
		.amdhsa_accum_offset 52
		.amdhsa_reserve_vcc 1
		.amdhsa_float_round_mode_32 0
		.amdhsa_float_round_mode_16_64 0
		.amdhsa_float_denorm_mode_32 3
		.amdhsa_float_denorm_mode_16_64 3
		.amdhsa_dx10_clamp 1
		.amdhsa_ieee_mode 1
		.amdhsa_fp16_overflow 0
		.amdhsa_tg_split 0
		.amdhsa_exception_fp_ieee_invalid_op 0
		.amdhsa_exception_fp_denorm_src 0
		.amdhsa_exception_fp_ieee_div_zero 0
		.amdhsa_exception_fp_ieee_overflow 0
		.amdhsa_exception_fp_ieee_underflow 0
		.amdhsa_exception_fp_ieee_inexact 0
		.amdhsa_exception_int_div_zero 0
	.end_amdhsa_kernel
	.section	.text._ZL15flash_attn_tileILi112ELi112ELi8ELi2ELb1EEvPKcS1_S1_S1_S1_PKiPfP15HIP_vector_typeIfLj2EEffffjfiS5_IjLj3EEiiiiiiiiiiiliiliiiiil,"axG",@progbits,_ZL15flash_attn_tileILi112ELi112ELi8ELi2ELb1EEvPKcS1_S1_S1_S1_PKiPfP15HIP_vector_typeIfLj2EEffffjfiS5_IjLj3EEiiiiiiiiiiiliiliiiiil,comdat
.Lfunc_end85:
	.size	_ZL15flash_attn_tileILi112ELi112ELi8ELi2ELb1EEvPKcS1_S1_S1_S1_PKiPfP15HIP_vector_typeIfLj2EEffffjfiS5_IjLj3EEiiiiiiiiiiiliiliiiiil, .Lfunc_end85-_ZL15flash_attn_tileILi112ELi112ELi8ELi2ELb1EEvPKcS1_S1_S1_S1_PKiPfP15HIP_vector_typeIfLj2EEffffjfiS5_IjLj3EEiiiiiiiiiiiliiliiiiil
                                        ; -- End function
	.set _ZL15flash_attn_tileILi112ELi112ELi8ELi2ELb1EEvPKcS1_S1_S1_S1_PKiPfP15HIP_vector_typeIfLj2EEffffjfiS5_IjLj3EEiiiiiiiiiiiliiliiiiil.num_vgpr, max(0, .L_ZL14no_device_codePKciS0_iS0_.num_vgpr)
	.set _ZL15flash_attn_tileILi112ELi112ELi8ELi2ELb1EEvPKcS1_S1_S1_S1_PKiPfP15HIP_vector_typeIfLj2EEffffjfiS5_IjLj3EEiiiiiiiiiiiliiliiiiil.num_agpr, max(0, .L_ZL14no_device_codePKciS0_iS0_.num_agpr)
	.set _ZL15flash_attn_tileILi112ELi112ELi8ELi2ELb1EEvPKcS1_S1_S1_S1_PKiPfP15HIP_vector_typeIfLj2EEffffjfiS5_IjLj3EEiiiiiiiiiiiliiliiiiil.numbered_sgpr, max(33, .L_ZL14no_device_codePKciS0_iS0_.numbered_sgpr)
	.set _ZL15flash_attn_tileILi112ELi112ELi8ELi2ELb1EEvPKcS1_S1_S1_S1_PKiPfP15HIP_vector_typeIfLj2EEffffjfiS5_IjLj3EEiiiiiiiiiiiliiliiiiil.num_named_barrier, max(0, .L_ZL14no_device_codePKciS0_iS0_.num_named_barrier)
	.set _ZL15flash_attn_tileILi112ELi112ELi8ELi2ELb1EEvPKcS1_S1_S1_S1_PKiPfP15HIP_vector_typeIfLj2EEffffjfiS5_IjLj3EEiiiiiiiiiiiliiliiiiil.private_seg_size, 0+max(.L_ZL14no_device_codePKciS0_iS0_.private_seg_size)
	.set _ZL15flash_attn_tileILi112ELi112ELi8ELi2ELb1EEvPKcS1_S1_S1_S1_PKiPfP15HIP_vector_typeIfLj2EEffffjfiS5_IjLj3EEiiiiiiiiiiiliiliiiiil.uses_vcc, or(1, .L_ZL14no_device_codePKciS0_iS0_.uses_vcc)
	.set _ZL15flash_attn_tileILi112ELi112ELi8ELi2ELb1EEvPKcS1_S1_S1_S1_PKiPfP15HIP_vector_typeIfLj2EEffffjfiS5_IjLj3EEiiiiiiiiiiiliiliiiiil.uses_flat_scratch, or(0, .L_ZL14no_device_codePKciS0_iS0_.uses_flat_scratch)
	.set _ZL15flash_attn_tileILi112ELi112ELi8ELi2ELb1EEvPKcS1_S1_S1_S1_PKiPfP15HIP_vector_typeIfLj2EEffffjfiS5_IjLj3EEiiiiiiiiiiiliiliiiiil.has_dyn_sized_stack, or(0, .L_ZL14no_device_codePKciS0_iS0_.has_dyn_sized_stack)
	.set _ZL15flash_attn_tileILi112ELi112ELi8ELi2ELb1EEvPKcS1_S1_S1_S1_PKiPfP15HIP_vector_typeIfLj2EEffffjfiS5_IjLj3EEiiiiiiiiiiiliiliiiiil.has_recursion, or(0, .L_ZL14no_device_codePKciS0_iS0_.has_recursion)
	.set _ZL15flash_attn_tileILi112ELi112ELi8ELi2ELb1EEvPKcS1_S1_S1_S1_PKiPfP15HIP_vector_typeIfLj2EEffffjfiS5_IjLj3EEiiiiiiiiiiiliiliiiiil.has_indirect_call, or(0, .L_ZL14no_device_codePKciS0_iS0_.has_indirect_call)
	.section	.AMDGPU.csdata,"",@progbits
; Kernel info:
; codeLenInByte = 40
; TotalNumSgprs: 40
; NumVgprs: 50
; NumAgprs: 0
; TotalNumVgprs: 50
; ScratchSize: 16
; MemoryBound: 0
; FloatMode: 240
; IeeeMode: 1
; LDSByteSize: 0 bytes/workgroup (compile time only)
; SGPRBlocks: 4
; VGPRBlocks: 6
; NumSGPRsForWavesPerEU: 40
; NumVGPRsForWavesPerEU: 50
; AccumOffset: 52
; Occupancy: 8
; WaveLimiterHint : 1
; COMPUTE_PGM_RSRC2:SCRATCH_EN: 1
; COMPUTE_PGM_RSRC2:USER_SGPR: 2
; COMPUTE_PGM_RSRC2:TRAP_HANDLER: 0
; COMPUTE_PGM_RSRC2:TGID_X_EN: 1
; COMPUTE_PGM_RSRC2:TGID_Y_EN: 0
; COMPUTE_PGM_RSRC2:TGID_Z_EN: 0
; COMPUTE_PGM_RSRC2:TIDIG_COMP_CNT: 0
; COMPUTE_PGM_RSRC3_GFX90A:ACCUM_OFFSET: 12
; COMPUTE_PGM_RSRC3_GFX90A:TG_SPLIT: 0
	.section	.text._ZL15flash_attn_tileILi112ELi112ELi4ELi2ELb1EEvPKcS1_S1_S1_S1_PKiPfP15HIP_vector_typeIfLj2EEffffjfiS5_IjLj3EEiiiiiiiiiiiliiliiiiil,"axG",@progbits,_ZL15flash_attn_tileILi112ELi112ELi4ELi2ELb1EEvPKcS1_S1_S1_S1_PKiPfP15HIP_vector_typeIfLj2EEffffjfiS5_IjLj3EEiiiiiiiiiiiliiliiiiil,comdat
	.globl	_ZL15flash_attn_tileILi112ELi112ELi4ELi2ELb1EEvPKcS1_S1_S1_S1_PKiPfP15HIP_vector_typeIfLj2EEffffjfiS5_IjLj3EEiiiiiiiiiiiliiliiiiil ; -- Begin function _ZL15flash_attn_tileILi112ELi112ELi4ELi2ELb1EEvPKcS1_S1_S1_S1_PKiPfP15HIP_vector_typeIfLj2EEffffjfiS5_IjLj3EEiiiiiiiiiiiliiliiiiil
	.p2align	8
	.type	_ZL15flash_attn_tileILi112ELi112ELi4ELi2ELb1EEvPKcS1_S1_S1_S1_PKiPfP15HIP_vector_typeIfLj2EEffffjfiS5_IjLj3EEiiiiiiiiiiiliiliiiiil,@function
_ZL15flash_attn_tileILi112ELi112ELi4ELi2ELb1EEvPKcS1_S1_S1_S1_PKiPfP15HIP_vector_typeIfLj2EEffffjfiS5_IjLj3EEiiiiiiiiiiiliiliiiiil: ; @_ZL15flash_attn_tileILi112ELi112ELi4ELi2ELb1EEvPKcS1_S1_S1_S1_PKiPfP15HIP_vector_typeIfLj2EEffffjfiS5_IjLj3EEiiiiiiiiiiiliiliiiiil
; %bb.0:
	s_add_u32 s8, s0, 0xd0
	s_addc_u32 s9, s1, 0
	s_getpc_b64 s[0:1]
	s_add_u32 s0, s0, _ZL14no_device_codePKciS0_iS0_@rel32@lo+4
	s_addc_u32 s1, s1, _ZL14no_device_codePKciS0_iS0_@rel32@hi+12
	s_mov_b32 s32, 0
	s_swappc_b64 s[30:31], s[0:1]
	.section	.rodata,"a",@progbits
	.p2align	6, 0x0
	.amdhsa_kernel _ZL15flash_attn_tileILi112ELi112ELi4ELi2ELb1EEvPKcS1_S1_S1_S1_PKiPfP15HIP_vector_typeIfLj2EEffffjfiS5_IjLj3EEiiiiiiiiiiiliiliiiiil
		.amdhsa_group_segment_fixed_size 0
		.amdhsa_private_segment_fixed_size 16
		.amdhsa_kernarg_size 464
		.amdhsa_user_sgpr_count 2
		.amdhsa_user_sgpr_dispatch_ptr 0
		.amdhsa_user_sgpr_queue_ptr 0
		.amdhsa_user_sgpr_kernarg_segment_ptr 1
		.amdhsa_user_sgpr_dispatch_id 0
		.amdhsa_user_sgpr_kernarg_preload_length 0
		.amdhsa_user_sgpr_kernarg_preload_offset 0
		.amdhsa_user_sgpr_private_segment_size 0
		.amdhsa_uses_dynamic_stack 0
		.amdhsa_enable_private_segment 1
		.amdhsa_system_sgpr_workgroup_id_x 1
		.amdhsa_system_sgpr_workgroup_id_y 0
		.amdhsa_system_sgpr_workgroup_id_z 0
		.amdhsa_system_sgpr_workgroup_info 0
		.amdhsa_system_vgpr_workitem_id 0
		.amdhsa_next_free_vgpr 50
		.amdhsa_next_free_sgpr 34
		.amdhsa_accum_offset 52
		.amdhsa_reserve_vcc 1
		.amdhsa_float_round_mode_32 0
		.amdhsa_float_round_mode_16_64 0
		.amdhsa_float_denorm_mode_32 3
		.amdhsa_float_denorm_mode_16_64 3
		.amdhsa_dx10_clamp 1
		.amdhsa_ieee_mode 1
		.amdhsa_fp16_overflow 0
		.amdhsa_tg_split 0
		.amdhsa_exception_fp_ieee_invalid_op 0
		.amdhsa_exception_fp_denorm_src 0
		.amdhsa_exception_fp_ieee_div_zero 0
		.amdhsa_exception_fp_ieee_overflow 0
		.amdhsa_exception_fp_ieee_underflow 0
		.amdhsa_exception_fp_ieee_inexact 0
		.amdhsa_exception_int_div_zero 0
	.end_amdhsa_kernel
	.section	.text._ZL15flash_attn_tileILi112ELi112ELi4ELi2ELb1EEvPKcS1_S1_S1_S1_PKiPfP15HIP_vector_typeIfLj2EEffffjfiS5_IjLj3EEiiiiiiiiiiiliiliiiiil,"axG",@progbits,_ZL15flash_attn_tileILi112ELi112ELi4ELi2ELb1EEvPKcS1_S1_S1_S1_PKiPfP15HIP_vector_typeIfLj2EEffffjfiS5_IjLj3EEiiiiiiiiiiiliiliiiiil,comdat
.Lfunc_end86:
	.size	_ZL15flash_attn_tileILi112ELi112ELi4ELi2ELb1EEvPKcS1_S1_S1_S1_PKiPfP15HIP_vector_typeIfLj2EEffffjfiS5_IjLj3EEiiiiiiiiiiiliiliiiiil, .Lfunc_end86-_ZL15flash_attn_tileILi112ELi112ELi4ELi2ELb1EEvPKcS1_S1_S1_S1_PKiPfP15HIP_vector_typeIfLj2EEffffjfiS5_IjLj3EEiiiiiiiiiiiliiliiiiil
                                        ; -- End function
	.set _ZL15flash_attn_tileILi112ELi112ELi4ELi2ELb1EEvPKcS1_S1_S1_S1_PKiPfP15HIP_vector_typeIfLj2EEffffjfiS5_IjLj3EEiiiiiiiiiiiliiliiiiil.num_vgpr, max(0, .L_ZL14no_device_codePKciS0_iS0_.num_vgpr)
	.set _ZL15flash_attn_tileILi112ELi112ELi4ELi2ELb1EEvPKcS1_S1_S1_S1_PKiPfP15HIP_vector_typeIfLj2EEffffjfiS5_IjLj3EEiiiiiiiiiiiliiliiiiil.num_agpr, max(0, .L_ZL14no_device_codePKciS0_iS0_.num_agpr)
	.set _ZL15flash_attn_tileILi112ELi112ELi4ELi2ELb1EEvPKcS1_S1_S1_S1_PKiPfP15HIP_vector_typeIfLj2EEffffjfiS5_IjLj3EEiiiiiiiiiiiliiliiiiil.numbered_sgpr, max(33, .L_ZL14no_device_codePKciS0_iS0_.numbered_sgpr)
	.set _ZL15flash_attn_tileILi112ELi112ELi4ELi2ELb1EEvPKcS1_S1_S1_S1_PKiPfP15HIP_vector_typeIfLj2EEffffjfiS5_IjLj3EEiiiiiiiiiiiliiliiiiil.num_named_barrier, max(0, .L_ZL14no_device_codePKciS0_iS0_.num_named_barrier)
	.set _ZL15flash_attn_tileILi112ELi112ELi4ELi2ELb1EEvPKcS1_S1_S1_S1_PKiPfP15HIP_vector_typeIfLj2EEffffjfiS5_IjLj3EEiiiiiiiiiiiliiliiiiil.private_seg_size, 0+max(.L_ZL14no_device_codePKciS0_iS0_.private_seg_size)
	.set _ZL15flash_attn_tileILi112ELi112ELi4ELi2ELb1EEvPKcS1_S1_S1_S1_PKiPfP15HIP_vector_typeIfLj2EEffffjfiS5_IjLj3EEiiiiiiiiiiiliiliiiiil.uses_vcc, or(1, .L_ZL14no_device_codePKciS0_iS0_.uses_vcc)
	.set _ZL15flash_attn_tileILi112ELi112ELi4ELi2ELb1EEvPKcS1_S1_S1_S1_PKiPfP15HIP_vector_typeIfLj2EEffffjfiS5_IjLj3EEiiiiiiiiiiiliiliiiiil.uses_flat_scratch, or(0, .L_ZL14no_device_codePKciS0_iS0_.uses_flat_scratch)
	.set _ZL15flash_attn_tileILi112ELi112ELi4ELi2ELb1EEvPKcS1_S1_S1_S1_PKiPfP15HIP_vector_typeIfLj2EEffffjfiS5_IjLj3EEiiiiiiiiiiiliiliiiiil.has_dyn_sized_stack, or(0, .L_ZL14no_device_codePKciS0_iS0_.has_dyn_sized_stack)
	.set _ZL15flash_attn_tileILi112ELi112ELi4ELi2ELb1EEvPKcS1_S1_S1_S1_PKiPfP15HIP_vector_typeIfLj2EEffffjfiS5_IjLj3EEiiiiiiiiiiiliiliiiiil.has_recursion, or(0, .L_ZL14no_device_codePKciS0_iS0_.has_recursion)
	.set _ZL15flash_attn_tileILi112ELi112ELi4ELi2ELb1EEvPKcS1_S1_S1_S1_PKiPfP15HIP_vector_typeIfLj2EEffffjfiS5_IjLj3EEiiiiiiiiiiiliiliiiiil.has_indirect_call, or(0, .L_ZL14no_device_codePKciS0_iS0_.has_indirect_call)
	.section	.AMDGPU.csdata,"",@progbits
; Kernel info:
; codeLenInByte = 40
; TotalNumSgprs: 40
; NumVgprs: 50
; NumAgprs: 0
; TotalNumVgprs: 50
; ScratchSize: 16
; MemoryBound: 0
; FloatMode: 240
; IeeeMode: 1
; LDSByteSize: 0 bytes/workgroup (compile time only)
; SGPRBlocks: 4
; VGPRBlocks: 6
; NumSGPRsForWavesPerEU: 40
; NumVGPRsForWavesPerEU: 50
; AccumOffset: 52
; Occupancy: 8
; WaveLimiterHint : 1
; COMPUTE_PGM_RSRC2:SCRATCH_EN: 1
; COMPUTE_PGM_RSRC2:USER_SGPR: 2
; COMPUTE_PGM_RSRC2:TRAP_HANDLER: 0
; COMPUTE_PGM_RSRC2:TGID_X_EN: 1
; COMPUTE_PGM_RSRC2:TGID_Y_EN: 0
; COMPUTE_PGM_RSRC2:TGID_Z_EN: 0
; COMPUTE_PGM_RSRC2:TIDIG_COMP_CNT: 0
; COMPUTE_PGM_RSRC3_GFX90A:ACCUM_OFFSET: 12
; COMPUTE_PGM_RSRC3_GFX90A:TG_SPLIT: 0
	.section	.text._ZL15flash_attn_tileILi112ELi112ELi2ELi2ELb1EEvPKcS1_S1_S1_S1_PKiPfP15HIP_vector_typeIfLj2EEffffjfiS5_IjLj3EEiiiiiiiiiiiliiliiiiil,"axG",@progbits,_ZL15flash_attn_tileILi112ELi112ELi2ELi2ELb1EEvPKcS1_S1_S1_S1_PKiPfP15HIP_vector_typeIfLj2EEffffjfiS5_IjLj3EEiiiiiiiiiiiliiliiiiil,comdat
	.globl	_ZL15flash_attn_tileILi112ELi112ELi2ELi2ELb1EEvPKcS1_S1_S1_S1_PKiPfP15HIP_vector_typeIfLj2EEffffjfiS5_IjLj3EEiiiiiiiiiiiliiliiiiil ; -- Begin function _ZL15flash_attn_tileILi112ELi112ELi2ELi2ELb1EEvPKcS1_S1_S1_S1_PKiPfP15HIP_vector_typeIfLj2EEffffjfiS5_IjLj3EEiiiiiiiiiiiliiliiiiil
	.p2align	8
	.type	_ZL15flash_attn_tileILi112ELi112ELi2ELi2ELb1EEvPKcS1_S1_S1_S1_PKiPfP15HIP_vector_typeIfLj2EEffffjfiS5_IjLj3EEiiiiiiiiiiiliiliiiiil,@function
_ZL15flash_attn_tileILi112ELi112ELi2ELi2ELb1EEvPKcS1_S1_S1_S1_PKiPfP15HIP_vector_typeIfLj2EEffffjfiS5_IjLj3EEiiiiiiiiiiiliiliiiiil: ; @_ZL15flash_attn_tileILi112ELi112ELi2ELi2ELb1EEvPKcS1_S1_S1_S1_PKiPfP15HIP_vector_typeIfLj2EEffffjfiS5_IjLj3EEiiiiiiiiiiiliiliiiiil
; %bb.0:
	s_add_u32 s8, s0, 0xd0
	s_addc_u32 s9, s1, 0
	s_getpc_b64 s[0:1]
	s_add_u32 s0, s0, _ZL14no_device_codePKciS0_iS0_@rel32@lo+4
	s_addc_u32 s1, s1, _ZL14no_device_codePKciS0_iS0_@rel32@hi+12
	s_mov_b32 s32, 0
	s_swappc_b64 s[30:31], s[0:1]
	.section	.rodata,"a",@progbits
	.p2align	6, 0x0
	.amdhsa_kernel _ZL15flash_attn_tileILi112ELi112ELi2ELi2ELb1EEvPKcS1_S1_S1_S1_PKiPfP15HIP_vector_typeIfLj2EEffffjfiS5_IjLj3EEiiiiiiiiiiiliiliiiiil
		.amdhsa_group_segment_fixed_size 0
		.amdhsa_private_segment_fixed_size 16
		.amdhsa_kernarg_size 464
		.amdhsa_user_sgpr_count 2
		.amdhsa_user_sgpr_dispatch_ptr 0
		.amdhsa_user_sgpr_queue_ptr 0
		.amdhsa_user_sgpr_kernarg_segment_ptr 1
		.amdhsa_user_sgpr_dispatch_id 0
		.amdhsa_user_sgpr_kernarg_preload_length 0
		.amdhsa_user_sgpr_kernarg_preload_offset 0
		.amdhsa_user_sgpr_private_segment_size 0
		.amdhsa_uses_dynamic_stack 0
		.amdhsa_enable_private_segment 1
		.amdhsa_system_sgpr_workgroup_id_x 1
		.amdhsa_system_sgpr_workgroup_id_y 0
		.amdhsa_system_sgpr_workgroup_id_z 0
		.amdhsa_system_sgpr_workgroup_info 0
		.amdhsa_system_vgpr_workitem_id 0
		.amdhsa_next_free_vgpr 50
		.amdhsa_next_free_sgpr 34
		.amdhsa_accum_offset 52
		.amdhsa_reserve_vcc 1
		.amdhsa_float_round_mode_32 0
		.amdhsa_float_round_mode_16_64 0
		.amdhsa_float_denorm_mode_32 3
		.amdhsa_float_denorm_mode_16_64 3
		.amdhsa_dx10_clamp 1
		.amdhsa_ieee_mode 1
		.amdhsa_fp16_overflow 0
		.amdhsa_tg_split 0
		.amdhsa_exception_fp_ieee_invalid_op 0
		.amdhsa_exception_fp_denorm_src 0
		.amdhsa_exception_fp_ieee_div_zero 0
		.amdhsa_exception_fp_ieee_overflow 0
		.amdhsa_exception_fp_ieee_underflow 0
		.amdhsa_exception_fp_ieee_inexact 0
		.amdhsa_exception_int_div_zero 0
	.end_amdhsa_kernel
	.section	.text._ZL15flash_attn_tileILi112ELi112ELi2ELi2ELb1EEvPKcS1_S1_S1_S1_PKiPfP15HIP_vector_typeIfLj2EEffffjfiS5_IjLj3EEiiiiiiiiiiiliiliiiiil,"axG",@progbits,_ZL15flash_attn_tileILi112ELi112ELi2ELi2ELb1EEvPKcS1_S1_S1_S1_PKiPfP15HIP_vector_typeIfLj2EEffffjfiS5_IjLj3EEiiiiiiiiiiiliiliiiiil,comdat
.Lfunc_end87:
	.size	_ZL15flash_attn_tileILi112ELi112ELi2ELi2ELb1EEvPKcS1_S1_S1_S1_PKiPfP15HIP_vector_typeIfLj2EEffffjfiS5_IjLj3EEiiiiiiiiiiiliiliiiiil, .Lfunc_end87-_ZL15flash_attn_tileILi112ELi112ELi2ELi2ELb1EEvPKcS1_S1_S1_S1_PKiPfP15HIP_vector_typeIfLj2EEffffjfiS5_IjLj3EEiiiiiiiiiiiliiliiiiil
                                        ; -- End function
	.set _ZL15flash_attn_tileILi112ELi112ELi2ELi2ELb1EEvPKcS1_S1_S1_S1_PKiPfP15HIP_vector_typeIfLj2EEffffjfiS5_IjLj3EEiiiiiiiiiiiliiliiiiil.num_vgpr, max(0, .L_ZL14no_device_codePKciS0_iS0_.num_vgpr)
	.set _ZL15flash_attn_tileILi112ELi112ELi2ELi2ELb1EEvPKcS1_S1_S1_S1_PKiPfP15HIP_vector_typeIfLj2EEffffjfiS5_IjLj3EEiiiiiiiiiiiliiliiiiil.num_agpr, max(0, .L_ZL14no_device_codePKciS0_iS0_.num_agpr)
	.set _ZL15flash_attn_tileILi112ELi112ELi2ELi2ELb1EEvPKcS1_S1_S1_S1_PKiPfP15HIP_vector_typeIfLj2EEffffjfiS5_IjLj3EEiiiiiiiiiiiliiliiiiil.numbered_sgpr, max(33, .L_ZL14no_device_codePKciS0_iS0_.numbered_sgpr)
	.set _ZL15flash_attn_tileILi112ELi112ELi2ELi2ELb1EEvPKcS1_S1_S1_S1_PKiPfP15HIP_vector_typeIfLj2EEffffjfiS5_IjLj3EEiiiiiiiiiiiliiliiiiil.num_named_barrier, max(0, .L_ZL14no_device_codePKciS0_iS0_.num_named_barrier)
	.set _ZL15flash_attn_tileILi112ELi112ELi2ELi2ELb1EEvPKcS1_S1_S1_S1_PKiPfP15HIP_vector_typeIfLj2EEffffjfiS5_IjLj3EEiiiiiiiiiiiliiliiiiil.private_seg_size, 0+max(.L_ZL14no_device_codePKciS0_iS0_.private_seg_size)
	.set _ZL15flash_attn_tileILi112ELi112ELi2ELi2ELb1EEvPKcS1_S1_S1_S1_PKiPfP15HIP_vector_typeIfLj2EEffffjfiS5_IjLj3EEiiiiiiiiiiiliiliiiiil.uses_vcc, or(1, .L_ZL14no_device_codePKciS0_iS0_.uses_vcc)
	.set _ZL15flash_attn_tileILi112ELi112ELi2ELi2ELb1EEvPKcS1_S1_S1_S1_PKiPfP15HIP_vector_typeIfLj2EEffffjfiS5_IjLj3EEiiiiiiiiiiiliiliiiiil.uses_flat_scratch, or(0, .L_ZL14no_device_codePKciS0_iS0_.uses_flat_scratch)
	.set _ZL15flash_attn_tileILi112ELi112ELi2ELi2ELb1EEvPKcS1_S1_S1_S1_PKiPfP15HIP_vector_typeIfLj2EEffffjfiS5_IjLj3EEiiiiiiiiiiiliiliiiiil.has_dyn_sized_stack, or(0, .L_ZL14no_device_codePKciS0_iS0_.has_dyn_sized_stack)
	.set _ZL15flash_attn_tileILi112ELi112ELi2ELi2ELb1EEvPKcS1_S1_S1_S1_PKiPfP15HIP_vector_typeIfLj2EEffffjfiS5_IjLj3EEiiiiiiiiiiiliiliiiiil.has_recursion, or(0, .L_ZL14no_device_codePKciS0_iS0_.has_recursion)
	.set _ZL15flash_attn_tileILi112ELi112ELi2ELi2ELb1EEvPKcS1_S1_S1_S1_PKiPfP15HIP_vector_typeIfLj2EEffffjfiS5_IjLj3EEiiiiiiiiiiiliiliiiiil.has_indirect_call, or(0, .L_ZL14no_device_codePKciS0_iS0_.has_indirect_call)
	.section	.AMDGPU.csdata,"",@progbits
; Kernel info:
; codeLenInByte = 40
; TotalNumSgprs: 40
; NumVgprs: 50
; NumAgprs: 0
; TotalNumVgprs: 50
; ScratchSize: 16
; MemoryBound: 0
; FloatMode: 240
; IeeeMode: 1
; LDSByteSize: 0 bytes/workgroup (compile time only)
; SGPRBlocks: 4
; VGPRBlocks: 6
; NumSGPRsForWavesPerEU: 40
; NumVGPRsForWavesPerEU: 50
; AccumOffset: 52
; Occupancy: 8
; WaveLimiterHint : 1
; COMPUTE_PGM_RSRC2:SCRATCH_EN: 1
; COMPUTE_PGM_RSRC2:USER_SGPR: 2
; COMPUTE_PGM_RSRC2:TRAP_HANDLER: 0
; COMPUTE_PGM_RSRC2:TGID_X_EN: 1
; COMPUTE_PGM_RSRC2:TGID_Y_EN: 0
; COMPUTE_PGM_RSRC2:TGID_Z_EN: 0
; COMPUTE_PGM_RSRC2:TIDIG_COMP_CNT: 0
; COMPUTE_PGM_RSRC3_GFX90A:ACCUM_OFFSET: 12
; COMPUTE_PGM_RSRC3_GFX90A:TG_SPLIT: 0
	.section	.text._ZL15flash_attn_tileILi112ELi112ELi1ELi2ELb1EEvPKcS1_S1_S1_S1_PKiPfP15HIP_vector_typeIfLj2EEffffjfiS5_IjLj3EEiiiiiiiiiiiliiliiiiil,"axG",@progbits,_ZL15flash_attn_tileILi112ELi112ELi1ELi2ELb1EEvPKcS1_S1_S1_S1_PKiPfP15HIP_vector_typeIfLj2EEffffjfiS5_IjLj3EEiiiiiiiiiiiliiliiiiil,comdat
	.globl	_ZL15flash_attn_tileILi112ELi112ELi1ELi2ELb1EEvPKcS1_S1_S1_S1_PKiPfP15HIP_vector_typeIfLj2EEffffjfiS5_IjLj3EEiiiiiiiiiiiliiliiiiil ; -- Begin function _ZL15flash_attn_tileILi112ELi112ELi1ELi2ELb1EEvPKcS1_S1_S1_S1_PKiPfP15HIP_vector_typeIfLj2EEffffjfiS5_IjLj3EEiiiiiiiiiiiliiliiiiil
	.p2align	8
	.type	_ZL15flash_attn_tileILi112ELi112ELi1ELi2ELb1EEvPKcS1_S1_S1_S1_PKiPfP15HIP_vector_typeIfLj2EEffffjfiS5_IjLj3EEiiiiiiiiiiiliiliiiiil,@function
_ZL15flash_attn_tileILi112ELi112ELi1ELi2ELb1EEvPKcS1_S1_S1_S1_PKiPfP15HIP_vector_typeIfLj2EEffffjfiS5_IjLj3EEiiiiiiiiiiiliiliiiiil: ; @_ZL15flash_attn_tileILi112ELi112ELi1ELi2ELb1EEvPKcS1_S1_S1_S1_PKiPfP15HIP_vector_typeIfLj2EEffffjfiS5_IjLj3EEiiiiiiiiiiiliiliiiiil
; %bb.0:
	s_add_u32 s8, s0, 0xd0
	s_addc_u32 s9, s1, 0
	s_getpc_b64 s[0:1]
	s_add_u32 s0, s0, _ZL14no_device_codePKciS0_iS0_@rel32@lo+4
	s_addc_u32 s1, s1, _ZL14no_device_codePKciS0_iS0_@rel32@hi+12
	s_mov_b32 s32, 0
	s_swappc_b64 s[30:31], s[0:1]
	.section	.rodata,"a",@progbits
	.p2align	6, 0x0
	.amdhsa_kernel _ZL15flash_attn_tileILi112ELi112ELi1ELi2ELb1EEvPKcS1_S1_S1_S1_PKiPfP15HIP_vector_typeIfLj2EEffffjfiS5_IjLj3EEiiiiiiiiiiiliiliiiiil
		.amdhsa_group_segment_fixed_size 0
		.amdhsa_private_segment_fixed_size 16
		.amdhsa_kernarg_size 464
		.amdhsa_user_sgpr_count 2
		.amdhsa_user_sgpr_dispatch_ptr 0
		.amdhsa_user_sgpr_queue_ptr 0
		.amdhsa_user_sgpr_kernarg_segment_ptr 1
		.amdhsa_user_sgpr_dispatch_id 0
		.amdhsa_user_sgpr_kernarg_preload_length 0
		.amdhsa_user_sgpr_kernarg_preload_offset 0
		.amdhsa_user_sgpr_private_segment_size 0
		.amdhsa_uses_dynamic_stack 0
		.amdhsa_enable_private_segment 1
		.amdhsa_system_sgpr_workgroup_id_x 1
		.amdhsa_system_sgpr_workgroup_id_y 0
		.amdhsa_system_sgpr_workgroup_id_z 0
		.amdhsa_system_sgpr_workgroup_info 0
		.amdhsa_system_vgpr_workitem_id 0
		.amdhsa_next_free_vgpr 50
		.amdhsa_next_free_sgpr 34
		.amdhsa_accum_offset 52
		.amdhsa_reserve_vcc 1
		.amdhsa_float_round_mode_32 0
		.amdhsa_float_round_mode_16_64 0
		.amdhsa_float_denorm_mode_32 3
		.amdhsa_float_denorm_mode_16_64 3
		.amdhsa_dx10_clamp 1
		.amdhsa_ieee_mode 1
		.amdhsa_fp16_overflow 0
		.amdhsa_tg_split 0
		.amdhsa_exception_fp_ieee_invalid_op 0
		.amdhsa_exception_fp_denorm_src 0
		.amdhsa_exception_fp_ieee_div_zero 0
		.amdhsa_exception_fp_ieee_overflow 0
		.amdhsa_exception_fp_ieee_underflow 0
		.amdhsa_exception_fp_ieee_inexact 0
		.amdhsa_exception_int_div_zero 0
	.end_amdhsa_kernel
	.section	.text._ZL15flash_attn_tileILi112ELi112ELi1ELi2ELb1EEvPKcS1_S1_S1_S1_PKiPfP15HIP_vector_typeIfLj2EEffffjfiS5_IjLj3EEiiiiiiiiiiiliiliiiiil,"axG",@progbits,_ZL15flash_attn_tileILi112ELi112ELi1ELi2ELb1EEvPKcS1_S1_S1_S1_PKiPfP15HIP_vector_typeIfLj2EEffffjfiS5_IjLj3EEiiiiiiiiiiiliiliiiiil,comdat
.Lfunc_end88:
	.size	_ZL15flash_attn_tileILi112ELi112ELi1ELi2ELb1EEvPKcS1_S1_S1_S1_PKiPfP15HIP_vector_typeIfLj2EEffffjfiS5_IjLj3EEiiiiiiiiiiiliiliiiiil, .Lfunc_end88-_ZL15flash_attn_tileILi112ELi112ELi1ELi2ELb1EEvPKcS1_S1_S1_S1_PKiPfP15HIP_vector_typeIfLj2EEffffjfiS5_IjLj3EEiiiiiiiiiiiliiliiiiil
                                        ; -- End function
	.set _ZL15flash_attn_tileILi112ELi112ELi1ELi2ELb1EEvPKcS1_S1_S1_S1_PKiPfP15HIP_vector_typeIfLj2EEffffjfiS5_IjLj3EEiiiiiiiiiiiliiliiiiil.num_vgpr, max(0, .L_ZL14no_device_codePKciS0_iS0_.num_vgpr)
	.set _ZL15flash_attn_tileILi112ELi112ELi1ELi2ELb1EEvPKcS1_S1_S1_S1_PKiPfP15HIP_vector_typeIfLj2EEffffjfiS5_IjLj3EEiiiiiiiiiiiliiliiiiil.num_agpr, max(0, .L_ZL14no_device_codePKciS0_iS0_.num_agpr)
	.set _ZL15flash_attn_tileILi112ELi112ELi1ELi2ELb1EEvPKcS1_S1_S1_S1_PKiPfP15HIP_vector_typeIfLj2EEffffjfiS5_IjLj3EEiiiiiiiiiiiliiliiiiil.numbered_sgpr, max(33, .L_ZL14no_device_codePKciS0_iS0_.numbered_sgpr)
	.set _ZL15flash_attn_tileILi112ELi112ELi1ELi2ELb1EEvPKcS1_S1_S1_S1_PKiPfP15HIP_vector_typeIfLj2EEffffjfiS5_IjLj3EEiiiiiiiiiiiliiliiiiil.num_named_barrier, max(0, .L_ZL14no_device_codePKciS0_iS0_.num_named_barrier)
	.set _ZL15flash_attn_tileILi112ELi112ELi1ELi2ELb1EEvPKcS1_S1_S1_S1_PKiPfP15HIP_vector_typeIfLj2EEffffjfiS5_IjLj3EEiiiiiiiiiiiliiliiiiil.private_seg_size, 0+max(.L_ZL14no_device_codePKciS0_iS0_.private_seg_size)
	.set _ZL15flash_attn_tileILi112ELi112ELi1ELi2ELb1EEvPKcS1_S1_S1_S1_PKiPfP15HIP_vector_typeIfLj2EEffffjfiS5_IjLj3EEiiiiiiiiiiiliiliiiiil.uses_vcc, or(1, .L_ZL14no_device_codePKciS0_iS0_.uses_vcc)
	.set _ZL15flash_attn_tileILi112ELi112ELi1ELi2ELb1EEvPKcS1_S1_S1_S1_PKiPfP15HIP_vector_typeIfLj2EEffffjfiS5_IjLj3EEiiiiiiiiiiiliiliiiiil.uses_flat_scratch, or(0, .L_ZL14no_device_codePKciS0_iS0_.uses_flat_scratch)
	.set _ZL15flash_attn_tileILi112ELi112ELi1ELi2ELb1EEvPKcS1_S1_S1_S1_PKiPfP15HIP_vector_typeIfLj2EEffffjfiS5_IjLj3EEiiiiiiiiiiiliiliiiiil.has_dyn_sized_stack, or(0, .L_ZL14no_device_codePKciS0_iS0_.has_dyn_sized_stack)
	.set _ZL15flash_attn_tileILi112ELi112ELi1ELi2ELb1EEvPKcS1_S1_S1_S1_PKiPfP15HIP_vector_typeIfLj2EEffffjfiS5_IjLj3EEiiiiiiiiiiiliiliiiiil.has_recursion, or(0, .L_ZL14no_device_codePKciS0_iS0_.has_recursion)
	.set _ZL15flash_attn_tileILi112ELi112ELi1ELi2ELb1EEvPKcS1_S1_S1_S1_PKiPfP15HIP_vector_typeIfLj2EEffffjfiS5_IjLj3EEiiiiiiiiiiiliiliiiiil.has_indirect_call, or(0, .L_ZL14no_device_codePKciS0_iS0_.has_indirect_call)
	.section	.AMDGPU.csdata,"",@progbits
; Kernel info:
; codeLenInByte = 40
; TotalNumSgprs: 40
; NumVgprs: 50
; NumAgprs: 0
; TotalNumVgprs: 50
; ScratchSize: 16
; MemoryBound: 0
; FloatMode: 240
; IeeeMode: 1
; LDSByteSize: 0 bytes/workgroup (compile time only)
; SGPRBlocks: 4
; VGPRBlocks: 6
; NumSGPRsForWavesPerEU: 40
; NumVGPRsForWavesPerEU: 50
; AccumOffset: 52
; Occupancy: 8
; WaveLimiterHint : 1
; COMPUTE_PGM_RSRC2:SCRATCH_EN: 1
; COMPUTE_PGM_RSRC2:USER_SGPR: 2
; COMPUTE_PGM_RSRC2:TRAP_HANDLER: 0
; COMPUTE_PGM_RSRC2:TGID_X_EN: 1
; COMPUTE_PGM_RSRC2:TGID_Y_EN: 0
; COMPUTE_PGM_RSRC2:TGID_Z_EN: 0
; COMPUTE_PGM_RSRC2:TIDIG_COMP_CNT: 0
; COMPUTE_PGM_RSRC3_GFX90A:ACCUM_OFFSET: 12
; COMPUTE_PGM_RSRC3_GFX90A:TG_SPLIT: 0
	.section	.text._ZL15flash_attn_tileILi112ELi112ELi64ELi1ELb1EEvPKcS1_S1_S1_S1_PKiPfP15HIP_vector_typeIfLj2EEffffjfiS5_IjLj3EEiiiiiiiiiiiliiliiiiil,"axG",@progbits,_ZL15flash_attn_tileILi112ELi112ELi64ELi1ELb1EEvPKcS1_S1_S1_S1_PKiPfP15HIP_vector_typeIfLj2EEffffjfiS5_IjLj3EEiiiiiiiiiiiliiliiiiil,comdat
	.globl	_ZL15flash_attn_tileILi112ELi112ELi64ELi1ELb1EEvPKcS1_S1_S1_S1_PKiPfP15HIP_vector_typeIfLj2EEffffjfiS5_IjLj3EEiiiiiiiiiiiliiliiiiil ; -- Begin function _ZL15flash_attn_tileILi112ELi112ELi64ELi1ELb1EEvPKcS1_S1_S1_S1_PKiPfP15HIP_vector_typeIfLj2EEffffjfiS5_IjLj3EEiiiiiiiiiiiliiliiiiil
	.p2align	8
	.type	_ZL15flash_attn_tileILi112ELi112ELi64ELi1ELb1EEvPKcS1_S1_S1_S1_PKiPfP15HIP_vector_typeIfLj2EEffffjfiS5_IjLj3EEiiiiiiiiiiiliiliiiiil,@function
_ZL15flash_attn_tileILi112ELi112ELi64ELi1ELb1EEvPKcS1_S1_S1_S1_PKiPfP15HIP_vector_typeIfLj2EEffffjfiS5_IjLj3EEiiiiiiiiiiiliiliiiiil: ; @_ZL15flash_attn_tileILi112ELi112ELi64ELi1ELb1EEvPKcS1_S1_S1_S1_PKiPfP15HIP_vector_typeIfLj2EEffffjfiS5_IjLj3EEiiiiiiiiiiiliiliiiiil
; %bb.0:
	s_add_u32 s8, s0, 0xd0
	s_addc_u32 s9, s1, 0
	s_getpc_b64 s[0:1]
	s_add_u32 s0, s0, _ZL14no_device_codePKciS0_iS0_@rel32@lo+4
	s_addc_u32 s1, s1, _ZL14no_device_codePKciS0_iS0_@rel32@hi+12
	s_mov_b32 s32, 0
	s_swappc_b64 s[30:31], s[0:1]
	.section	.rodata,"a",@progbits
	.p2align	6, 0x0
	.amdhsa_kernel _ZL15flash_attn_tileILi112ELi112ELi64ELi1ELb1EEvPKcS1_S1_S1_S1_PKiPfP15HIP_vector_typeIfLj2EEffffjfiS5_IjLj3EEiiiiiiiiiiiliiliiiiil
		.amdhsa_group_segment_fixed_size 0
		.amdhsa_private_segment_fixed_size 16
		.amdhsa_kernarg_size 464
		.amdhsa_user_sgpr_count 2
		.amdhsa_user_sgpr_dispatch_ptr 0
		.amdhsa_user_sgpr_queue_ptr 0
		.amdhsa_user_sgpr_kernarg_segment_ptr 1
		.amdhsa_user_sgpr_dispatch_id 0
		.amdhsa_user_sgpr_kernarg_preload_length 0
		.amdhsa_user_sgpr_kernarg_preload_offset 0
		.amdhsa_user_sgpr_private_segment_size 0
		.amdhsa_uses_dynamic_stack 0
		.amdhsa_enable_private_segment 1
		.amdhsa_system_sgpr_workgroup_id_x 1
		.amdhsa_system_sgpr_workgroup_id_y 0
		.amdhsa_system_sgpr_workgroup_id_z 0
		.amdhsa_system_sgpr_workgroup_info 0
		.amdhsa_system_vgpr_workitem_id 0
		.amdhsa_next_free_vgpr 50
		.amdhsa_next_free_sgpr 34
		.amdhsa_accum_offset 52
		.amdhsa_reserve_vcc 1
		.amdhsa_float_round_mode_32 0
		.amdhsa_float_round_mode_16_64 0
		.amdhsa_float_denorm_mode_32 3
		.amdhsa_float_denorm_mode_16_64 3
		.amdhsa_dx10_clamp 1
		.amdhsa_ieee_mode 1
		.amdhsa_fp16_overflow 0
		.amdhsa_tg_split 0
		.amdhsa_exception_fp_ieee_invalid_op 0
		.amdhsa_exception_fp_denorm_src 0
		.amdhsa_exception_fp_ieee_div_zero 0
		.amdhsa_exception_fp_ieee_overflow 0
		.amdhsa_exception_fp_ieee_underflow 0
		.amdhsa_exception_fp_ieee_inexact 0
		.amdhsa_exception_int_div_zero 0
	.end_amdhsa_kernel
	.section	.text._ZL15flash_attn_tileILi112ELi112ELi64ELi1ELb1EEvPKcS1_S1_S1_S1_PKiPfP15HIP_vector_typeIfLj2EEffffjfiS5_IjLj3EEiiiiiiiiiiiliiliiiiil,"axG",@progbits,_ZL15flash_attn_tileILi112ELi112ELi64ELi1ELb1EEvPKcS1_S1_S1_S1_PKiPfP15HIP_vector_typeIfLj2EEffffjfiS5_IjLj3EEiiiiiiiiiiiliiliiiiil,comdat
.Lfunc_end89:
	.size	_ZL15flash_attn_tileILi112ELi112ELi64ELi1ELb1EEvPKcS1_S1_S1_S1_PKiPfP15HIP_vector_typeIfLj2EEffffjfiS5_IjLj3EEiiiiiiiiiiiliiliiiiil, .Lfunc_end89-_ZL15flash_attn_tileILi112ELi112ELi64ELi1ELb1EEvPKcS1_S1_S1_S1_PKiPfP15HIP_vector_typeIfLj2EEffffjfiS5_IjLj3EEiiiiiiiiiiiliiliiiiil
                                        ; -- End function
	.set _ZL15flash_attn_tileILi112ELi112ELi64ELi1ELb1EEvPKcS1_S1_S1_S1_PKiPfP15HIP_vector_typeIfLj2EEffffjfiS5_IjLj3EEiiiiiiiiiiiliiliiiiil.num_vgpr, max(0, .L_ZL14no_device_codePKciS0_iS0_.num_vgpr)
	.set _ZL15flash_attn_tileILi112ELi112ELi64ELi1ELb1EEvPKcS1_S1_S1_S1_PKiPfP15HIP_vector_typeIfLj2EEffffjfiS5_IjLj3EEiiiiiiiiiiiliiliiiiil.num_agpr, max(0, .L_ZL14no_device_codePKciS0_iS0_.num_agpr)
	.set _ZL15flash_attn_tileILi112ELi112ELi64ELi1ELb1EEvPKcS1_S1_S1_S1_PKiPfP15HIP_vector_typeIfLj2EEffffjfiS5_IjLj3EEiiiiiiiiiiiliiliiiiil.numbered_sgpr, max(33, .L_ZL14no_device_codePKciS0_iS0_.numbered_sgpr)
	.set _ZL15flash_attn_tileILi112ELi112ELi64ELi1ELb1EEvPKcS1_S1_S1_S1_PKiPfP15HIP_vector_typeIfLj2EEffffjfiS5_IjLj3EEiiiiiiiiiiiliiliiiiil.num_named_barrier, max(0, .L_ZL14no_device_codePKciS0_iS0_.num_named_barrier)
	.set _ZL15flash_attn_tileILi112ELi112ELi64ELi1ELb1EEvPKcS1_S1_S1_S1_PKiPfP15HIP_vector_typeIfLj2EEffffjfiS5_IjLj3EEiiiiiiiiiiiliiliiiiil.private_seg_size, 0+max(.L_ZL14no_device_codePKciS0_iS0_.private_seg_size)
	.set _ZL15flash_attn_tileILi112ELi112ELi64ELi1ELb1EEvPKcS1_S1_S1_S1_PKiPfP15HIP_vector_typeIfLj2EEffffjfiS5_IjLj3EEiiiiiiiiiiiliiliiiiil.uses_vcc, or(1, .L_ZL14no_device_codePKciS0_iS0_.uses_vcc)
	.set _ZL15flash_attn_tileILi112ELi112ELi64ELi1ELb1EEvPKcS1_S1_S1_S1_PKiPfP15HIP_vector_typeIfLj2EEffffjfiS5_IjLj3EEiiiiiiiiiiiliiliiiiil.uses_flat_scratch, or(0, .L_ZL14no_device_codePKciS0_iS0_.uses_flat_scratch)
	.set _ZL15flash_attn_tileILi112ELi112ELi64ELi1ELb1EEvPKcS1_S1_S1_S1_PKiPfP15HIP_vector_typeIfLj2EEffffjfiS5_IjLj3EEiiiiiiiiiiiliiliiiiil.has_dyn_sized_stack, or(0, .L_ZL14no_device_codePKciS0_iS0_.has_dyn_sized_stack)
	.set _ZL15flash_attn_tileILi112ELi112ELi64ELi1ELb1EEvPKcS1_S1_S1_S1_PKiPfP15HIP_vector_typeIfLj2EEffffjfiS5_IjLj3EEiiiiiiiiiiiliiliiiiil.has_recursion, or(0, .L_ZL14no_device_codePKciS0_iS0_.has_recursion)
	.set _ZL15flash_attn_tileILi112ELi112ELi64ELi1ELb1EEvPKcS1_S1_S1_S1_PKiPfP15HIP_vector_typeIfLj2EEffffjfiS5_IjLj3EEiiiiiiiiiiiliiliiiiil.has_indirect_call, or(0, .L_ZL14no_device_codePKciS0_iS0_.has_indirect_call)
	.section	.AMDGPU.csdata,"",@progbits
; Kernel info:
; codeLenInByte = 40
; TotalNumSgprs: 40
; NumVgprs: 50
; NumAgprs: 0
; TotalNumVgprs: 50
; ScratchSize: 16
; MemoryBound: 0
; FloatMode: 240
; IeeeMode: 1
; LDSByteSize: 0 bytes/workgroup (compile time only)
; SGPRBlocks: 4
; VGPRBlocks: 6
; NumSGPRsForWavesPerEU: 40
; NumVGPRsForWavesPerEU: 50
; AccumOffset: 52
; Occupancy: 8
; WaveLimiterHint : 1
; COMPUTE_PGM_RSRC2:SCRATCH_EN: 1
; COMPUTE_PGM_RSRC2:USER_SGPR: 2
; COMPUTE_PGM_RSRC2:TRAP_HANDLER: 0
; COMPUTE_PGM_RSRC2:TGID_X_EN: 1
; COMPUTE_PGM_RSRC2:TGID_Y_EN: 0
; COMPUTE_PGM_RSRC2:TGID_Z_EN: 0
; COMPUTE_PGM_RSRC2:TIDIG_COMP_CNT: 0
; COMPUTE_PGM_RSRC3_GFX90A:ACCUM_OFFSET: 12
; COMPUTE_PGM_RSRC3_GFX90A:TG_SPLIT: 0
	.section	.text._ZL15flash_attn_tileILi112ELi112ELi32ELi1ELb1EEvPKcS1_S1_S1_S1_PKiPfP15HIP_vector_typeIfLj2EEffffjfiS5_IjLj3EEiiiiiiiiiiiliiliiiiil,"axG",@progbits,_ZL15flash_attn_tileILi112ELi112ELi32ELi1ELb1EEvPKcS1_S1_S1_S1_PKiPfP15HIP_vector_typeIfLj2EEffffjfiS5_IjLj3EEiiiiiiiiiiiliiliiiiil,comdat
	.globl	_ZL15flash_attn_tileILi112ELi112ELi32ELi1ELb1EEvPKcS1_S1_S1_S1_PKiPfP15HIP_vector_typeIfLj2EEffffjfiS5_IjLj3EEiiiiiiiiiiiliiliiiiil ; -- Begin function _ZL15flash_attn_tileILi112ELi112ELi32ELi1ELb1EEvPKcS1_S1_S1_S1_PKiPfP15HIP_vector_typeIfLj2EEffffjfiS5_IjLj3EEiiiiiiiiiiiliiliiiiil
	.p2align	8
	.type	_ZL15flash_attn_tileILi112ELi112ELi32ELi1ELb1EEvPKcS1_S1_S1_S1_PKiPfP15HIP_vector_typeIfLj2EEffffjfiS5_IjLj3EEiiiiiiiiiiiliiliiiiil,@function
_ZL15flash_attn_tileILi112ELi112ELi32ELi1ELb1EEvPKcS1_S1_S1_S1_PKiPfP15HIP_vector_typeIfLj2EEffffjfiS5_IjLj3EEiiiiiiiiiiiliiliiiiil: ; @_ZL15flash_attn_tileILi112ELi112ELi32ELi1ELb1EEvPKcS1_S1_S1_S1_PKiPfP15HIP_vector_typeIfLj2EEffffjfiS5_IjLj3EEiiiiiiiiiiiliiliiiiil
; %bb.0:
	s_add_u32 s8, s0, 0xd0
	s_addc_u32 s9, s1, 0
	s_getpc_b64 s[0:1]
	s_add_u32 s0, s0, _ZL14no_device_codePKciS0_iS0_@rel32@lo+4
	s_addc_u32 s1, s1, _ZL14no_device_codePKciS0_iS0_@rel32@hi+12
	s_mov_b32 s32, 0
	s_swappc_b64 s[30:31], s[0:1]
	.section	.rodata,"a",@progbits
	.p2align	6, 0x0
	.amdhsa_kernel _ZL15flash_attn_tileILi112ELi112ELi32ELi1ELb1EEvPKcS1_S1_S1_S1_PKiPfP15HIP_vector_typeIfLj2EEffffjfiS5_IjLj3EEiiiiiiiiiiiliiliiiiil
		.amdhsa_group_segment_fixed_size 0
		.amdhsa_private_segment_fixed_size 16
		.amdhsa_kernarg_size 464
		.amdhsa_user_sgpr_count 2
		.amdhsa_user_sgpr_dispatch_ptr 0
		.amdhsa_user_sgpr_queue_ptr 0
		.amdhsa_user_sgpr_kernarg_segment_ptr 1
		.amdhsa_user_sgpr_dispatch_id 0
		.amdhsa_user_sgpr_kernarg_preload_length 0
		.amdhsa_user_sgpr_kernarg_preload_offset 0
		.amdhsa_user_sgpr_private_segment_size 0
		.amdhsa_uses_dynamic_stack 0
		.amdhsa_enable_private_segment 1
		.amdhsa_system_sgpr_workgroup_id_x 1
		.amdhsa_system_sgpr_workgroup_id_y 0
		.amdhsa_system_sgpr_workgroup_id_z 0
		.amdhsa_system_sgpr_workgroup_info 0
		.amdhsa_system_vgpr_workitem_id 0
		.amdhsa_next_free_vgpr 50
		.amdhsa_next_free_sgpr 34
		.amdhsa_accum_offset 52
		.amdhsa_reserve_vcc 1
		.amdhsa_float_round_mode_32 0
		.amdhsa_float_round_mode_16_64 0
		.amdhsa_float_denorm_mode_32 3
		.amdhsa_float_denorm_mode_16_64 3
		.amdhsa_dx10_clamp 1
		.amdhsa_ieee_mode 1
		.amdhsa_fp16_overflow 0
		.amdhsa_tg_split 0
		.amdhsa_exception_fp_ieee_invalid_op 0
		.amdhsa_exception_fp_denorm_src 0
		.amdhsa_exception_fp_ieee_div_zero 0
		.amdhsa_exception_fp_ieee_overflow 0
		.amdhsa_exception_fp_ieee_underflow 0
		.amdhsa_exception_fp_ieee_inexact 0
		.amdhsa_exception_int_div_zero 0
	.end_amdhsa_kernel
	.section	.text._ZL15flash_attn_tileILi112ELi112ELi32ELi1ELb1EEvPKcS1_S1_S1_S1_PKiPfP15HIP_vector_typeIfLj2EEffffjfiS5_IjLj3EEiiiiiiiiiiiliiliiiiil,"axG",@progbits,_ZL15flash_attn_tileILi112ELi112ELi32ELi1ELb1EEvPKcS1_S1_S1_S1_PKiPfP15HIP_vector_typeIfLj2EEffffjfiS5_IjLj3EEiiiiiiiiiiiliiliiiiil,comdat
.Lfunc_end90:
	.size	_ZL15flash_attn_tileILi112ELi112ELi32ELi1ELb1EEvPKcS1_S1_S1_S1_PKiPfP15HIP_vector_typeIfLj2EEffffjfiS5_IjLj3EEiiiiiiiiiiiliiliiiiil, .Lfunc_end90-_ZL15flash_attn_tileILi112ELi112ELi32ELi1ELb1EEvPKcS1_S1_S1_S1_PKiPfP15HIP_vector_typeIfLj2EEffffjfiS5_IjLj3EEiiiiiiiiiiiliiliiiiil
                                        ; -- End function
	.set _ZL15flash_attn_tileILi112ELi112ELi32ELi1ELb1EEvPKcS1_S1_S1_S1_PKiPfP15HIP_vector_typeIfLj2EEffffjfiS5_IjLj3EEiiiiiiiiiiiliiliiiiil.num_vgpr, max(0, .L_ZL14no_device_codePKciS0_iS0_.num_vgpr)
	.set _ZL15flash_attn_tileILi112ELi112ELi32ELi1ELb1EEvPKcS1_S1_S1_S1_PKiPfP15HIP_vector_typeIfLj2EEffffjfiS5_IjLj3EEiiiiiiiiiiiliiliiiiil.num_agpr, max(0, .L_ZL14no_device_codePKciS0_iS0_.num_agpr)
	.set _ZL15flash_attn_tileILi112ELi112ELi32ELi1ELb1EEvPKcS1_S1_S1_S1_PKiPfP15HIP_vector_typeIfLj2EEffffjfiS5_IjLj3EEiiiiiiiiiiiliiliiiiil.numbered_sgpr, max(33, .L_ZL14no_device_codePKciS0_iS0_.numbered_sgpr)
	.set _ZL15flash_attn_tileILi112ELi112ELi32ELi1ELb1EEvPKcS1_S1_S1_S1_PKiPfP15HIP_vector_typeIfLj2EEffffjfiS5_IjLj3EEiiiiiiiiiiiliiliiiiil.num_named_barrier, max(0, .L_ZL14no_device_codePKciS0_iS0_.num_named_barrier)
	.set _ZL15flash_attn_tileILi112ELi112ELi32ELi1ELb1EEvPKcS1_S1_S1_S1_PKiPfP15HIP_vector_typeIfLj2EEffffjfiS5_IjLj3EEiiiiiiiiiiiliiliiiiil.private_seg_size, 0+max(.L_ZL14no_device_codePKciS0_iS0_.private_seg_size)
	.set _ZL15flash_attn_tileILi112ELi112ELi32ELi1ELb1EEvPKcS1_S1_S1_S1_PKiPfP15HIP_vector_typeIfLj2EEffffjfiS5_IjLj3EEiiiiiiiiiiiliiliiiiil.uses_vcc, or(1, .L_ZL14no_device_codePKciS0_iS0_.uses_vcc)
	.set _ZL15flash_attn_tileILi112ELi112ELi32ELi1ELb1EEvPKcS1_S1_S1_S1_PKiPfP15HIP_vector_typeIfLj2EEffffjfiS5_IjLj3EEiiiiiiiiiiiliiliiiiil.uses_flat_scratch, or(0, .L_ZL14no_device_codePKciS0_iS0_.uses_flat_scratch)
	.set _ZL15flash_attn_tileILi112ELi112ELi32ELi1ELb1EEvPKcS1_S1_S1_S1_PKiPfP15HIP_vector_typeIfLj2EEffffjfiS5_IjLj3EEiiiiiiiiiiiliiliiiiil.has_dyn_sized_stack, or(0, .L_ZL14no_device_codePKciS0_iS0_.has_dyn_sized_stack)
	.set _ZL15flash_attn_tileILi112ELi112ELi32ELi1ELb1EEvPKcS1_S1_S1_S1_PKiPfP15HIP_vector_typeIfLj2EEffffjfiS5_IjLj3EEiiiiiiiiiiiliiliiiiil.has_recursion, or(0, .L_ZL14no_device_codePKciS0_iS0_.has_recursion)
	.set _ZL15flash_attn_tileILi112ELi112ELi32ELi1ELb1EEvPKcS1_S1_S1_S1_PKiPfP15HIP_vector_typeIfLj2EEffffjfiS5_IjLj3EEiiiiiiiiiiiliiliiiiil.has_indirect_call, or(0, .L_ZL14no_device_codePKciS0_iS0_.has_indirect_call)
	.section	.AMDGPU.csdata,"",@progbits
; Kernel info:
; codeLenInByte = 40
; TotalNumSgprs: 40
; NumVgprs: 50
; NumAgprs: 0
; TotalNumVgprs: 50
; ScratchSize: 16
; MemoryBound: 0
; FloatMode: 240
; IeeeMode: 1
; LDSByteSize: 0 bytes/workgroup (compile time only)
; SGPRBlocks: 4
; VGPRBlocks: 6
; NumSGPRsForWavesPerEU: 40
; NumVGPRsForWavesPerEU: 50
; AccumOffset: 52
; Occupancy: 8
; WaveLimiterHint : 1
; COMPUTE_PGM_RSRC2:SCRATCH_EN: 1
; COMPUTE_PGM_RSRC2:USER_SGPR: 2
; COMPUTE_PGM_RSRC2:TRAP_HANDLER: 0
; COMPUTE_PGM_RSRC2:TGID_X_EN: 1
; COMPUTE_PGM_RSRC2:TGID_Y_EN: 0
; COMPUTE_PGM_RSRC2:TGID_Z_EN: 0
; COMPUTE_PGM_RSRC2:TIDIG_COMP_CNT: 0
; COMPUTE_PGM_RSRC3_GFX90A:ACCUM_OFFSET: 12
; COMPUTE_PGM_RSRC3_GFX90A:TG_SPLIT: 0
	.section	.text._ZL15flash_attn_tileILi112ELi112ELi16ELi1ELb1EEvPKcS1_S1_S1_S1_PKiPfP15HIP_vector_typeIfLj2EEffffjfiS5_IjLj3EEiiiiiiiiiiiliiliiiiil,"axG",@progbits,_ZL15flash_attn_tileILi112ELi112ELi16ELi1ELb1EEvPKcS1_S1_S1_S1_PKiPfP15HIP_vector_typeIfLj2EEffffjfiS5_IjLj3EEiiiiiiiiiiiliiliiiiil,comdat
	.globl	_ZL15flash_attn_tileILi112ELi112ELi16ELi1ELb1EEvPKcS1_S1_S1_S1_PKiPfP15HIP_vector_typeIfLj2EEffffjfiS5_IjLj3EEiiiiiiiiiiiliiliiiiil ; -- Begin function _ZL15flash_attn_tileILi112ELi112ELi16ELi1ELb1EEvPKcS1_S1_S1_S1_PKiPfP15HIP_vector_typeIfLj2EEffffjfiS5_IjLj3EEiiiiiiiiiiiliiliiiiil
	.p2align	8
	.type	_ZL15flash_attn_tileILi112ELi112ELi16ELi1ELb1EEvPKcS1_S1_S1_S1_PKiPfP15HIP_vector_typeIfLj2EEffffjfiS5_IjLj3EEiiiiiiiiiiiliiliiiiil,@function
_ZL15flash_attn_tileILi112ELi112ELi16ELi1ELb1EEvPKcS1_S1_S1_S1_PKiPfP15HIP_vector_typeIfLj2EEffffjfiS5_IjLj3EEiiiiiiiiiiiliiliiiiil: ; @_ZL15flash_attn_tileILi112ELi112ELi16ELi1ELb1EEvPKcS1_S1_S1_S1_PKiPfP15HIP_vector_typeIfLj2EEffffjfiS5_IjLj3EEiiiiiiiiiiiliiliiiiil
; %bb.0:
	s_add_u32 s8, s0, 0xd0
	s_addc_u32 s9, s1, 0
	s_getpc_b64 s[0:1]
	s_add_u32 s0, s0, _ZL14no_device_codePKciS0_iS0_@rel32@lo+4
	s_addc_u32 s1, s1, _ZL14no_device_codePKciS0_iS0_@rel32@hi+12
	s_mov_b32 s32, 0
	s_swappc_b64 s[30:31], s[0:1]
	.section	.rodata,"a",@progbits
	.p2align	6, 0x0
	.amdhsa_kernel _ZL15flash_attn_tileILi112ELi112ELi16ELi1ELb1EEvPKcS1_S1_S1_S1_PKiPfP15HIP_vector_typeIfLj2EEffffjfiS5_IjLj3EEiiiiiiiiiiiliiliiiiil
		.amdhsa_group_segment_fixed_size 0
		.amdhsa_private_segment_fixed_size 16
		.amdhsa_kernarg_size 464
		.amdhsa_user_sgpr_count 2
		.amdhsa_user_sgpr_dispatch_ptr 0
		.amdhsa_user_sgpr_queue_ptr 0
		.amdhsa_user_sgpr_kernarg_segment_ptr 1
		.amdhsa_user_sgpr_dispatch_id 0
		.amdhsa_user_sgpr_kernarg_preload_length 0
		.amdhsa_user_sgpr_kernarg_preload_offset 0
		.amdhsa_user_sgpr_private_segment_size 0
		.amdhsa_uses_dynamic_stack 0
		.amdhsa_enable_private_segment 1
		.amdhsa_system_sgpr_workgroup_id_x 1
		.amdhsa_system_sgpr_workgroup_id_y 0
		.amdhsa_system_sgpr_workgroup_id_z 0
		.amdhsa_system_sgpr_workgroup_info 0
		.amdhsa_system_vgpr_workitem_id 0
		.amdhsa_next_free_vgpr 50
		.amdhsa_next_free_sgpr 34
		.amdhsa_accum_offset 52
		.amdhsa_reserve_vcc 1
		.amdhsa_float_round_mode_32 0
		.amdhsa_float_round_mode_16_64 0
		.amdhsa_float_denorm_mode_32 3
		.amdhsa_float_denorm_mode_16_64 3
		.amdhsa_dx10_clamp 1
		.amdhsa_ieee_mode 1
		.amdhsa_fp16_overflow 0
		.amdhsa_tg_split 0
		.amdhsa_exception_fp_ieee_invalid_op 0
		.amdhsa_exception_fp_denorm_src 0
		.amdhsa_exception_fp_ieee_div_zero 0
		.amdhsa_exception_fp_ieee_overflow 0
		.amdhsa_exception_fp_ieee_underflow 0
		.amdhsa_exception_fp_ieee_inexact 0
		.amdhsa_exception_int_div_zero 0
	.end_amdhsa_kernel
	.section	.text._ZL15flash_attn_tileILi112ELi112ELi16ELi1ELb1EEvPKcS1_S1_S1_S1_PKiPfP15HIP_vector_typeIfLj2EEffffjfiS5_IjLj3EEiiiiiiiiiiiliiliiiiil,"axG",@progbits,_ZL15flash_attn_tileILi112ELi112ELi16ELi1ELb1EEvPKcS1_S1_S1_S1_PKiPfP15HIP_vector_typeIfLj2EEffffjfiS5_IjLj3EEiiiiiiiiiiiliiliiiiil,comdat
.Lfunc_end91:
	.size	_ZL15flash_attn_tileILi112ELi112ELi16ELi1ELb1EEvPKcS1_S1_S1_S1_PKiPfP15HIP_vector_typeIfLj2EEffffjfiS5_IjLj3EEiiiiiiiiiiiliiliiiiil, .Lfunc_end91-_ZL15flash_attn_tileILi112ELi112ELi16ELi1ELb1EEvPKcS1_S1_S1_S1_PKiPfP15HIP_vector_typeIfLj2EEffffjfiS5_IjLj3EEiiiiiiiiiiiliiliiiiil
                                        ; -- End function
	.set _ZL15flash_attn_tileILi112ELi112ELi16ELi1ELb1EEvPKcS1_S1_S1_S1_PKiPfP15HIP_vector_typeIfLj2EEffffjfiS5_IjLj3EEiiiiiiiiiiiliiliiiiil.num_vgpr, max(0, .L_ZL14no_device_codePKciS0_iS0_.num_vgpr)
	.set _ZL15flash_attn_tileILi112ELi112ELi16ELi1ELb1EEvPKcS1_S1_S1_S1_PKiPfP15HIP_vector_typeIfLj2EEffffjfiS5_IjLj3EEiiiiiiiiiiiliiliiiiil.num_agpr, max(0, .L_ZL14no_device_codePKciS0_iS0_.num_agpr)
	.set _ZL15flash_attn_tileILi112ELi112ELi16ELi1ELb1EEvPKcS1_S1_S1_S1_PKiPfP15HIP_vector_typeIfLj2EEffffjfiS5_IjLj3EEiiiiiiiiiiiliiliiiiil.numbered_sgpr, max(33, .L_ZL14no_device_codePKciS0_iS0_.numbered_sgpr)
	.set _ZL15flash_attn_tileILi112ELi112ELi16ELi1ELb1EEvPKcS1_S1_S1_S1_PKiPfP15HIP_vector_typeIfLj2EEffffjfiS5_IjLj3EEiiiiiiiiiiiliiliiiiil.num_named_barrier, max(0, .L_ZL14no_device_codePKciS0_iS0_.num_named_barrier)
	.set _ZL15flash_attn_tileILi112ELi112ELi16ELi1ELb1EEvPKcS1_S1_S1_S1_PKiPfP15HIP_vector_typeIfLj2EEffffjfiS5_IjLj3EEiiiiiiiiiiiliiliiiiil.private_seg_size, 0+max(.L_ZL14no_device_codePKciS0_iS0_.private_seg_size)
	.set _ZL15flash_attn_tileILi112ELi112ELi16ELi1ELb1EEvPKcS1_S1_S1_S1_PKiPfP15HIP_vector_typeIfLj2EEffffjfiS5_IjLj3EEiiiiiiiiiiiliiliiiiil.uses_vcc, or(1, .L_ZL14no_device_codePKciS0_iS0_.uses_vcc)
	.set _ZL15flash_attn_tileILi112ELi112ELi16ELi1ELb1EEvPKcS1_S1_S1_S1_PKiPfP15HIP_vector_typeIfLj2EEffffjfiS5_IjLj3EEiiiiiiiiiiiliiliiiiil.uses_flat_scratch, or(0, .L_ZL14no_device_codePKciS0_iS0_.uses_flat_scratch)
	.set _ZL15flash_attn_tileILi112ELi112ELi16ELi1ELb1EEvPKcS1_S1_S1_S1_PKiPfP15HIP_vector_typeIfLj2EEffffjfiS5_IjLj3EEiiiiiiiiiiiliiliiiiil.has_dyn_sized_stack, or(0, .L_ZL14no_device_codePKciS0_iS0_.has_dyn_sized_stack)
	.set _ZL15flash_attn_tileILi112ELi112ELi16ELi1ELb1EEvPKcS1_S1_S1_S1_PKiPfP15HIP_vector_typeIfLj2EEffffjfiS5_IjLj3EEiiiiiiiiiiiliiliiiiil.has_recursion, or(0, .L_ZL14no_device_codePKciS0_iS0_.has_recursion)
	.set _ZL15flash_attn_tileILi112ELi112ELi16ELi1ELb1EEvPKcS1_S1_S1_S1_PKiPfP15HIP_vector_typeIfLj2EEffffjfiS5_IjLj3EEiiiiiiiiiiiliiliiiiil.has_indirect_call, or(0, .L_ZL14no_device_codePKciS0_iS0_.has_indirect_call)
	.section	.AMDGPU.csdata,"",@progbits
; Kernel info:
; codeLenInByte = 40
; TotalNumSgprs: 40
; NumVgprs: 50
; NumAgprs: 0
; TotalNumVgprs: 50
; ScratchSize: 16
; MemoryBound: 0
; FloatMode: 240
; IeeeMode: 1
; LDSByteSize: 0 bytes/workgroup (compile time only)
; SGPRBlocks: 4
; VGPRBlocks: 6
; NumSGPRsForWavesPerEU: 40
; NumVGPRsForWavesPerEU: 50
; AccumOffset: 52
; Occupancy: 8
; WaveLimiterHint : 1
; COMPUTE_PGM_RSRC2:SCRATCH_EN: 1
; COMPUTE_PGM_RSRC2:USER_SGPR: 2
; COMPUTE_PGM_RSRC2:TRAP_HANDLER: 0
; COMPUTE_PGM_RSRC2:TGID_X_EN: 1
; COMPUTE_PGM_RSRC2:TGID_Y_EN: 0
; COMPUTE_PGM_RSRC2:TGID_Z_EN: 0
; COMPUTE_PGM_RSRC2:TIDIG_COMP_CNT: 0
; COMPUTE_PGM_RSRC3_GFX90A:ACCUM_OFFSET: 12
; COMPUTE_PGM_RSRC3_GFX90A:TG_SPLIT: 0
	.section	.text._ZL15flash_attn_tileILi112ELi112ELi8ELi1ELb1EEvPKcS1_S1_S1_S1_PKiPfP15HIP_vector_typeIfLj2EEffffjfiS5_IjLj3EEiiiiiiiiiiiliiliiiiil,"axG",@progbits,_ZL15flash_attn_tileILi112ELi112ELi8ELi1ELb1EEvPKcS1_S1_S1_S1_PKiPfP15HIP_vector_typeIfLj2EEffffjfiS5_IjLj3EEiiiiiiiiiiiliiliiiiil,comdat
	.globl	_ZL15flash_attn_tileILi112ELi112ELi8ELi1ELb1EEvPKcS1_S1_S1_S1_PKiPfP15HIP_vector_typeIfLj2EEffffjfiS5_IjLj3EEiiiiiiiiiiiliiliiiiil ; -- Begin function _ZL15flash_attn_tileILi112ELi112ELi8ELi1ELb1EEvPKcS1_S1_S1_S1_PKiPfP15HIP_vector_typeIfLj2EEffffjfiS5_IjLj3EEiiiiiiiiiiiliiliiiiil
	.p2align	8
	.type	_ZL15flash_attn_tileILi112ELi112ELi8ELi1ELb1EEvPKcS1_S1_S1_S1_PKiPfP15HIP_vector_typeIfLj2EEffffjfiS5_IjLj3EEiiiiiiiiiiiliiliiiiil,@function
_ZL15flash_attn_tileILi112ELi112ELi8ELi1ELb1EEvPKcS1_S1_S1_S1_PKiPfP15HIP_vector_typeIfLj2EEffffjfiS5_IjLj3EEiiiiiiiiiiiliiliiiiil: ; @_ZL15flash_attn_tileILi112ELi112ELi8ELi1ELb1EEvPKcS1_S1_S1_S1_PKiPfP15HIP_vector_typeIfLj2EEffffjfiS5_IjLj3EEiiiiiiiiiiiliiliiiiil
; %bb.0:
	s_add_u32 s8, s0, 0xd0
	s_addc_u32 s9, s1, 0
	s_getpc_b64 s[0:1]
	s_add_u32 s0, s0, _ZL14no_device_codePKciS0_iS0_@rel32@lo+4
	s_addc_u32 s1, s1, _ZL14no_device_codePKciS0_iS0_@rel32@hi+12
	s_mov_b32 s32, 0
	s_swappc_b64 s[30:31], s[0:1]
	.section	.rodata,"a",@progbits
	.p2align	6, 0x0
	.amdhsa_kernel _ZL15flash_attn_tileILi112ELi112ELi8ELi1ELb1EEvPKcS1_S1_S1_S1_PKiPfP15HIP_vector_typeIfLj2EEffffjfiS5_IjLj3EEiiiiiiiiiiiliiliiiiil
		.amdhsa_group_segment_fixed_size 0
		.amdhsa_private_segment_fixed_size 16
		.amdhsa_kernarg_size 464
		.amdhsa_user_sgpr_count 2
		.amdhsa_user_sgpr_dispatch_ptr 0
		.amdhsa_user_sgpr_queue_ptr 0
		.amdhsa_user_sgpr_kernarg_segment_ptr 1
		.amdhsa_user_sgpr_dispatch_id 0
		.amdhsa_user_sgpr_kernarg_preload_length 0
		.amdhsa_user_sgpr_kernarg_preload_offset 0
		.amdhsa_user_sgpr_private_segment_size 0
		.amdhsa_uses_dynamic_stack 0
		.amdhsa_enable_private_segment 1
		.amdhsa_system_sgpr_workgroup_id_x 1
		.amdhsa_system_sgpr_workgroup_id_y 0
		.amdhsa_system_sgpr_workgroup_id_z 0
		.amdhsa_system_sgpr_workgroup_info 0
		.amdhsa_system_vgpr_workitem_id 0
		.amdhsa_next_free_vgpr 50
		.amdhsa_next_free_sgpr 34
		.amdhsa_accum_offset 52
		.amdhsa_reserve_vcc 1
		.amdhsa_float_round_mode_32 0
		.amdhsa_float_round_mode_16_64 0
		.amdhsa_float_denorm_mode_32 3
		.amdhsa_float_denorm_mode_16_64 3
		.amdhsa_dx10_clamp 1
		.amdhsa_ieee_mode 1
		.amdhsa_fp16_overflow 0
		.amdhsa_tg_split 0
		.amdhsa_exception_fp_ieee_invalid_op 0
		.amdhsa_exception_fp_denorm_src 0
		.amdhsa_exception_fp_ieee_div_zero 0
		.amdhsa_exception_fp_ieee_overflow 0
		.amdhsa_exception_fp_ieee_underflow 0
		.amdhsa_exception_fp_ieee_inexact 0
		.amdhsa_exception_int_div_zero 0
	.end_amdhsa_kernel
	.section	.text._ZL15flash_attn_tileILi112ELi112ELi8ELi1ELb1EEvPKcS1_S1_S1_S1_PKiPfP15HIP_vector_typeIfLj2EEffffjfiS5_IjLj3EEiiiiiiiiiiiliiliiiiil,"axG",@progbits,_ZL15flash_attn_tileILi112ELi112ELi8ELi1ELb1EEvPKcS1_S1_S1_S1_PKiPfP15HIP_vector_typeIfLj2EEffffjfiS5_IjLj3EEiiiiiiiiiiiliiliiiiil,comdat
.Lfunc_end92:
	.size	_ZL15flash_attn_tileILi112ELi112ELi8ELi1ELb1EEvPKcS1_S1_S1_S1_PKiPfP15HIP_vector_typeIfLj2EEffffjfiS5_IjLj3EEiiiiiiiiiiiliiliiiiil, .Lfunc_end92-_ZL15flash_attn_tileILi112ELi112ELi8ELi1ELb1EEvPKcS1_S1_S1_S1_PKiPfP15HIP_vector_typeIfLj2EEffffjfiS5_IjLj3EEiiiiiiiiiiiliiliiiiil
                                        ; -- End function
	.set _ZL15flash_attn_tileILi112ELi112ELi8ELi1ELb1EEvPKcS1_S1_S1_S1_PKiPfP15HIP_vector_typeIfLj2EEffffjfiS5_IjLj3EEiiiiiiiiiiiliiliiiiil.num_vgpr, max(0, .L_ZL14no_device_codePKciS0_iS0_.num_vgpr)
	.set _ZL15flash_attn_tileILi112ELi112ELi8ELi1ELb1EEvPKcS1_S1_S1_S1_PKiPfP15HIP_vector_typeIfLj2EEffffjfiS5_IjLj3EEiiiiiiiiiiiliiliiiiil.num_agpr, max(0, .L_ZL14no_device_codePKciS0_iS0_.num_agpr)
	.set _ZL15flash_attn_tileILi112ELi112ELi8ELi1ELb1EEvPKcS1_S1_S1_S1_PKiPfP15HIP_vector_typeIfLj2EEffffjfiS5_IjLj3EEiiiiiiiiiiiliiliiiiil.numbered_sgpr, max(33, .L_ZL14no_device_codePKciS0_iS0_.numbered_sgpr)
	.set _ZL15flash_attn_tileILi112ELi112ELi8ELi1ELb1EEvPKcS1_S1_S1_S1_PKiPfP15HIP_vector_typeIfLj2EEffffjfiS5_IjLj3EEiiiiiiiiiiiliiliiiiil.num_named_barrier, max(0, .L_ZL14no_device_codePKciS0_iS0_.num_named_barrier)
	.set _ZL15flash_attn_tileILi112ELi112ELi8ELi1ELb1EEvPKcS1_S1_S1_S1_PKiPfP15HIP_vector_typeIfLj2EEffffjfiS5_IjLj3EEiiiiiiiiiiiliiliiiiil.private_seg_size, 0+max(.L_ZL14no_device_codePKciS0_iS0_.private_seg_size)
	.set _ZL15flash_attn_tileILi112ELi112ELi8ELi1ELb1EEvPKcS1_S1_S1_S1_PKiPfP15HIP_vector_typeIfLj2EEffffjfiS5_IjLj3EEiiiiiiiiiiiliiliiiiil.uses_vcc, or(1, .L_ZL14no_device_codePKciS0_iS0_.uses_vcc)
	.set _ZL15flash_attn_tileILi112ELi112ELi8ELi1ELb1EEvPKcS1_S1_S1_S1_PKiPfP15HIP_vector_typeIfLj2EEffffjfiS5_IjLj3EEiiiiiiiiiiiliiliiiiil.uses_flat_scratch, or(0, .L_ZL14no_device_codePKciS0_iS0_.uses_flat_scratch)
	.set _ZL15flash_attn_tileILi112ELi112ELi8ELi1ELb1EEvPKcS1_S1_S1_S1_PKiPfP15HIP_vector_typeIfLj2EEffffjfiS5_IjLj3EEiiiiiiiiiiiliiliiiiil.has_dyn_sized_stack, or(0, .L_ZL14no_device_codePKciS0_iS0_.has_dyn_sized_stack)
	.set _ZL15flash_attn_tileILi112ELi112ELi8ELi1ELb1EEvPKcS1_S1_S1_S1_PKiPfP15HIP_vector_typeIfLj2EEffffjfiS5_IjLj3EEiiiiiiiiiiiliiliiiiil.has_recursion, or(0, .L_ZL14no_device_codePKciS0_iS0_.has_recursion)
	.set _ZL15flash_attn_tileILi112ELi112ELi8ELi1ELb1EEvPKcS1_S1_S1_S1_PKiPfP15HIP_vector_typeIfLj2EEffffjfiS5_IjLj3EEiiiiiiiiiiiliiliiiiil.has_indirect_call, or(0, .L_ZL14no_device_codePKciS0_iS0_.has_indirect_call)
	.section	.AMDGPU.csdata,"",@progbits
; Kernel info:
; codeLenInByte = 40
; TotalNumSgprs: 40
; NumVgprs: 50
; NumAgprs: 0
; TotalNumVgprs: 50
; ScratchSize: 16
; MemoryBound: 0
; FloatMode: 240
; IeeeMode: 1
; LDSByteSize: 0 bytes/workgroup (compile time only)
; SGPRBlocks: 4
; VGPRBlocks: 6
; NumSGPRsForWavesPerEU: 40
; NumVGPRsForWavesPerEU: 50
; AccumOffset: 52
; Occupancy: 8
; WaveLimiterHint : 1
; COMPUTE_PGM_RSRC2:SCRATCH_EN: 1
; COMPUTE_PGM_RSRC2:USER_SGPR: 2
; COMPUTE_PGM_RSRC2:TRAP_HANDLER: 0
; COMPUTE_PGM_RSRC2:TGID_X_EN: 1
; COMPUTE_PGM_RSRC2:TGID_Y_EN: 0
; COMPUTE_PGM_RSRC2:TGID_Z_EN: 0
; COMPUTE_PGM_RSRC2:TIDIG_COMP_CNT: 0
; COMPUTE_PGM_RSRC3_GFX90A:ACCUM_OFFSET: 12
; COMPUTE_PGM_RSRC3_GFX90A:TG_SPLIT: 0
	.section	.text._ZL15flash_attn_tileILi112ELi112ELi4ELi1ELb1EEvPKcS1_S1_S1_S1_PKiPfP15HIP_vector_typeIfLj2EEffffjfiS5_IjLj3EEiiiiiiiiiiiliiliiiiil,"axG",@progbits,_ZL15flash_attn_tileILi112ELi112ELi4ELi1ELb1EEvPKcS1_S1_S1_S1_PKiPfP15HIP_vector_typeIfLj2EEffffjfiS5_IjLj3EEiiiiiiiiiiiliiliiiiil,comdat
	.globl	_ZL15flash_attn_tileILi112ELi112ELi4ELi1ELb1EEvPKcS1_S1_S1_S1_PKiPfP15HIP_vector_typeIfLj2EEffffjfiS5_IjLj3EEiiiiiiiiiiiliiliiiiil ; -- Begin function _ZL15flash_attn_tileILi112ELi112ELi4ELi1ELb1EEvPKcS1_S1_S1_S1_PKiPfP15HIP_vector_typeIfLj2EEffffjfiS5_IjLj3EEiiiiiiiiiiiliiliiiiil
	.p2align	8
	.type	_ZL15flash_attn_tileILi112ELi112ELi4ELi1ELb1EEvPKcS1_S1_S1_S1_PKiPfP15HIP_vector_typeIfLj2EEffffjfiS5_IjLj3EEiiiiiiiiiiiliiliiiiil,@function
_ZL15flash_attn_tileILi112ELi112ELi4ELi1ELb1EEvPKcS1_S1_S1_S1_PKiPfP15HIP_vector_typeIfLj2EEffffjfiS5_IjLj3EEiiiiiiiiiiiliiliiiiil: ; @_ZL15flash_attn_tileILi112ELi112ELi4ELi1ELb1EEvPKcS1_S1_S1_S1_PKiPfP15HIP_vector_typeIfLj2EEffffjfiS5_IjLj3EEiiiiiiiiiiiliiliiiiil
; %bb.0:
	s_add_u32 s8, s0, 0xd0
	s_addc_u32 s9, s1, 0
	s_getpc_b64 s[0:1]
	s_add_u32 s0, s0, _ZL14no_device_codePKciS0_iS0_@rel32@lo+4
	s_addc_u32 s1, s1, _ZL14no_device_codePKciS0_iS0_@rel32@hi+12
	s_mov_b32 s32, 0
	s_swappc_b64 s[30:31], s[0:1]
	.section	.rodata,"a",@progbits
	.p2align	6, 0x0
	.amdhsa_kernel _ZL15flash_attn_tileILi112ELi112ELi4ELi1ELb1EEvPKcS1_S1_S1_S1_PKiPfP15HIP_vector_typeIfLj2EEffffjfiS5_IjLj3EEiiiiiiiiiiiliiliiiiil
		.amdhsa_group_segment_fixed_size 0
		.amdhsa_private_segment_fixed_size 16
		.amdhsa_kernarg_size 464
		.amdhsa_user_sgpr_count 2
		.amdhsa_user_sgpr_dispatch_ptr 0
		.amdhsa_user_sgpr_queue_ptr 0
		.amdhsa_user_sgpr_kernarg_segment_ptr 1
		.amdhsa_user_sgpr_dispatch_id 0
		.amdhsa_user_sgpr_kernarg_preload_length 0
		.amdhsa_user_sgpr_kernarg_preload_offset 0
		.amdhsa_user_sgpr_private_segment_size 0
		.amdhsa_uses_dynamic_stack 0
		.amdhsa_enable_private_segment 1
		.amdhsa_system_sgpr_workgroup_id_x 1
		.amdhsa_system_sgpr_workgroup_id_y 0
		.amdhsa_system_sgpr_workgroup_id_z 0
		.amdhsa_system_sgpr_workgroup_info 0
		.amdhsa_system_vgpr_workitem_id 0
		.amdhsa_next_free_vgpr 50
		.amdhsa_next_free_sgpr 34
		.amdhsa_accum_offset 52
		.amdhsa_reserve_vcc 1
		.amdhsa_float_round_mode_32 0
		.amdhsa_float_round_mode_16_64 0
		.amdhsa_float_denorm_mode_32 3
		.amdhsa_float_denorm_mode_16_64 3
		.amdhsa_dx10_clamp 1
		.amdhsa_ieee_mode 1
		.amdhsa_fp16_overflow 0
		.amdhsa_tg_split 0
		.amdhsa_exception_fp_ieee_invalid_op 0
		.amdhsa_exception_fp_denorm_src 0
		.amdhsa_exception_fp_ieee_div_zero 0
		.amdhsa_exception_fp_ieee_overflow 0
		.amdhsa_exception_fp_ieee_underflow 0
		.amdhsa_exception_fp_ieee_inexact 0
		.amdhsa_exception_int_div_zero 0
	.end_amdhsa_kernel
	.section	.text._ZL15flash_attn_tileILi112ELi112ELi4ELi1ELb1EEvPKcS1_S1_S1_S1_PKiPfP15HIP_vector_typeIfLj2EEffffjfiS5_IjLj3EEiiiiiiiiiiiliiliiiiil,"axG",@progbits,_ZL15flash_attn_tileILi112ELi112ELi4ELi1ELb1EEvPKcS1_S1_S1_S1_PKiPfP15HIP_vector_typeIfLj2EEffffjfiS5_IjLj3EEiiiiiiiiiiiliiliiiiil,comdat
.Lfunc_end93:
	.size	_ZL15flash_attn_tileILi112ELi112ELi4ELi1ELb1EEvPKcS1_S1_S1_S1_PKiPfP15HIP_vector_typeIfLj2EEffffjfiS5_IjLj3EEiiiiiiiiiiiliiliiiiil, .Lfunc_end93-_ZL15flash_attn_tileILi112ELi112ELi4ELi1ELb1EEvPKcS1_S1_S1_S1_PKiPfP15HIP_vector_typeIfLj2EEffffjfiS5_IjLj3EEiiiiiiiiiiiliiliiiiil
                                        ; -- End function
	.set _ZL15flash_attn_tileILi112ELi112ELi4ELi1ELb1EEvPKcS1_S1_S1_S1_PKiPfP15HIP_vector_typeIfLj2EEffffjfiS5_IjLj3EEiiiiiiiiiiiliiliiiiil.num_vgpr, max(0, .L_ZL14no_device_codePKciS0_iS0_.num_vgpr)
	.set _ZL15flash_attn_tileILi112ELi112ELi4ELi1ELb1EEvPKcS1_S1_S1_S1_PKiPfP15HIP_vector_typeIfLj2EEffffjfiS5_IjLj3EEiiiiiiiiiiiliiliiiiil.num_agpr, max(0, .L_ZL14no_device_codePKciS0_iS0_.num_agpr)
	.set _ZL15flash_attn_tileILi112ELi112ELi4ELi1ELb1EEvPKcS1_S1_S1_S1_PKiPfP15HIP_vector_typeIfLj2EEffffjfiS5_IjLj3EEiiiiiiiiiiiliiliiiiil.numbered_sgpr, max(33, .L_ZL14no_device_codePKciS0_iS0_.numbered_sgpr)
	.set _ZL15flash_attn_tileILi112ELi112ELi4ELi1ELb1EEvPKcS1_S1_S1_S1_PKiPfP15HIP_vector_typeIfLj2EEffffjfiS5_IjLj3EEiiiiiiiiiiiliiliiiiil.num_named_barrier, max(0, .L_ZL14no_device_codePKciS0_iS0_.num_named_barrier)
	.set _ZL15flash_attn_tileILi112ELi112ELi4ELi1ELb1EEvPKcS1_S1_S1_S1_PKiPfP15HIP_vector_typeIfLj2EEffffjfiS5_IjLj3EEiiiiiiiiiiiliiliiiiil.private_seg_size, 0+max(.L_ZL14no_device_codePKciS0_iS0_.private_seg_size)
	.set _ZL15flash_attn_tileILi112ELi112ELi4ELi1ELb1EEvPKcS1_S1_S1_S1_PKiPfP15HIP_vector_typeIfLj2EEffffjfiS5_IjLj3EEiiiiiiiiiiiliiliiiiil.uses_vcc, or(1, .L_ZL14no_device_codePKciS0_iS0_.uses_vcc)
	.set _ZL15flash_attn_tileILi112ELi112ELi4ELi1ELb1EEvPKcS1_S1_S1_S1_PKiPfP15HIP_vector_typeIfLj2EEffffjfiS5_IjLj3EEiiiiiiiiiiiliiliiiiil.uses_flat_scratch, or(0, .L_ZL14no_device_codePKciS0_iS0_.uses_flat_scratch)
	.set _ZL15flash_attn_tileILi112ELi112ELi4ELi1ELb1EEvPKcS1_S1_S1_S1_PKiPfP15HIP_vector_typeIfLj2EEffffjfiS5_IjLj3EEiiiiiiiiiiiliiliiiiil.has_dyn_sized_stack, or(0, .L_ZL14no_device_codePKciS0_iS0_.has_dyn_sized_stack)
	.set _ZL15flash_attn_tileILi112ELi112ELi4ELi1ELb1EEvPKcS1_S1_S1_S1_PKiPfP15HIP_vector_typeIfLj2EEffffjfiS5_IjLj3EEiiiiiiiiiiiliiliiiiil.has_recursion, or(0, .L_ZL14no_device_codePKciS0_iS0_.has_recursion)
	.set _ZL15flash_attn_tileILi112ELi112ELi4ELi1ELb1EEvPKcS1_S1_S1_S1_PKiPfP15HIP_vector_typeIfLj2EEffffjfiS5_IjLj3EEiiiiiiiiiiiliiliiiiil.has_indirect_call, or(0, .L_ZL14no_device_codePKciS0_iS0_.has_indirect_call)
	.section	.AMDGPU.csdata,"",@progbits
; Kernel info:
; codeLenInByte = 40
; TotalNumSgprs: 40
; NumVgprs: 50
; NumAgprs: 0
; TotalNumVgprs: 50
; ScratchSize: 16
; MemoryBound: 0
; FloatMode: 240
; IeeeMode: 1
; LDSByteSize: 0 bytes/workgroup (compile time only)
; SGPRBlocks: 4
; VGPRBlocks: 6
; NumSGPRsForWavesPerEU: 40
; NumVGPRsForWavesPerEU: 50
; AccumOffset: 52
; Occupancy: 8
; WaveLimiterHint : 1
; COMPUTE_PGM_RSRC2:SCRATCH_EN: 1
; COMPUTE_PGM_RSRC2:USER_SGPR: 2
; COMPUTE_PGM_RSRC2:TRAP_HANDLER: 0
; COMPUTE_PGM_RSRC2:TGID_X_EN: 1
; COMPUTE_PGM_RSRC2:TGID_Y_EN: 0
; COMPUTE_PGM_RSRC2:TGID_Z_EN: 0
; COMPUTE_PGM_RSRC2:TIDIG_COMP_CNT: 0
; COMPUTE_PGM_RSRC3_GFX90A:ACCUM_OFFSET: 12
; COMPUTE_PGM_RSRC3_GFX90A:TG_SPLIT: 0
	.section	.text._ZL15flash_attn_tileILi112ELi112ELi2ELi1ELb1EEvPKcS1_S1_S1_S1_PKiPfP15HIP_vector_typeIfLj2EEffffjfiS5_IjLj3EEiiiiiiiiiiiliiliiiiil,"axG",@progbits,_ZL15flash_attn_tileILi112ELi112ELi2ELi1ELb1EEvPKcS1_S1_S1_S1_PKiPfP15HIP_vector_typeIfLj2EEffffjfiS5_IjLj3EEiiiiiiiiiiiliiliiiiil,comdat
	.globl	_ZL15flash_attn_tileILi112ELi112ELi2ELi1ELb1EEvPKcS1_S1_S1_S1_PKiPfP15HIP_vector_typeIfLj2EEffffjfiS5_IjLj3EEiiiiiiiiiiiliiliiiiil ; -- Begin function _ZL15flash_attn_tileILi112ELi112ELi2ELi1ELb1EEvPKcS1_S1_S1_S1_PKiPfP15HIP_vector_typeIfLj2EEffffjfiS5_IjLj3EEiiiiiiiiiiiliiliiiiil
	.p2align	8
	.type	_ZL15flash_attn_tileILi112ELi112ELi2ELi1ELb1EEvPKcS1_S1_S1_S1_PKiPfP15HIP_vector_typeIfLj2EEffffjfiS5_IjLj3EEiiiiiiiiiiiliiliiiiil,@function
_ZL15flash_attn_tileILi112ELi112ELi2ELi1ELb1EEvPKcS1_S1_S1_S1_PKiPfP15HIP_vector_typeIfLj2EEffffjfiS5_IjLj3EEiiiiiiiiiiiliiliiiiil: ; @_ZL15flash_attn_tileILi112ELi112ELi2ELi1ELb1EEvPKcS1_S1_S1_S1_PKiPfP15HIP_vector_typeIfLj2EEffffjfiS5_IjLj3EEiiiiiiiiiiiliiliiiiil
; %bb.0:
	s_add_u32 s8, s0, 0xd0
	s_addc_u32 s9, s1, 0
	s_getpc_b64 s[0:1]
	s_add_u32 s0, s0, _ZL14no_device_codePKciS0_iS0_@rel32@lo+4
	s_addc_u32 s1, s1, _ZL14no_device_codePKciS0_iS0_@rel32@hi+12
	s_mov_b32 s32, 0
	s_swappc_b64 s[30:31], s[0:1]
	.section	.rodata,"a",@progbits
	.p2align	6, 0x0
	.amdhsa_kernel _ZL15flash_attn_tileILi112ELi112ELi2ELi1ELb1EEvPKcS1_S1_S1_S1_PKiPfP15HIP_vector_typeIfLj2EEffffjfiS5_IjLj3EEiiiiiiiiiiiliiliiiiil
		.amdhsa_group_segment_fixed_size 0
		.amdhsa_private_segment_fixed_size 16
		.amdhsa_kernarg_size 464
		.amdhsa_user_sgpr_count 2
		.amdhsa_user_sgpr_dispatch_ptr 0
		.amdhsa_user_sgpr_queue_ptr 0
		.amdhsa_user_sgpr_kernarg_segment_ptr 1
		.amdhsa_user_sgpr_dispatch_id 0
		.amdhsa_user_sgpr_kernarg_preload_length 0
		.amdhsa_user_sgpr_kernarg_preload_offset 0
		.amdhsa_user_sgpr_private_segment_size 0
		.amdhsa_uses_dynamic_stack 0
		.amdhsa_enable_private_segment 1
		.amdhsa_system_sgpr_workgroup_id_x 1
		.amdhsa_system_sgpr_workgroup_id_y 0
		.amdhsa_system_sgpr_workgroup_id_z 0
		.amdhsa_system_sgpr_workgroup_info 0
		.amdhsa_system_vgpr_workitem_id 0
		.amdhsa_next_free_vgpr 50
		.amdhsa_next_free_sgpr 34
		.amdhsa_accum_offset 52
		.amdhsa_reserve_vcc 1
		.amdhsa_float_round_mode_32 0
		.amdhsa_float_round_mode_16_64 0
		.amdhsa_float_denorm_mode_32 3
		.amdhsa_float_denorm_mode_16_64 3
		.amdhsa_dx10_clamp 1
		.amdhsa_ieee_mode 1
		.amdhsa_fp16_overflow 0
		.amdhsa_tg_split 0
		.amdhsa_exception_fp_ieee_invalid_op 0
		.amdhsa_exception_fp_denorm_src 0
		.amdhsa_exception_fp_ieee_div_zero 0
		.amdhsa_exception_fp_ieee_overflow 0
		.amdhsa_exception_fp_ieee_underflow 0
		.amdhsa_exception_fp_ieee_inexact 0
		.amdhsa_exception_int_div_zero 0
	.end_amdhsa_kernel
	.section	.text._ZL15flash_attn_tileILi112ELi112ELi2ELi1ELb1EEvPKcS1_S1_S1_S1_PKiPfP15HIP_vector_typeIfLj2EEffffjfiS5_IjLj3EEiiiiiiiiiiiliiliiiiil,"axG",@progbits,_ZL15flash_attn_tileILi112ELi112ELi2ELi1ELb1EEvPKcS1_S1_S1_S1_PKiPfP15HIP_vector_typeIfLj2EEffffjfiS5_IjLj3EEiiiiiiiiiiiliiliiiiil,comdat
.Lfunc_end94:
	.size	_ZL15flash_attn_tileILi112ELi112ELi2ELi1ELb1EEvPKcS1_S1_S1_S1_PKiPfP15HIP_vector_typeIfLj2EEffffjfiS5_IjLj3EEiiiiiiiiiiiliiliiiiil, .Lfunc_end94-_ZL15flash_attn_tileILi112ELi112ELi2ELi1ELb1EEvPKcS1_S1_S1_S1_PKiPfP15HIP_vector_typeIfLj2EEffffjfiS5_IjLj3EEiiiiiiiiiiiliiliiiiil
                                        ; -- End function
	.set _ZL15flash_attn_tileILi112ELi112ELi2ELi1ELb1EEvPKcS1_S1_S1_S1_PKiPfP15HIP_vector_typeIfLj2EEffffjfiS5_IjLj3EEiiiiiiiiiiiliiliiiiil.num_vgpr, max(0, .L_ZL14no_device_codePKciS0_iS0_.num_vgpr)
	.set _ZL15flash_attn_tileILi112ELi112ELi2ELi1ELb1EEvPKcS1_S1_S1_S1_PKiPfP15HIP_vector_typeIfLj2EEffffjfiS5_IjLj3EEiiiiiiiiiiiliiliiiiil.num_agpr, max(0, .L_ZL14no_device_codePKciS0_iS0_.num_agpr)
	.set _ZL15flash_attn_tileILi112ELi112ELi2ELi1ELb1EEvPKcS1_S1_S1_S1_PKiPfP15HIP_vector_typeIfLj2EEffffjfiS5_IjLj3EEiiiiiiiiiiiliiliiiiil.numbered_sgpr, max(33, .L_ZL14no_device_codePKciS0_iS0_.numbered_sgpr)
	.set _ZL15flash_attn_tileILi112ELi112ELi2ELi1ELb1EEvPKcS1_S1_S1_S1_PKiPfP15HIP_vector_typeIfLj2EEffffjfiS5_IjLj3EEiiiiiiiiiiiliiliiiiil.num_named_barrier, max(0, .L_ZL14no_device_codePKciS0_iS0_.num_named_barrier)
	.set _ZL15flash_attn_tileILi112ELi112ELi2ELi1ELb1EEvPKcS1_S1_S1_S1_PKiPfP15HIP_vector_typeIfLj2EEffffjfiS5_IjLj3EEiiiiiiiiiiiliiliiiiil.private_seg_size, 0+max(.L_ZL14no_device_codePKciS0_iS0_.private_seg_size)
	.set _ZL15flash_attn_tileILi112ELi112ELi2ELi1ELb1EEvPKcS1_S1_S1_S1_PKiPfP15HIP_vector_typeIfLj2EEffffjfiS5_IjLj3EEiiiiiiiiiiiliiliiiiil.uses_vcc, or(1, .L_ZL14no_device_codePKciS0_iS0_.uses_vcc)
	.set _ZL15flash_attn_tileILi112ELi112ELi2ELi1ELb1EEvPKcS1_S1_S1_S1_PKiPfP15HIP_vector_typeIfLj2EEffffjfiS5_IjLj3EEiiiiiiiiiiiliiliiiiil.uses_flat_scratch, or(0, .L_ZL14no_device_codePKciS0_iS0_.uses_flat_scratch)
	.set _ZL15flash_attn_tileILi112ELi112ELi2ELi1ELb1EEvPKcS1_S1_S1_S1_PKiPfP15HIP_vector_typeIfLj2EEffffjfiS5_IjLj3EEiiiiiiiiiiiliiliiiiil.has_dyn_sized_stack, or(0, .L_ZL14no_device_codePKciS0_iS0_.has_dyn_sized_stack)
	.set _ZL15flash_attn_tileILi112ELi112ELi2ELi1ELb1EEvPKcS1_S1_S1_S1_PKiPfP15HIP_vector_typeIfLj2EEffffjfiS5_IjLj3EEiiiiiiiiiiiliiliiiiil.has_recursion, or(0, .L_ZL14no_device_codePKciS0_iS0_.has_recursion)
	.set _ZL15flash_attn_tileILi112ELi112ELi2ELi1ELb1EEvPKcS1_S1_S1_S1_PKiPfP15HIP_vector_typeIfLj2EEffffjfiS5_IjLj3EEiiiiiiiiiiiliiliiiiil.has_indirect_call, or(0, .L_ZL14no_device_codePKciS0_iS0_.has_indirect_call)
	.section	.AMDGPU.csdata,"",@progbits
; Kernel info:
; codeLenInByte = 40
; TotalNumSgprs: 40
; NumVgprs: 50
; NumAgprs: 0
; TotalNumVgprs: 50
; ScratchSize: 16
; MemoryBound: 0
; FloatMode: 240
; IeeeMode: 1
; LDSByteSize: 0 bytes/workgroup (compile time only)
; SGPRBlocks: 4
; VGPRBlocks: 6
; NumSGPRsForWavesPerEU: 40
; NumVGPRsForWavesPerEU: 50
; AccumOffset: 52
; Occupancy: 8
; WaveLimiterHint : 1
; COMPUTE_PGM_RSRC2:SCRATCH_EN: 1
; COMPUTE_PGM_RSRC2:USER_SGPR: 2
; COMPUTE_PGM_RSRC2:TRAP_HANDLER: 0
; COMPUTE_PGM_RSRC2:TGID_X_EN: 1
; COMPUTE_PGM_RSRC2:TGID_Y_EN: 0
; COMPUTE_PGM_RSRC2:TGID_Z_EN: 0
; COMPUTE_PGM_RSRC2:TIDIG_COMP_CNT: 0
; COMPUTE_PGM_RSRC3_GFX90A:ACCUM_OFFSET: 12
; COMPUTE_PGM_RSRC3_GFX90A:TG_SPLIT: 0
	.text
	.p2alignl 6, 3212836864
	.fill 256, 4, 3212836864
	.section	.AMDGPU.gpr_maximums,"",@progbits
	.set amdgpu.max_num_vgpr, 50
	.set amdgpu.max_num_agpr, 0
	.set amdgpu.max_num_sgpr, 34
	.text
	.type	.str.3,@object                  ; @.str.3
	.section	.rodata.str1.1,"aMS",@progbits,1
.str.3:
	.asciz	"/root/src/amdgpu-assembly/repos/ggml-org__llama.cpp/ggml/src/ggml-cuda/template-instances/../fattn-tile.cuh"
	.size	.str.3, 108

	.type	__FUNCTION__._ZL15flash_attn_tileILi112ELi112ELi8ELi8ELb1EEvPKcS1_S1_S1_S1_PKiPfP15HIP_vector_typeIfLj2EEffffjfiS5_IjLj3EEiiiiiiiiiiiliiliiiiil,@object ; @__FUNCTION__._ZL15flash_attn_tileILi112ELi112ELi8ELi8ELb1EEvPKcS1_S1_S1_S1_PKiPfP15HIP_vector_typeIfLj2EEffffjfiS5_IjLj3EEiiiiiiiiiiiliiliiiiil
__FUNCTION__._ZL15flash_attn_tileILi112ELi112ELi8ELi8ELb1EEvPKcS1_S1_S1_S1_PKiPfP15HIP_vector_typeIfLj2EEffffjfiS5_IjLj3EEiiiiiiiiiiiliiliiiiil:
	.asciz	"flash_attn_tile"
	.size	__FUNCTION__._ZL15flash_attn_tileILi112ELi112ELi8ELi8ELb1EEvPKcS1_S1_S1_S1_PKiPfP15HIP_vector_typeIfLj2EEffffjfiS5_IjLj3EEiiiiiiiiiiiliiliiiiil, 16

	.type	.str.5,@object                  ; @.str.5
.str.5:
	.asciz	"%s:%d: ERROR: HIP kernel %s has no device code compatible with HIP arch %d.\n"
	.size	.str.5, 77

	.type	__hip_cuid_d9d9c7ece8336be7,@object ; @__hip_cuid_d9d9c7ece8336be7
	.section	.bss,"aw",@nobits
	.globl	__hip_cuid_d9d9c7ece8336be7
__hip_cuid_d9d9c7ece8336be7:
	.byte	0                               ; 0x0
	.size	__hip_cuid_d9d9c7ece8336be7, 1

	.ident	"AMD clang version 22.0.0git (https://github.com/RadeonOpenCompute/llvm-project roc-7.2.4 26084 f58b06dce1f9c15707c5f808fd002e18c2accf7e)"
	.section	".note.GNU-stack","",@progbits
	.addrsig
	.addrsig_sym __hip_cuid_d9d9c7ece8336be7
	.amdgpu_metadata
---
amdhsa.kernels:
  - .agpr_count:     0
    .args:
      - .address_space:  global
        .offset:         0
        .size:           8
        .value_kind:     global_buffer
      - .address_space:  global
        .offset:         8
        .size:           8
        .value_kind:     global_buffer
      - .address_space:  global
        .offset:         16
        .size:           8
        .value_kind:     global_buffer
      - .address_space:  global
        .offset:         24
        .size:           8
        .value_kind:     global_buffer
      - .address_space:  global
        .offset:         32
        .size:           8
        .value_kind:     global_buffer
      - .address_space:  global
        .offset:         40
        .size:           8
        .value_kind:     global_buffer
      - .address_space:  global
        .offset:         48
        .size:           8
        .value_kind:     global_buffer
      - .address_space:  global
        .offset:         56
        .size:           8
        .value_kind:     global_buffer
      - .offset:         64
        .size:           4
        .value_kind:     by_value
      - .offset:         68
        .size:           4
        .value_kind:     by_value
      - .offset:         72
        .size:           4
        .value_kind:     by_value
      - .offset:         76
        .size:           4
        .value_kind:     by_value
      - .offset:         80
        .size:           4
        .value_kind:     by_value
      - .offset:         84
        .size:           4
        .value_kind:     by_value
      - .offset:         88
        .size:           4
        .value_kind:     by_value
      - .offset:         92
        .size:           12
        .value_kind:     by_value
      - .offset:         104
        .size:           4
        .value_kind:     by_value
      - .offset:         108
        .size:           4
        .value_kind:     by_value
      - .offset:         112
        .size:           4
        .value_kind:     by_value
      - .offset:         116
        .size:           4
        .value_kind:     by_value
      - .offset:         120
        .size:           4
        .value_kind:     by_value
      - .offset:         124
        .size:           4
        .value_kind:     by_value
      - .offset:         128
        .size:           4
        .value_kind:     by_value
      - .offset:         132
        .size:           4
        .value_kind:     by_value
      - .offset:         136
        .size:           4
        .value_kind:     by_value
      - .offset:         140
        .size:           4
        .value_kind:     by_value
      - .offset:         144
        .size:           4
        .value_kind:     by_value
      - .offset:         152
        .size:           8
        .value_kind:     by_value
      - .offset:         160
        .size:           4
        .value_kind:     by_value
      - .offset:         164
        .size:           4
        .value_kind:     by_value
      - .offset:         168
        .size:           8
        .value_kind:     by_value
      - .offset:         176
        .size:           4
        .value_kind:     by_value
      - .offset:         180
        .size:           4
        .value_kind:     by_value
      - .offset:         184
        .size:           4
        .value_kind:     by_value
      - .offset:         188
        .size:           4
        .value_kind:     by_value
      - .offset:         192
        .size:           4
        .value_kind:     by_value
      - .offset:         200
        .size:           8
        .value_kind:     by_value
      - .offset:         208
        .size:           4
        .value_kind:     hidden_block_count_x
      - .offset:         212
        .size:           4
        .value_kind:     hidden_block_count_y
      - .offset:         216
        .size:           4
        .value_kind:     hidden_block_count_z
      - .offset:         220
        .size:           2
        .value_kind:     hidden_group_size_x
      - .offset:         222
        .size:           2
        .value_kind:     hidden_group_size_y
      - .offset:         224
        .size:           2
        .value_kind:     hidden_group_size_z
      - .offset:         226
        .size:           2
        .value_kind:     hidden_remainder_x
      - .offset:         228
        .size:           2
        .value_kind:     hidden_remainder_y
      - .offset:         230
        .size:           2
        .value_kind:     hidden_remainder_z
      - .offset:         248
        .size:           8
        .value_kind:     hidden_global_offset_x
      - .offset:         256
        .size:           8
        .value_kind:     hidden_global_offset_y
      - .offset:         264
        .size:           8
        .value_kind:     hidden_global_offset_z
      - .offset:         272
        .size:           2
        .value_kind:     hidden_grid_dims
    .group_segment_fixed_size: 22592
    .kernarg_segment_align: 8
    .kernarg_segment_size: 464
    .language:       OpenCL C
    .language_version:
      - 2
      - 0
    .max_flat_workgroup_size: 256
    .name:           _ZL15flash_attn_tileILi112ELi112ELi8ELi8ELb0EEvPKcS1_S1_S1_S1_PKiPfP15HIP_vector_typeIfLj2EEffffjfiS5_IjLj3EEiiiiiiiiiiiliiliiiiil
    .private_segment_fixed_size: 0
    .sgpr_count:     84
    .sgpr_spill_count: 0
    .symbol:         _ZL15flash_attn_tileILi112ELi112ELi8ELi8ELb0EEvPKcS1_S1_S1_S1_PKiPfP15HIP_vector_typeIfLj2EEffffjfiS5_IjLj3EEiiiiiiiiiiiliiliiiiil.kd
    .uniform_work_group_size: 1
    .uses_dynamic_stack: false
    .vgpr_count:     256
    .vgpr_spill_count: 0
    .wavefront_size: 64
  - .agpr_count:     0
    .args:
      - .actual_access:  read_only
        .address_space:  global
        .offset:         0
        .size:           8
        .value_kind:     global_buffer
      - .actual_access:  write_only
        .address_space:  global
        .offset:         8
        .size:           8
        .value_kind:     global_buffer
      - .offset:         16
        .size:           4
        .value_kind:     by_value
      - .offset:         20
        .size:           4
        .value_kind:     by_value
      - .offset:         24
        .size:           4
        .value_kind:     by_value
      - .offset:         32
        .size:           4
        .value_kind:     hidden_block_count_x
      - .offset:         36
        .size:           4
        .value_kind:     hidden_block_count_y
      - .offset:         40
        .size:           4
        .value_kind:     hidden_block_count_z
      - .offset:         44
        .size:           2
        .value_kind:     hidden_group_size_x
      - .offset:         46
        .size:           2
        .value_kind:     hidden_group_size_y
      - .offset:         48
        .size:           2
        .value_kind:     hidden_group_size_z
      - .offset:         50
        .size:           2
        .value_kind:     hidden_remainder_x
      - .offset:         52
        .size:           2
        .value_kind:     hidden_remainder_y
      - .offset:         54
        .size:           2
        .value_kind:     hidden_remainder_z
      - .offset:         72
        .size:           8
        .value_kind:     hidden_global_offset_x
      - .offset:         80
        .size:           8
        .value_kind:     hidden_global_offset_y
      - .offset:         88
        .size:           8
        .value_kind:     hidden_global_offset_z
      - .offset:         96
        .size:           2
        .value_kind:     hidden_grid_dims
    .group_segment_fixed_size: 128
    .kernarg_segment_align: 8
    .kernarg_segment_size: 288
    .language:       OpenCL C
    .language_version:
      - 2
      - 0
    .max_flat_workgroup_size: 128
    .name:           _ZL25flash_attn_mask_to_KV_maxILi8EEvPK7__half2Piiii
    .private_segment_fixed_size: 0
    .sgpr_count:     52
    .sgpr_spill_count: 0
    .symbol:         _ZL25flash_attn_mask_to_KV_maxILi8EEvPK7__half2Piiii.kd
    .uniform_work_group_size: 1
    .uses_dynamic_stack: false
    .vgpr_count:     12
    .vgpr_spill_count: 0
    .wavefront_size: 64
  - .agpr_count:     0
    .args:
      - .address_space:  global
        .offset:         0
        .size:           8
        .value_kind:     global_buffer
      - .address_space:  global
        .offset:         8
        .size:           8
        .value_kind:     global_buffer
      - .offset:         16
        .size:           4
        .value_kind:     by_value
      - .offset:         20
        .size:           4
        .value_kind:     by_value
      - .offset:         24
        .size:           4
        .value_kind:     by_value
      - .offset:         28
        .size:           4
        .value_kind:     by_value
      - .offset:         32
        .size:           4
        .value_kind:     by_value
      - .offset:         36
        .size:           4
        .value_kind:     by_value
      - .offset:         40
        .size:           12
        .value_kind:     by_value
      - .offset:         52
        .size:           12
        .value_kind:     by_value
      - .offset:         64
        .size:           12
        .value_kind:     by_value
    .group_segment_fixed_size: 0
    .kernarg_segment_align: 8
    .kernarg_segment_size: 76
    .language:       OpenCL C
    .language_version:
      - 2
      - 0
    .max_flat_workgroup_size: 112
    .name:           _ZL33flash_attn_stream_k_fixup_uniformILi112ELi8ELi8EEvPfPK15HIP_vector_typeIfLj2EEiiiiiiS1_IjLj3EES5_S5_
    .private_segment_fixed_size: 0
    .sgpr_count:     26
    .sgpr_spill_count: 0
    .symbol:         _ZL33flash_attn_stream_k_fixup_uniformILi112ELi8ELi8EEvPfPK15HIP_vector_typeIfLj2EEiiiiiiS1_IjLj3EES5_S5_.kd
    .uniform_work_group_size: 1
    .uses_dynamic_stack: false
    .vgpr_count:     17
    .vgpr_spill_count: 0
    .wavefront_size: 64
  - .agpr_count:     0
    .args:
      - .address_space:  global
        .offset:         0
        .size:           8
        .value_kind:     global_buffer
      - .address_space:  global
        .offset:         8
        .size:           8
        .value_kind:     global_buffer
      - .offset:         16
        .size:           4
        .value_kind:     by_value
      - .offset:         20
        .size:           4
        .value_kind:     by_value
      - .offset:         24
        .size:           4
        .value_kind:     by_value
      - .offset:         28
        .size:           4
        .value_kind:     by_value
      - .offset:         32
        .size:           12
        .value_kind:     by_value
      - .offset:         44
        .size:           12
        .value_kind:     by_value
      - .offset:         56
        .size:           12
        .value_kind:     by_value
      - .offset:         68
        .size:           12
        .value_kind:     by_value
      - .offset:         80
        .size:           4
        .value_kind:     hidden_block_count_x
      - .offset:         84
        .size:           4
        .value_kind:     hidden_block_count_y
      - .offset:         88
        .size:           4
        .value_kind:     hidden_block_count_z
      - .offset:         92
        .size:           2
        .value_kind:     hidden_group_size_x
      - .offset:         94
        .size:           2
        .value_kind:     hidden_group_size_y
      - .offset:         96
        .size:           2
        .value_kind:     hidden_group_size_z
      - .offset:         98
        .size:           2
        .value_kind:     hidden_remainder_x
      - .offset:         100
        .size:           2
        .value_kind:     hidden_remainder_y
      - .offset:         102
        .size:           2
        .value_kind:     hidden_remainder_z
      - .offset:         120
        .size:           8
        .value_kind:     hidden_global_offset_x
      - .offset:         128
        .size:           8
        .value_kind:     hidden_global_offset_y
      - .offset:         136
        .size:           8
        .value_kind:     hidden_global_offset_z
      - .offset:         144
        .size:           2
        .value_kind:     hidden_grid_dims
    .group_segment_fixed_size: 0
    .kernarg_segment_align: 8
    .kernarg_segment_size: 336
    .language:       OpenCL C
    .language_version:
      - 2
      - 0
    .max_flat_workgroup_size: 112
    .name:           _ZL33flash_attn_stream_k_fixup_generalILi112ELi8ELi8EEvPfPK15HIP_vector_typeIfLj2EEiiiiS1_IjLj3EES5_S5_S5_
    .private_segment_fixed_size: 0
    .sgpr_count:     42
    .sgpr_spill_count: 0
    .symbol:         _ZL33flash_attn_stream_k_fixup_generalILi112ELi8ELi8EEvPfPK15HIP_vector_typeIfLj2EEiiiiS1_IjLj3EES5_S5_S5_.kd
    .uniform_work_group_size: 1
    .uses_dynamic_stack: false
    .vgpr_count:     18
    .vgpr_spill_count: 0
    .wavefront_size: 64
  - .agpr_count:     0
    .args:
      - .address_space:  global
        .offset:         0
        .size:           8
        .value_kind:     global_buffer
      - .address_space:  global
        .offset:         8
        .size:           8
        .value_kind:     global_buffer
      - .address_space:  global
        .offset:         16
        .size:           8
        .value_kind:     global_buffer
      - .offset:         24
        .size:           4
        .value_kind:     by_value
      - .offset:         32
        .size:           4
        .value_kind:     hidden_block_count_x
      - .offset:         36
        .size:           4
        .value_kind:     hidden_block_count_y
      - .offset:         40
        .size:           4
        .value_kind:     hidden_block_count_z
      - .offset:         44
        .size:           2
        .value_kind:     hidden_group_size_x
      - .offset:         46
        .size:           2
        .value_kind:     hidden_group_size_y
      - .offset:         48
        .size:           2
        .value_kind:     hidden_group_size_z
      - .offset:         50
        .size:           2
        .value_kind:     hidden_remainder_x
      - .offset:         52
        .size:           2
        .value_kind:     hidden_remainder_y
      - .offset:         54
        .size:           2
        .value_kind:     hidden_remainder_z
      - .offset:         72
        .size:           8
        .value_kind:     hidden_global_offset_x
      - .offset:         80
        .size:           8
        .value_kind:     hidden_global_offset_y
      - .offset:         88
        .size:           8
        .value_kind:     hidden_global_offset_z
      - .offset:         96
        .size:           2
        .value_kind:     hidden_grid_dims
      - .offset:         152
        .size:           4
        .value_kind:     hidden_dynamic_lds_size
    .group_segment_fixed_size: 0
    .kernarg_segment_align: 8
    .kernarg_segment_size: 288
    .language:       OpenCL C
    .language_version:
      - 2
      - 0
    .max_flat_workgroup_size: 112
    .name:           _ZL26flash_attn_combine_resultsILi112EEvPKfPK15HIP_vector_typeIfLj2EEPfi
    .private_segment_fixed_size: 0
    .sgpr_count:     36
    .sgpr_spill_count: 0
    .symbol:         _ZL26flash_attn_combine_resultsILi112EEvPKfPK15HIP_vector_typeIfLj2EEPfi.kd
    .uniform_work_group_size: 1
    .uses_dynamic_stack: false
    .vgpr_count:     57
    .vgpr_spill_count: 0
    .wavefront_size: 64
  - .agpr_count:     0
    .args:
      - .address_space:  global
        .offset:         0
        .size:           8
        .value_kind:     global_buffer
      - .address_space:  global
        .offset:         8
        .size:           8
        .value_kind:     global_buffer
      - .address_space:  global
        .offset:         16
        .size:           8
        .value_kind:     global_buffer
      - .address_space:  global
        .offset:         24
        .size:           8
        .value_kind:     global_buffer
      - .address_space:  global
        .offset:         32
        .size:           8
        .value_kind:     global_buffer
      - .address_space:  global
        .offset:         40
        .size:           8
        .value_kind:     global_buffer
      - .address_space:  global
        .offset:         48
        .size:           8
        .value_kind:     global_buffer
      - .address_space:  global
        .offset:         56
        .size:           8
        .value_kind:     global_buffer
      - .offset:         64
        .size:           4
        .value_kind:     by_value
      - .offset:         68
        .size:           4
        .value_kind:     by_value
      - .offset:         72
        .size:           4
        .value_kind:     by_value
      - .offset:         76
        .size:           4
        .value_kind:     by_value
      - .offset:         80
        .size:           4
        .value_kind:     by_value
      - .offset:         84
        .size:           4
        .value_kind:     by_value
      - .offset:         88
        .size:           4
        .value_kind:     by_value
      - .offset:         92
        .size:           12
        .value_kind:     by_value
      - .offset:         104
        .size:           4
        .value_kind:     by_value
      - .offset:         108
        .size:           4
        .value_kind:     by_value
      - .offset:         112
        .size:           4
        .value_kind:     by_value
      - .offset:         116
        .size:           4
        .value_kind:     by_value
      - .offset:         120
        .size:           4
        .value_kind:     by_value
      - .offset:         124
        .size:           4
        .value_kind:     by_value
      - .offset:         128
        .size:           4
        .value_kind:     by_value
      - .offset:         132
        .size:           4
        .value_kind:     by_value
      - .offset:         136
        .size:           4
        .value_kind:     by_value
      - .offset:         140
        .size:           4
        .value_kind:     by_value
      - .offset:         144
        .size:           4
        .value_kind:     by_value
      - .offset:         152
        .size:           8
        .value_kind:     by_value
      - .offset:         160
        .size:           4
        .value_kind:     by_value
      - .offset:         164
        .size:           4
        .value_kind:     by_value
      - .offset:         168
        .size:           8
        .value_kind:     by_value
      - .offset:         176
        .size:           4
        .value_kind:     by_value
      - .offset:         180
        .size:           4
        .value_kind:     by_value
      - .offset:         184
        .size:           4
        .value_kind:     by_value
      - .offset:         188
        .size:           4
        .value_kind:     by_value
      - .offset:         192
        .size:           4
        .value_kind:     by_value
      - .offset:         200
        .size:           8
        .value_kind:     by_value
      - .offset:         208
        .size:           4
        .value_kind:     hidden_block_count_x
      - .offset:         212
        .size:           4
        .value_kind:     hidden_block_count_y
      - .offset:         216
        .size:           4
        .value_kind:     hidden_block_count_z
      - .offset:         220
        .size:           2
        .value_kind:     hidden_group_size_x
      - .offset:         222
        .size:           2
        .value_kind:     hidden_group_size_y
      - .offset:         224
        .size:           2
        .value_kind:     hidden_group_size_z
      - .offset:         226
        .size:           2
        .value_kind:     hidden_remainder_x
      - .offset:         228
        .size:           2
        .value_kind:     hidden_remainder_y
      - .offset:         230
        .size:           2
        .value_kind:     hidden_remainder_z
      - .offset:         248
        .size:           8
        .value_kind:     hidden_global_offset_x
      - .offset:         256
        .size:           8
        .value_kind:     hidden_global_offset_y
      - .offset:         264
        .size:           8
        .value_kind:     hidden_global_offset_z
      - .offset:         272
        .size:           2
        .value_kind:     hidden_grid_dims
    .group_segment_fixed_size: 13376
    .kernarg_segment_align: 8
    .kernarg_segment_size: 464
    .language:       OpenCL C
    .language_version:
      - 2
      - 0
    .max_flat_workgroup_size: 256
    .name:           _ZL15flash_attn_tileILi112ELi112ELi4ELi8ELb0EEvPKcS1_S1_S1_S1_PKiPfP15HIP_vector_typeIfLj2EEffffjfiS5_IjLj3EEiiiiiiiiiiiliiliiiiil
    .private_segment_fixed_size: 0
    .sgpr_count:     68
    .sgpr_spill_count: 0
    .symbol:         _ZL15flash_attn_tileILi112ELi112ELi4ELi8ELb0EEvPKcS1_S1_S1_S1_PKiPfP15HIP_vector_typeIfLj2EEffffjfiS5_IjLj3EEiiiiiiiiiiiliiliiiiil.kd
    .uniform_work_group_size: 1
    .uses_dynamic_stack: false
    .vgpr_count:     167
    .vgpr_spill_count: 0
    .wavefront_size: 64
  - .agpr_count:     0
    .args:
      - .actual_access:  read_only
        .address_space:  global
        .offset:         0
        .size:           8
        .value_kind:     global_buffer
      - .actual_access:  write_only
        .address_space:  global
        .offset:         8
        .size:           8
        .value_kind:     global_buffer
      - .offset:         16
        .size:           4
        .value_kind:     by_value
      - .offset:         20
        .size:           4
        .value_kind:     by_value
      - .offset:         24
        .size:           4
        .value_kind:     by_value
      - .offset:         32
        .size:           4
        .value_kind:     hidden_block_count_x
      - .offset:         36
        .size:           4
        .value_kind:     hidden_block_count_y
      - .offset:         40
        .size:           4
        .value_kind:     hidden_block_count_z
      - .offset:         44
        .size:           2
        .value_kind:     hidden_group_size_x
      - .offset:         46
        .size:           2
        .value_kind:     hidden_group_size_y
      - .offset:         48
        .size:           2
        .value_kind:     hidden_group_size_z
      - .offset:         50
        .size:           2
        .value_kind:     hidden_remainder_x
      - .offset:         52
        .size:           2
        .value_kind:     hidden_remainder_y
      - .offset:         54
        .size:           2
        .value_kind:     hidden_remainder_z
      - .offset:         72
        .size:           8
        .value_kind:     hidden_global_offset_x
      - .offset:         80
        .size:           8
        .value_kind:     hidden_global_offset_y
      - .offset:         88
        .size:           8
        .value_kind:     hidden_global_offset_z
      - .offset:         96
        .size:           2
        .value_kind:     hidden_grid_dims
    .group_segment_fixed_size: 128
    .kernarg_segment_align: 8
    .kernarg_segment_size: 288
    .language:       OpenCL C
    .language_version:
      - 2
      - 0
    .max_flat_workgroup_size: 128
    .name:           _ZL25flash_attn_mask_to_KV_maxILi4EEvPK7__half2Piiii
    .private_segment_fixed_size: 0
    .sgpr_count:     36
    .sgpr_spill_count: 0
    .symbol:         _ZL25flash_attn_mask_to_KV_maxILi4EEvPK7__half2Piiii.kd
    .uniform_work_group_size: 1
    .uses_dynamic_stack: false
    .vgpr_count:     17
    .vgpr_spill_count: 0
    .wavefront_size: 64
  - .agpr_count:     0
    .args:
      - .address_space:  global
        .offset:         0
        .size:           8
        .value_kind:     global_buffer
      - .address_space:  global
        .offset:         8
        .size:           8
        .value_kind:     global_buffer
      - .offset:         16
        .size:           4
        .value_kind:     by_value
      - .offset:         20
        .size:           4
        .value_kind:     by_value
      - .offset:         24
        .size:           4
        .value_kind:     by_value
      - .offset:         28
        .size:           4
        .value_kind:     by_value
      - .offset:         32
        .size:           4
        .value_kind:     by_value
      - .offset:         36
        .size:           4
        .value_kind:     by_value
      - .offset:         40
        .size:           12
        .value_kind:     by_value
      - .offset:         52
        .size:           12
        .value_kind:     by_value
      - .offset:         64
        .size:           12
        .value_kind:     by_value
    .group_segment_fixed_size: 0
    .kernarg_segment_align: 8
    .kernarg_segment_size: 76
    .language:       OpenCL C
    .language_version:
      - 2
      - 0
    .max_flat_workgroup_size: 112
    .name:           _ZL33flash_attn_stream_k_fixup_uniformILi112ELi4ELi8EEvPfPK15HIP_vector_typeIfLj2EEiiiiiiS1_IjLj3EES5_S5_
    .private_segment_fixed_size: 0
    .sgpr_count:     26
    .sgpr_spill_count: 0
    .symbol:         _ZL33flash_attn_stream_k_fixup_uniformILi112ELi4ELi8EEvPfPK15HIP_vector_typeIfLj2EEiiiiiiS1_IjLj3EES5_S5_.kd
    .uniform_work_group_size: 1
    .uses_dynamic_stack: false
    .vgpr_count:     17
    .vgpr_spill_count: 0
    .wavefront_size: 64
  - .agpr_count:     0
    .args:
      - .address_space:  global
        .offset:         0
        .size:           8
        .value_kind:     global_buffer
      - .address_space:  global
        .offset:         8
        .size:           8
        .value_kind:     global_buffer
      - .offset:         16
        .size:           4
        .value_kind:     by_value
      - .offset:         20
        .size:           4
        .value_kind:     by_value
      - .offset:         24
        .size:           4
        .value_kind:     by_value
      - .offset:         28
        .size:           4
        .value_kind:     by_value
      - .offset:         32
        .size:           12
        .value_kind:     by_value
      - .offset:         44
        .size:           12
        .value_kind:     by_value
      - .offset:         56
        .size:           12
        .value_kind:     by_value
      - .offset:         68
        .size:           12
        .value_kind:     by_value
      - .offset:         80
        .size:           4
        .value_kind:     hidden_block_count_x
      - .offset:         84
        .size:           4
        .value_kind:     hidden_block_count_y
      - .offset:         88
        .size:           4
        .value_kind:     hidden_block_count_z
      - .offset:         92
        .size:           2
        .value_kind:     hidden_group_size_x
      - .offset:         94
        .size:           2
        .value_kind:     hidden_group_size_y
      - .offset:         96
        .size:           2
        .value_kind:     hidden_group_size_z
      - .offset:         98
        .size:           2
        .value_kind:     hidden_remainder_x
      - .offset:         100
        .size:           2
        .value_kind:     hidden_remainder_y
      - .offset:         102
        .size:           2
        .value_kind:     hidden_remainder_z
      - .offset:         120
        .size:           8
        .value_kind:     hidden_global_offset_x
      - .offset:         128
        .size:           8
        .value_kind:     hidden_global_offset_y
      - .offset:         136
        .size:           8
        .value_kind:     hidden_global_offset_z
      - .offset:         144
        .size:           2
        .value_kind:     hidden_grid_dims
    .group_segment_fixed_size: 0
    .kernarg_segment_align: 8
    .kernarg_segment_size: 336
    .language:       OpenCL C
    .language_version:
      - 2
      - 0
    .max_flat_workgroup_size: 112
    .name:           _ZL33flash_attn_stream_k_fixup_generalILi112ELi4ELi8EEvPfPK15HIP_vector_typeIfLj2EEiiiiS1_IjLj3EES5_S5_S5_
    .private_segment_fixed_size: 0
    .sgpr_count:     42
    .sgpr_spill_count: 0
    .symbol:         _ZL33flash_attn_stream_k_fixup_generalILi112ELi4ELi8EEvPfPK15HIP_vector_typeIfLj2EEiiiiS1_IjLj3EES5_S5_S5_.kd
    .uniform_work_group_size: 1
    .uses_dynamic_stack: false
    .vgpr_count:     18
    .vgpr_spill_count: 0
    .wavefront_size: 64
  - .agpr_count:     0
    .args:
      - .address_space:  global
        .offset:         0
        .size:           8
        .value_kind:     global_buffer
      - .address_space:  global
        .offset:         8
        .size:           8
        .value_kind:     global_buffer
      - .address_space:  global
        .offset:         16
        .size:           8
        .value_kind:     global_buffer
      - .address_space:  global
        .offset:         24
        .size:           8
        .value_kind:     global_buffer
      - .address_space:  global
        .offset:         32
        .size:           8
        .value_kind:     global_buffer
      - .address_space:  global
        .offset:         40
        .size:           8
        .value_kind:     global_buffer
      - .address_space:  global
        .offset:         48
        .size:           8
        .value_kind:     global_buffer
      - .address_space:  global
        .offset:         56
        .size:           8
        .value_kind:     global_buffer
      - .offset:         64
        .size:           4
        .value_kind:     by_value
      - .offset:         68
        .size:           4
        .value_kind:     by_value
      - .offset:         72
        .size:           4
        .value_kind:     by_value
      - .offset:         76
        .size:           4
        .value_kind:     by_value
      - .offset:         80
        .size:           4
        .value_kind:     by_value
      - .offset:         84
        .size:           4
        .value_kind:     by_value
      - .offset:         88
        .size:           4
        .value_kind:     by_value
      - .offset:         92
        .size:           12
        .value_kind:     by_value
      - .offset:         104
        .size:           4
        .value_kind:     by_value
      - .offset:         108
        .size:           4
        .value_kind:     by_value
      - .offset:         112
        .size:           4
        .value_kind:     by_value
      - .offset:         116
        .size:           4
        .value_kind:     by_value
      - .offset:         120
        .size:           4
        .value_kind:     by_value
      - .offset:         124
        .size:           4
        .value_kind:     by_value
      - .offset:         128
        .size:           4
        .value_kind:     by_value
      - .offset:         132
        .size:           4
        .value_kind:     by_value
      - .offset:         136
        .size:           4
        .value_kind:     by_value
      - .offset:         140
        .size:           4
        .value_kind:     by_value
      - .offset:         144
        .size:           4
        .value_kind:     by_value
      - .offset:         152
        .size:           8
        .value_kind:     by_value
      - .offset:         160
        .size:           4
        .value_kind:     by_value
      - .offset:         164
        .size:           4
        .value_kind:     by_value
      - .offset:         168
        .size:           8
        .value_kind:     by_value
      - .offset:         176
        .size:           4
        .value_kind:     by_value
      - .offset:         180
        .size:           4
        .value_kind:     by_value
      - .offset:         184
        .size:           4
        .value_kind:     by_value
      - .offset:         188
        .size:           4
        .value_kind:     by_value
      - .offset:         192
        .size:           4
        .value_kind:     by_value
      - .offset:         200
        .size:           8
        .value_kind:     by_value
      - .offset:         208
        .size:           4
        .value_kind:     hidden_block_count_x
      - .offset:         212
        .size:           4
        .value_kind:     hidden_block_count_y
      - .offset:         216
        .size:           4
        .value_kind:     hidden_block_count_z
      - .offset:         220
        .size:           2
        .value_kind:     hidden_group_size_x
      - .offset:         222
        .size:           2
        .value_kind:     hidden_group_size_y
      - .offset:         224
        .size:           2
        .value_kind:     hidden_group_size_z
      - .offset:         226
        .size:           2
        .value_kind:     hidden_remainder_x
      - .offset:         228
        .size:           2
        .value_kind:     hidden_remainder_y
      - .offset:         230
        .size:           2
        .value_kind:     hidden_remainder_z
      - .offset:         248
        .size:           8
        .value_kind:     hidden_global_offset_x
      - .offset:         256
        .size:           8
        .value_kind:     hidden_global_offset_y
      - .offset:         264
        .size:           8
        .value_kind:     hidden_global_offset_z
      - .offset:         272
        .size:           2
        .value_kind:     hidden_grid_dims
    .group_segment_fixed_size: 8768
    .kernarg_segment_align: 8
    .kernarg_segment_size: 464
    .language:       OpenCL C
    .language_version:
      - 2
      - 0
    .max_flat_workgroup_size: 256
    .name:           _ZL15flash_attn_tileILi112ELi112ELi2ELi8ELb0EEvPKcS1_S1_S1_S1_PKiPfP15HIP_vector_typeIfLj2EEffffjfiS5_IjLj3EEiiiiiiiiiiiliiliiiiil
    .private_segment_fixed_size: 0
    .sgpr_count:     60
    .sgpr_spill_count: 0
    .symbol:         _ZL15flash_attn_tileILi112ELi112ELi2ELi8ELb0EEvPKcS1_S1_S1_S1_PKiPfP15HIP_vector_typeIfLj2EEffffjfiS5_IjLj3EEiiiiiiiiiiiliiliiiiil.kd
    .uniform_work_group_size: 1
    .uses_dynamic_stack: false
    .vgpr_count:     119
    .vgpr_spill_count: 0
    .wavefront_size: 64
  - .agpr_count:     0
    .args:
      - .actual_access:  read_only
        .address_space:  global
        .offset:         0
        .size:           8
        .value_kind:     global_buffer
      - .actual_access:  write_only
        .address_space:  global
        .offset:         8
        .size:           8
        .value_kind:     global_buffer
      - .offset:         16
        .size:           4
        .value_kind:     by_value
      - .offset:         20
        .size:           4
        .value_kind:     by_value
      - .offset:         24
        .size:           4
        .value_kind:     by_value
      - .offset:         32
        .size:           4
        .value_kind:     hidden_block_count_x
      - .offset:         36
        .size:           4
        .value_kind:     hidden_block_count_y
      - .offset:         40
        .size:           4
        .value_kind:     hidden_block_count_z
      - .offset:         44
        .size:           2
        .value_kind:     hidden_group_size_x
      - .offset:         46
        .size:           2
        .value_kind:     hidden_group_size_y
      - .offset:         48
        .size:           2
        .value_kind:     hidden_group_size_z
      - .offset:         50
        .size:           2
        .value_kind:     hidden_remainder_x
      - .offset:         52
        .size:           2
        .value_kind:     hidden_remainder_y
      - .offset:         54
        .size:           2
        .value_kind:     hidden_remainder_z
      - .offset:         72
        .size:           8
        .value_kind:     hidden_global_offset_x
      - .offset:         80
        .size:           8
        .value_kind:     hidden_global_offset_y
      - .offset:         88
        .size:           8
        .value_kind:     hidden_global_offset_z
      - .offset:         96
        .size:           2
        .value_kind:     hidden_grid_dims
    .group_segment_fixed_size: 128
    .kernarg_segment_align: 8
    .kernarg_segment_size: 288
    .language:       OpenCL C
    .language_version:
      - 2
      - 0
    .max_flat_workgroup_size: 128
    .name:           _ZL25flash_attn_mask_to_KV_maxILi2EEvPK7__half2Piiii
    .private_segment_fixed_size: 0
    .sgpr_count:     28
    .sgpr_spill_count: 0
    .symbol:         _ZL25flash_attn_mask_to_KV_maxILi2EEvPK7__half2Piiii.kd
    .uniform_work_group_size: 1
    .uses_dynamic_stack: false
    .vgpr_count:     17
    .vgpr_spill_count: 0
    .wavefront_size: 64
  - .agpr_count:     0
    .args:
      - .address_space:  global
        .offset:         0
        .size:           8
        .value_kind:     global_buffer
      - .address_space:  global
        .offset:         8
        .size:           8
        .value_kind:     global_buffer
      - .offset:         16
        .size:           4
        .value_kind:     by_value
      - .offset:         20
        .size:           4
        .value_kind:     by_value
      - .offset:         24
        .size:           4
        .value_kind:     by_value
      - .offset:         28
        .size:           4
        .value_kind:     by_value
      - .offset:         32
        .size:           4
        .value_kind:     by_value
      - .offset:         36
        .size:           4
        .value_kind:     by_value
      - .offset:         40
        .size:           12
        .value_kind:     by_value
      - .offset:         52
        .size:           12
        .value_kind:     by_value
      - .offset:         64
        .size:           12
        .value_kind:     by_value
    .group_segment_fixed_size: 0
    .kernarg_segment_align: 8
    .kernarg_segment_size: 76
    .language:       OpenCL C
    .language_version:
      - 2
      - 0
    .max_flat_workgroup_size: 112
    .name:           _ZL33flash_attn_stream_k_fixup_uniformILi112ELi2ELi8EEvPfPK15HIP_vector_typeIfLj2EEiiiiiiS1_IjLj3EES5_S5_
    .private_segment_fixed_size: 0
    .sgpr_count:     26
    .sgpr_spill_count: 0
    .symbol:         _ZL33flash_attn_stream_k_fixup_uniformILi112ELi2ELi8EEvPfPK15HIP_vector_typeIfLj2EEiiiiiiS1_IjLj3EES5_S5_.kd
    .uniform_work_group_size: 1
    .uses_dynamic_stack: false
    .vgpr_count:     17
    .vgpr_spill_count: 0
    .wavefront_size: 64
  - .agpr_count:     0
    .args:
      - .address_space:  global
        .offset:         0
        .size:           8
        .value_kind:     global_buffer
      - .address_space:  global
        .offset:         8
        .size:           8
        .value_kind:     global_buffer
      - .offset:         16
        .size:           4
        .value_kind:     by_value
      - .offset:         20
        .size:           4
        .value_kind:     by_value
      - .offset:         24
        .size:           4
        .value_kind:     by_value
      - .offset:         28
        .size:           4
        .value_kind:     by_value
      - .offset:         32
        .size:           12
        .value_kind:     by_value
      - .offset:         44
        .size:           12
        .value_kind:     by_value
      - .offset:         56
        .size:           12
        .value_kind:     by_value
      - .offset:         68
        .size:           12
        .value_kind:     by_value
      - .offset:         80
        .size:           4
        .value_kind:     hidden_block_count_x
      - .offset:         84
        .size:           4
        .value_kind:     hidden_block_count_y
      - .offset:         88
        .size:           4
        .value_kind:     hidden_block_count_z
      - .offset:         92
        .size:           2
        .value_kind:     hidden_group_size_x
      - .offset:         94
        .size:           2
        .value_kind:     hidden_group_size_y
      - .offset:         96
        .size:           2
        .value_kind:     hidden_group_size_z
      - .offset:         98
        .size:           2
        .value_kind:     hidden_remainder_x
      - .offset:         100
        .size:           2
        .value_kind:     hidden_remainder_y
      - .offset:         102
        .size:           2
        .value_kind:     hidden_remainder_z
      - .offset:         120
        .size:           8
        .value_kind:     hidden_global_offset_x
      - .offset:         128
        .size:           8
        .value_kind:     hidden_global_offset_y
      - .offset:         136
        .size:           8
        .value_kind:     hidden_global_offset_z
      - .offset:         144
        .size:           2
        .value_kind:     hidden_grid_dims
    .group_segment_fixed_size: 0
    .kernarg_segment_align: 8
    .kernarg_segment_size: 336
    .language:       OpenCL C
    .language_version:
      - 2
      - 0
    .max_flat_workgroup_size: 112
    .name:           _ZL33flash_attn_stream_k_fixup_generalILi112ELi2ELi8EEvPfPK15HIP_vector_typeIfLj2EEiiiiS1_IjLj3EES5_S5_S5_
    .private_segment_fixed_size: 0
    .sgpr_count:     42
    .sgpr_spill_count: 0
    .symbol:         _ZL33flash_attn_stream_k_fixup_generalILi112ELi2ELi8EEvPfPK15HIP_vector_typeIfLj2EEiiiiS1_IjLj3EES5_S5_S5_.kd
    .uniform_work_group_size: 1
    .uses_dynamic_stack: false
    .vgpr_count:     18
    .vgpr_spill_count: 0
    .wavefront_size: 64
  - .agpr_count:     0
    .args:
      - .address_space:  global
        .offset:         0
        .size:           8
        .value_kind:     global_buffer
      - .address_space:  global
        .offset:         8
        .size:           8
        .value_kind:     global_buffer
      - .address_space:  global
        .offset:         16
        .size:           8
        .value_kind:     global_buffer
      - .address_space:  global
        .offset:         24
        .size:           8
        .value_kind:     global_buffer
      - .address_space:  global
        .offset:         32
        .size:           8
        .value_kind:     global_buffer
      - .address_space:  global
        .offset:         40
        .size:           8
        .value_kind:     global_buffer
      - .address_space:  global
        .offset:         48
        .size:           8
        .value_kind:     global_buffer
      - .address_space:  global
        .offset:         56
        .size:           8
        .value_kind:     global_buffer
      - .offset:         64
        .size:           4
        .value_kind:     by_value
      - .offset:         68
        .size:           4
        .value_kind:     by_value
      - .offset:         72
        .size:           4
        .value_kind:     by_value
      - .offset:         76
        .size:           4
        .value_kind:     by_value
      - .offset:         80
        .size:           4
        .value_kind:     by_value
      - .offset:         84
        .size:           4
        .value_kind:     by_value
      - .offset:         88
        .size:           4
        .value_kind:     by_value
      - .offset:         92
        .size:           12
        .value_kind:     by_value
      - .offset:         104
        .size:           4
        .value_kind:     by_value
      - .offset:         108
        .size:           4
        .value_kind:     by_value
      - .offset:         112
        .size:           4
        .value_kind:     by_value
      - .offset:         116
        .size:           4
        .value_kind:     by_value
      - .offset:         120
        .size:           4
        .value_kind:     by_value
      - .offset:         124
        .size:           4
        .value_kind:     by_value
      - .offset:         128
        .size:           4
        .value_kind:     by_value
      - .offset:         132
        .size:           4
        .value_kind:     by_value
      - .offset:         136
        .size:           4
        .value_kind:     by_value
      - .offset:         140
        .size:           4
        .value_kind:     by_value
      - .offset:         144
        .size:           4
        .value_kind:     by_value
      - .offset:         152
        .size:           8
        .value_kind:     by_value
      - .offset:         160
        .size:           4
        .value_kind:     by_value
      - .offset:         164
        .size:           4
        .value_kind:     by_value
      - .offset:         168
        .size:           8
        .value_kind:     by_value
      - .offset:         176
        .size:           4
        .value_kind:     by_value
      - .offset:         180
        .size:           4
        .value_kind:     by_value
      - .offset:         184
        .size:           4
        .value_kind:     by_value
      - .offset:         188
        .size:           4
        .value_kind:     by_value
      - .offset:         192
        .size:           4
        .value_kind:     by_value
      - .offset:         200
        .size:           8
        .value_kind:     by_value
      - .offset:         208
        .size:           4
        .value_kind:     hidden_block_count_x
      - .offset:         212
        .size:           4
        .value_kind:     hidden_block_count_y
      - .offset:         216
        .size:           4
        .value_kind:     hidden_block_count_z
      - .offset:         220
        .size:           2
        .value_kind:     hidden_group_size_x
      - .offset:         222
        .size:           2
        .value_kind:     hidden_group_size_y
      - .offset:         224
        .size:           2
        .value_kind:     hidden_group_size_z
      - .offset:         226
        .size:           2
        .value_kind:     hidden_remainder_x
      - .offset:         228
        .size:           2
        .value_kind:     hidden_remainder_y
      - .offset:         230
        .size:           2
        .value_kind:     hidden_remainder_z
      - .offset:         248
        .size:           8
        .value_kind:     hidden_global_offset_x
      - .offset:         256
        .size:           8
        .value_kind:     hidden_global_offset_y
      - .offset:         264
        .size:           8
        .value_kind:     hidden_global_offset_z
      - .offset:         272
        .size:           2
        .value_kind:     hidden_grid_dims
    .group_segment_fixed_size: 6464
    .kernarg_segment_align: 8
    .kernarg_segment_size: 464
    .language:       OpenCL C
    .language_version:
      - 2
      - 0
    .max_flat_workgroup_size: 256
    .name:           _ZL15flash_attn_tileILi112ELi112ELi1ELi8ELb0EEvPKcS1_S1_S1_S1_PKiPfP15HIP_vector_typeIfLj2EEffffjfiS5_IjLj3EEiiiiiiiiiiiliiliiiiil
    .private_segment_fixed_size: 0
    .sgpr_count:     57
    .sgpr_spill_count: 0
    .symbol:         _ZL15flash_attn_tileILi112ELi112ELi1ELi8ELb0EEvPKcS1_S1_S1_S1_PKiPfP15HIP_vector_typeIfLj2EEffffjfiS5_IjLj3EEiiiiiiiiiiiliiliiiiil.kd
    .uniform_work_group_size: 1
    .uses_dynamic_stack: false
    .vgpr_count:     95
    .vgpr_spill_count: 0
    .wavefront_size: 64
  - .agpr_count:     0
    .args:
      - .actual_access:  read_only
        .address_space:  global
        .offset:         0
        .size:           8
        .value_kind:     global_buffer
      - .actual_access:  write_only
        .address_space:  global
        .offset:         8
        .size:           8
        .value_kind:     global_buffer
      - .offset:         16
        .size:           4
        .value_kind:     by_value
      - .offset:         20
        .size:           4
        .value_kind:     by_value
      - .offset:         24
        .size:           4
        .value_kind:     by_value
      - .offset:         32
        .size:           4
        .value_kind:     hidden_block_count_x
      - .offset:         36
        .size:           4
        .value_kind:     hidden_block_count_y
      - .offset:         40
        .size:           4
        .value_kind:     hidden_block_count_z
      - .offset:         44
        .size:           2
        .value_kind:     hidden_group_size_x
      - .offset:         46
        .size:           2
        .value_kind:     hidden_group_size_y
      - .offset:         48
        .size:           2
        .value_kind:     hidden_group_size_z
      - .offset:         50
        .size:           2
        .value_kind:     hidden_remainder_x
      - .offset:         52
        .size:           2
        .value_kind:     hidden_remainder_y
      - .offset:         54
        .size:           2
        .value_kind:     hidden_remainder_z
      - .offset:         72
        .size:           8
        .value_kind:     hidden_global_offset_x
      - .offset:         80
        .size:           8
        .value_kind:     hidden_global_offset_y
      - .offset:         88
        .size:           8
        .value_kind:     hidden_global_offset_z
      - .offset:         96
        .size:           2
        .value_kind:     hidden_grid_dims
    .group_segment_fixed_size: 128
    .kernarg_segment_align: 8
    .kernarg_segment_size: 288
    .language:       OpenCL C
    .language_version:
      - 2
      - 0
    .max_flat_workgroup_size: 128
    .name:           _ZL25flash_attn_mask_to_KV_maxILi1EEvPK7__half2Piiii
    .private_segment_fixed_size: 0
    .sgpr_count:     26
    .sgpr_spill_count: 0
    .symbol:         _ZL25flash_attn_mask_to_KV_maxILi1EEvPK7__half2Piiii.kd
    .uniform_work_group_size: 1
    .uses_dynamic_stack: false
    .vgpr_count:     17
    .vgpr_spill_count: 0
    .wavefront_size: 64
  - .agpr_count:     0
    .args:
      - .address_space:  global
        .offset:         0
        .size:           8
        .value_kind:     global_buffer
      - .address_space:  global
        .offset:         8
        .size:           8
        .value_kind:     global_buffer
      - .offset:         16
        .size:           4
        .value_kind:     by_value
      - .offset:         20
        .size:           4
        .value_kind:     by_value
      - .offset:         24
        .size:           4
        .value_kind:     by_value
      - .offset:         28
        .size:           4
        .value_kind:     by_value
      - .offset:         32
        .size:           4
        .value_kind:     by_value
      - .offset:         36
        .size:           4
        .value_kind:     by_value
      - .offset:         40
        .size:           12
        .value_kind:     by_value
      - .offset:         52
        .size:           12
        .value_kind:     by_value
      - .offset:         64
        .size:           12
        .value_kind:     by_value
    .group_segment_fixed_size: 0
    .kernarg_segment_align: 8
    .kernarg_segment_size: 76
    .language:       OpenCL C
    .language_version:
      - 2
      - 0
    .max_flat_workgroup_size: 112
    .name:           _ZL33flash_attn_stream_k_fixup_uniformILi112ELi1ELi8EEvPfPK15HIP_vector_typeIfLj2EEiiiiiiS1_IjLj3EES5_S5_
    .private_segment_fixed_size: 0
    .sgpr_count:     26
    .sgpr_spill_count: 0
    .symbol:         _ZL33flash_attn_stream_k_fixup_uniformILi112ELi1ELi8EEvPfPK15HIP_vector_typeIfLj2EEiiiiiiS1_IjLj3EES5_S5_.kd
    .uniform_work_group_size: 1
    .uses_dynamic_stack: false
    .vgpr_count:     17
    .vgpr_spill_count: 0
    .wavefront_size: 64
  - .agpr_count:     0
    .args:
      - .address_space:  global
        .offset:         0
        .size:           8
        .value_kind:     global_buffer
      - .address_space:  global
        .offset:         8
        .size:           8
        .value_kind:     global_buffer
      - .offset:         16
        .size:           4
        .value_kind:     by_value
      - .offset:         20
        .size:           4
        .value_kind:     by_value
      - .offset:         24
        .size:           4
        .value_kind:     by_value
      - .offset:         28
        .size:           4
        .value_kind:     by_value
      - .offset:         32
        .size:           12
        .value_kind:     by_value
      - .offset:         44
        .size:           12
        .value_kind:     by_value
      - .offset:         56
        .size:           12
        .value_kind:     by_value
      - .offset:         68
        .size:           12
        .value_kind:     by_value
      - .offset:         80
        .size:           4
        .value_kind:     hidden_block_count_x
      - .offset:         84
        .size:           4
        .value_kind:     hidden_block_count_y
      - .offset:         88
        .size:           4
        .value_kind:     hidden_block_count_z
      - .offset:         92
        .size:           2
        .value_kind:     hidden_group_size_x
      - .offset:         94
        .size:           2
        .value_kind:     hidden_group_size_y
      - .offset:         96
        .size:           2
        .value_kind:     hidden_group_size_z
      - .offset:         98
        .size:           2
        .value_kind:     hidden_remainder_x
      - .offset:         100
        .size:           2
        .value_kind:     hidden_remainder_y
      - .offset:         102
        .size:           2
        .value_kind:     hidden_remainder_z
      - .offset:         120
        .size:           8
        .value_kind:     hidden_global_offset_x
      - .offset:         128
        .size:           8
        .value_kind:     hidden_global_offset_y
      - .offset:         136
        .size:           8
        .value_kind:     hidden_global_offset_z
      - .offset:         144
        .size:           2
        .value_kind:     hidden_grid_dims
    .group_segment_fixed_size: 0
    .kernarg_segment_align: 8
    .kernarg_segment_size: 336
    .language:       OpenCL C
    .language_version:
      - 2
      - 0
    .max_flat_workgroup_size: 112
    .name:           _ZL33flash_attn_stream_k_fixup_generalILi112ELi1ELi8EEvPfPK15HIP_vector_typeIfLj2EEiiiiS1_IjLj3EES5_S5_S5_
    .private_segment_fixed_size: 0
    .sgpr_count:     43
    .sgpr_spill_count: 0
    .symbol:         _ZL33flash_attn_stream_k_fixup_generalILi112ELi1ELi8EEvPfPK15HIP_vector_typeIfLj2EEiiiiS1_IjLj3EES5_S5_S5_.kd
    .uniform_work_group_size: 1
    .uses_dynamic_stack: false
    .vgpr_count:     18
    .vgpr_spill_count: 0
    .wavefront_size: 64
  - .agpr_count:     0
    .args:
      - .address_space:  global
        .offset:         0
        .size:           8
        .value_kind:     global_buffer
      - .address_space:  global
        .offset:         8
        .size:           8
        .value_kind:     global_buffer
      - .address_space:  global
        .offset:         16
        .size:           8
        .value_kind:     global_buffer
      - .address_space:  global
        .offset:         24
        .size:           8
        .value_kind:     global_buffer
      - .address_space:  global
        .offset:         32
        .size:           8
        .value_kind:     global_buffer
      - .address_space:  global
        .offset:         40
        .size:           8
        .value_kind:     global_buffer
      - .address_space:  global
        .offset:         48
        .size:           8
        .value_kind:     global_buffer
      - .address_space:  global
        .offset:         56
        .size:           8
        .value_kind:     global_buffer
      - .offset:         64
        .size:           4
        .value_kind:     by_value
      - .offset:         68
        .size:           4
        .value_kind:     by_value
      - .offset:         72
        .size:           4
        .value_kind:     by_value
      - .offset:         76
        .size:           4
        .value_kind:     by_value
      - .offset:         80
        .size:           4
        .value_kind:     by_value
      - .offset:         84
        .size:           4
        .value_kind:     by_value
      - .offset:         88
        .size:           4
        .value_kind:     by_value
      - .offset:         92
        .size:           12
        .value_kind:     by_value
      - .offset:         104
        .size:           4
        .value_kind:     by_value
      - .offset:         108
        .size:           4
        .value_kind:     by_value
      - .offset:         112
        .size:           4
        .value_kind:     by_value
      - .offset:         116
        .size:           4
        .value_kind:     by_value
      - .offset:         120
        .size:           4
        .value_kind:     by_value
      - .offset:         124
        .size:           4
        .value_kind:     by_value
      - .offset:         128
        .size:           4
        .value_kind:     by_value
      - .offset:         132
        .size:           4
        .value_kind:     by_value
      - .offset:         136
        .size:           4
        .value_kind:     by_value
      - .offset:         140
        .size:           4
        .value_kind:     by_value
      - .offset:         144
        .size:           4
        .value_kind:     by_value
      - .offset:         152
        .size:           8
        .value_kind:     by_value
      - .offset:         160
        .size:           4
        .value_kind:     by_value
      - .offset:         164
        .size:           4
        .value_kind:     by_value
      - .offset:         168
        .size:           8
        .value_kind:     by_value
      - .offset:         176
        .size:           4
        .value_kind:     by_value
      - .offset:         180
        .size:           4
        .value_kind:     by_value
      - .offset:         184
        .size:           4
        .value_kind:     by_value
      - .offset:         188
        .size:           4
        .value_kind:     by_value
      - .offset:         192
        .size:           4
        .value_kind:     by_value
      - .offset:         200
        .size:           8
        .value_kind:     by_value
      - .offset:         208
        .size:           4
        .value_kind:     hidden_block_count_x
      - .offset:         212
        .size:           4
        .value_kind:     hidden_block_count_y
      - .offset:         216
        .size:           4
        .value_kind:     hidden_block_count_z
      - .offset:         220
        .size:           2
        .value_kind:     hidden_group_size_x
      - .offset:         222
        .size:           2
        .value_kind:     hidden_group_size_y
      - .offset:         224
        .size:           2
        .value_kind:     hidden_group_size_z
      - .offset:         226
        .size:           2
        .value_kind:     hidden_remainder_x
      - .offset:         228
        .size:           2
        .value_kind:     hidden_remainder_y
      - .offset:         230
        .size:           2
        .value_kind:     hidden_remainder_z
      - .offset:         248
        .size:           8
        .value_kind:     hidden_global_offset_x
      - .offset:         256
        .size:           8
        .value_kind:     hidden_global_offset_y
      - .offset:         264
        .size:           8
        .value_kind:     hidden_global_offset_z
      - .offset:         272
        .size:           2
        .value_kind:     hidden_grid_dims
    .group_segment_fixed_size: 22592
    .kernarg_segment_align: 8
    .kernarg_segment_size: 464
    .language:       OpenCL C
    .language_version:
      - 2
      - 0
    .max_flat_workgroup_size: 256
    .name:           _ZL15flash_attn_tileILi112ELi112ELi16ELi4ELb0EEvPKcS1_S1_S1_S1_PKiPfP15HIP_vector_typeIfLj2EEffffjfiS5_IjLj3EEiiiiiiiiiiiliiliiiiil
    .private_segment_fixed_size: 24
    .sgpr_count:     85
    .sgpr_spill_count: 0
    .symbol:         _ZL15flash_attn_tileILi112ELi112ELi16ELi4ELb0EEvPKcS1_S1_S1_S1_PKiPfP15HIP_vector_typeIfLj2EEffffjfiS5_IjLj3EEiiiiiiiiiiiliiliiiiil.kd
    .uniform_work_group_size: 1
    .uses_dynamic_stack: false
    .vgpr_count:     256
    .vgpr_spill_count: 5
    .wavefront_size: 64
  - .agpr_count:     0
    .args:
      - .actual_access:  read_only
        .address_space:  global
        .offset:         0
        .size:           8
        .value_kind:     global_buffer
      - .actual_access:  write_only
        .address_space:  global
        .offset:         8
        .size:           8
        .value_kind:     global_buffer
      - .offset:         16
        .size:           4
        .value_kind:     by_value
      - .offset:         20
        .size:           4
        .value_kind:     by_value
      - .offset:         24
        .size:           4
        .value_kind:     by_value
      - .offset:         32
        .size:           4
        .value_kind:     hidden_block_count_x
      - .offset:         36
        .size:           4
        .value_kind:     hidden_block_count_y
      - .offset:         40
        .size:           4
        .value_kind:     hidden_block_count_z
      - .offset:         44
        .size:           2
        .value_kind:     hidden_group_size_x
      - .offset:         46
        .size:           2
        .value_kind:     hidden_group_size_y
      - .offset:         48
        .size:           2
        .value_kind:     hidden_group_size_z
      - .offset:         50
        .size:           2
        .value_kind:     hidden_remainder_x
      - .offset:         52
        .size:           2
        .value_kind:     hidden_remainder_y
      - .offset:         54
        .size:           2
        .value_kind:     hidden_remainder_z
      - .offset:         72
        .size:           8
        .value_kind:     hidden_global_offset_x
      - .offset:         80
        .size:           8
        .value_kind:     hidden_global_offset_y
      - .offset:         88
        .size:           8
        .value_kind:     hidden_global_offset_z
      - .offset:         96
        .size:           2
        .value_kind:     hidden_grid_dims
    .group_segment_fixed_size: 128
    .kernarg_segment_align: 8
    .kernarg_segment_size: 288
    .language:       OpenCL C
    .language_version:
      - 2
      - 0
    .max_flat_workgroup_size: 128
    .name:           _ZL25flash_attn_mask_to_KV_maxILi16EEvPK7__half2Piiii
    .private_segment_fixed_size: 0
    .sgpr_count:     84
    .sgpr_spill_count: 0
    .symbol:         _ZL25flash_attn_mask_to_KV_maxILi16EEvPK7__half2Piiii.kd
    .uniform_work_group_size: 1
    .uses_dynamic_stack: false
    .vgpr_count:     12
    .vgpr_spill_count: 0
    .wavefront_size: 64
  - .agpr_count:     0
    .args:
      - .address_space:  global
        .offset:         0
        .size:           8
        .value_kind:     global_buffer
      - .address_space:  global
        .offset:         8
        .size:           8
        .value_kind:     global_buffer
      - .offset:         16
        .size:           4
        .value_kind:     by_value
      - .offset:         20
        .size:           4
        .value_kind:     by_value
      - .offset:         24
        .size:           4
        .value_kind:     by_value
      - .offset:         28
        .size:           4
        .value_kind:     by_value
      - .offset:         32
        .size:           4
        .value_kind:     by_value
      - .offset:         36
        .size:           4
        .value_kind:     by_value
      - .offset:         40
        .size:           12
        .value_kind:     by_value
      - .offset:         52
        .size:           12
        .value_kind:     by_value
      - .offset:         64
        .size:           12
        .value_kind:     by_value
    .group_segment_fixed_size: 0
    .kernarg_segment_align: 8
    .kernarg_segment_size: 76
    .language:       OpenCL C
    .language_version:
      - 2
      - 0
    .max_flat_workgroup_size: 112
    .name:           _ZL33flash_attn_stream_k_fixup_uniformILi112ELi16ELi4EEvPfPK15HIP_vector_typeIfLj2EEiiiiiiS1_IjLj3EES5_S5_
    .private_segment_fixed_size: 0
    .sgpr_count:     26
    .sgpr_spill_count: 0
    .symbol:         _ZL33flash_attn_stream_k_fixup_uniformILi112ELi16ELi4EEvPfPK15HIP_vector_typeIfLj2EEiiiiiiS1_IjLj3EES5_S5_.kd
    .uniform_work_group_size: 1
    .uses_dynamic_stack: false
    .vgpr_count:     17
    .vgpr_spill_count: 0
    .wavefront_size: 64
  - .agpr_count:     0
    .args:
      - .address_space:  global
        .offset:         0
        .size:           8
        .value_kind:     global_buffer
      - .address_space:  global
        .offset:         8
        .size:           8
        .value_kind:     global_buffer
      - .offset:         16
        .size:           4
        .value_kind:     by_value
      - .offset:         20
        .size:           4
        .value_kind:     by_value
      - .offset:         24
        .size:           4
        .value_kind:     by_value
      - .offset:         28
        .size:           4
        .value_kind:     by_value
      - .offset:         32
        .size:           12
        .value_kind:     by_value
      - .offset:         44
        .size:           12
        .value_kind:     by_value
      - .offset:         56
        .size:           12
        .value_kind:     by_value
      - .offset:         68
        .size:           12
        .value_kind:     by_value
      - .offset:         80
        .size:           4
        .value_kind:     hidden_block_count_x
      - .offset:         84
        .size:           4
        .value_kind:     hidden_block_count_y
      - .offset:         88
        .size:           4
        .value_kind:     hidden_block_count_z
      - .offset:         92
        .size:           2
        .value_kind:     hidden_group_size_x
      - .offset:         94
        .size:           2
        .value_kind:     hidden_group_size_y
      - .offset:         96
        .size:           2
        .value_kind:     hidden_group_size_z
      - .offset:         98
        .size:           2
        .value_kind:     hidden_remainder_x
      - .offset:         100
        .size:           2
        .value_kind:     hidden_remainder_y
      - .offset:         102
        .size:           2
        .value_kind:     hidden_remainder_z
      - .offset:         120
        .size:           8
        .value_kind:     hidden_global_offset_x
      - .offset:         128
        .size:           8
        .value_kind:     hidden_global_offset_y
      - .offset:         136
        .size:           8
        .value_kind:     hidden_global_offset_z
      - .offset:         144
        .size:           2
        .value_kind:     hidden_grid_dims
    .group_segment_fixed_size: 0
    .kernarg_segment_align: 8
    .kernarg_segment_size: 336
    .language:       OpenCL C
    .language_version:
      - 2
      - 0
    .max_flat_workgroup_size: 112
    .name:           _ZL33flash_attn_stream_k_fixup_generalILi112ELi16ELi4EEvPfPK15HIP_vector_typeIfLj2EEiiiiS1_IjLj3EES5_S5_S5_
    .private_segment_fixed_size: 0
    .sgpr_count:     42
    .sgpr_spill_count: 0
    .symbol:         _ZL33flash_attn_stream_k_fixup_generalILi112ELi16ELi4EEvPfPK15HIP_vector_typeIfLj2EEiiiiS1_IjLj3EES5_S5_S5_.kd
    .uniform_work_group_size: 1
    .uses_dynamic_stack: false
    .vgpr_count:     18
    .vgpr_spill_count: 0
    .wavefront_size: 64
  - .agpr_count:     0
    .args:
      - .address_space:  global
        .offset:         0
        .size:           8
        .value_kind:     global_buffer
      - .address_space:  global
        .offset:         8
        .size:           8
        .value_kind:     global_buffer
      - .address_space:  global
        .offset:         16
        .size:           8
        .value_kind:     global_buffer
      - .address_space:  global
        .offset:         24
        .size:           8
        .value_kind:     global_buffer
      - .address_space:  global
        .offset:         32
        .size:           8
        .value_kind:     global_buffer
      - .address_space:  global
        .offset:         40
        .size:           8
        .value_kind:     global_buffer
      - .address_space:  global
        .offset:         48
        .size:           8
        .value_kind:     global_buffer
      - .address_space:  global
        .offset:         56
        .size:           8
        .value_kind:     global_buffer
      - .offset:         64
        .size:           4
        .value_kind:     by_value
      - .offset:         68
        .size:           4
        .value_kind:     by_value
      - .offset:         72
        .size:           4
        .value_kind:     by_value
      - .offset:         76
        .size:           4
        .value_kind:     by_value
      - .offset:         80
        .size:           4
        .value_kind:     by_value
      - .offset:         84
        .size:           4
        .value_kind:     by_value
      - .offset:         88
        .size:           4
        .value_kind:     by_value
      - .offset:         92
        .size:           12
        .value_kind:     by_value
      - .offset:         104
        .size:           4
        .value_kind:     by_value
      - .offset:         108
        .size:           4
        .value_kind:     by_value
      - .offset:         112
        .size:           4
        .value_kind:     by_value
      - .offset:         116
        .size:           4
        .value_kind:     by_value
      - .offset:         120
        .size:           4
        .value_kind:     by_value
      - .offset:         124
        .size:           4
        .value_kind:     by_value
      - .offset:         128
        .size:           4
        .value_kind:     by_value
      - .offset:         132
        .size:           4
        .value_kind:     by_value
      - .offset:         136
        .size:           4
        .value_kind:     by_value
      - .offset:         140
        .size:           4
        .value_kind:     by_value
      - .offset:         144
        .size:           4
        .value_kind:     by_value
      - .offset:         152
        .size:           8
        .value_kind:     by_value
      - .offset:         160
        .size:           4
        .value_kind:     by_value
      - .offset:         164
        .size:           4
        .value_kind:     by_value
      - .offset:         168
        .size:           8
        .value_kind:     by_value
      - .offset:         176
        .size:           4
        .value_kind:     by_value
      - .offset:         180
        .size:           4
        .value_kind:     by_value
      - .offset:         184
        .size:           4
        .value_kind:     by_value
      - .offset:         188
        .size:           4
        .value_kind:     by_value
      - .offset:         192
        .size:           4
        .value_kind:     by_value
      - .offset:         200
        .size:           8
        .value_kind:     by_value
      - .offset:         208
        .size:           4
        .value_kind:     hidden_block_count_x
      - .offset:         212
        .size:           4
        .value_kind:     hidden_block_count_y
      - .offset:         216
        .size:           4
        .value_kind:     hidden_block_count_z
      - .offset:         220
        .size:           2
        .value_kind:     hidden_group_size_x
      - .offset:         222
        .size:           2
        .value_kind:     hidden_group_size_y
      - .offset:         224
        .size:           2
        .value_kind:     hidden_group_size_z
      - .offset:         226
        .size:           2
        .value_kind:     hidden_remainder_x
      - .offset:         228
        .size:           2
        .value_kind:     hidden_remainder_y
      - .offset:         230
        .size:           2
        .value_kind:     hidden_remainder_z
      - .offset:         248
        .size:           8
        .value_kind:     hidden_global_offset_x
      - .offset:         256
        .size:           8
        .value_kind:     hidden_global_offset_y
      - .offset:         264
        .size:           8
        .value_kind:     hidden_global_offset_z
      - .offset:         272
        .size:           2
        .value_kind:     hidden_grid_dims
    .group_segment_fixed_size: 13376
    .kernarg_segment_align: 8
    .kernarg_segment_size: 464
    .language:       OpenCL C
    .language_version:
      - 2
      - 0
    .max_flat_workgroup_size: 256
    .name:           _ZL15flash_attn_tileILi112ELi112ELi8ELi4ELb0EEvPKcS1_S1_S1_S1_PKiPfP15HIP_vector_typeIfLj2EEffffjfiS5_IjLj3EEiiiiiiiiiiiliiliiiiil
    .private_segment_fixed_size: 0
    .sgpr_count:     68
    .sgpr_spill_count: 0
    .symbol:         _ZL15flash_attn_tileILi112ELi112ELi8ELi4ELb0EEvPKcS1_S1_S1_S1_PKiPfP15HIP_vector_typeIfLj2EEffffjfiS5_IjLj3EEiiiiiiiiiiiliiliiiiil.kd
    .uniform_work_group_size: 1
    .uses_dynamic_stack: false
    .vgpr_count:     166
    .vgpr_spill_count: 0
    .wavefront_size: 64
  - .agpr_count:     0
    .args:
      - .address_space:  global
        .offset:         0
        .size:           8
        .value_kind:     global_buffer
      - .address_space:  global
        .offset:         8
        .size:           8
        .value_kind:     global_buffer
      - .offset:         16
        .size:           4
        .value_kind:     by_value
      - .offset:         20
        .size:           4
        .value_kind:     by_value
      - .offset:         24
        .size:           4
        .value_kind:     by_value
      - .offset:         28
        .size:           4
        .value_kind:     by_value
      - .offset:         32
        .size:           4
        .value_kind:     by_value
      - .offset:         36
        .size:           4
        .value_kind:     by_value
      - .offset:         40
        .size:           12
        .value_kind:     by_value
      - .offset:         52
        .size:           12
        .value_kind:     by_value
      - .offset:         64
        .size:           12
        .value_kind:     by_value
    .group_segment_fixed_size: 0
    .kernarg_segment_align: 8
    .kernarg_segment_size: 76
    .language:       OpenCL C
    .language_version:
      - 2
      - 0
    .max_flat_workgroup_size: 112
    .name:           _ZL33flash_attn_stream_k_fixup_uniformILi112ELi8ELi4EEvPfPK15HIP_vector_typeIfLj2EEiiiiiiS1_IjLj3EES5_S5_
    .private_segment_fixed_size: 0
    .sgpr_count:     26
    .sgpr_spill_count: 0
    .symbol:         _ZL33flash_attn_stream_k_fixup_uniformILi112ELi8ELi4EEvPfPK15HIP_vector_typeIfLj2EEiiiiiiS1_IjLj3EES5_S5_.kd
    .uniform_work_group_size: 1
    .uses_dynamic_stack: false
    .vgpr_count:     17
    .vgpr_spill_count: 0
    .wavefront_size: 64
  - .agpr_count:     0
    .args:
      - .address_space:  global
        .offset:         0
        .size:           8
        .value_kind:     global_buffer
      - .address_space:  global
        .offset:         8
        .size:           8
        .value_kind:     global_buffer
      - .offset:         16
        .size:           4
        .value_kind:     by_value
      - .offset:         20
        .size:           4
        .value_kind:     by_value
      - .offset:         24
        .size:           4
        .value_kind:     by_value
      - .offset:         28
        .size:           4
        .value_kind:     by_value
      - .offset:         32
        .size:           12
        .value_kind:     by_value
      - .offset:         44
        .size:           12
        .value_kind:     by_value
      - .offset:         56
        .size:           12
        .value_kind:     by_value
      - .offset:         68
        .size:           12
        .value_kind:     by_value
      - .offset:         80
        .size:           4
        .value_kind:     hidden_block_count_x
      - .offset:         84
        .size:           4
        .value_kind:     hidden_block_count_y
      - .offset:         88
        .size:           4
        .value_kind:     hidden_block_count_z
      - .offset:         92
        .size:           2
        .value_kind:     hidden_group_size_x
      - .offset:         94
        .size:           2
        .value_kind:     hidden_group_size_y
      - .offset:         96
        .size:           2
        .value_kind:     hidden_group_size_z
      - .offset:         98
        .size:           2
        .value_kind:     hidden_remainder_x
      - .offset:         100
        .size:           2
        .value_kind:     hidden_remainder_y
      - .offset:         102
        .size:           2
        .value_kind:     hidden_remainder_z
      - .offset:         120
        .size:           8
        .value_kind:     hidden_global_offset_x
      - .offset:         128
        .size:           8
        .value_kind:     hidden_global_offset_y
      - .offset:         136
        .size:           8
        .value_kind:     hidden_global_offset_z
      - .offset:         144
        .size:           2
        .value_kind:     hidden_grid_dims
    .group_segment_fixed_size: 0
    .kernarg_segment_align: 8
    .kernarg_segment_size: 336
    .language:       OpenCL C
    .language_version:
      - 2
      - 0
    .max_flat_workgroup_size: 112
    .name:           _ZL33flash_attn_stream_k_fixup_generalILi112ELi8ELi4EEvPfPK15HIP_vector_typeIfLj2EEiiiiS1_IjLj3EES5_S5_S5_
    .private_segment_fixed_size: 0
    .sgpr_count:     42
    .sgpr_spill_count: 0
    .symbol:         _ZL33flash_attn_stream_k_fixup_generalILi112ELi8ELi4EEvPfPK15HIP_vector_typeIfLj2EEiiiiS1_IjLj3EES5_S5_S5_.kd
    .uniform_work_group_size: 1
    .uses_dynamic_stack: false
    .vgpr_count:     18
    .vgpr_spill_count: 0
    .wavefront_size: 64
  - .agpr_count:     0
    .args:
      - .address_space:  global
        .offset:         0
        .size:           8
        .value_kind:     global_buffer
      - .address_space:  global
        .offset:         8
        .size:           8
        .value_kind:     global_buffer
      - .address_space:  global
        .offset:         16
        .size:           8
        .value_kind:     global_buffer
      - .address_space:  global
        .offset:         24
        .size:           8
        .value_kind:     global_buffer
      - .address_space:  global
        .offset:         32
        .size:           8
        .value_kind:     global_buffer
      - .address_space:  global
        .offset:         40
        .size:           8
        .value_kind:     global_buffer
      - .address_space:  global
        .offset:         48
        .size:           8
        .value_kind:     global_buffer
      - .address_space:  global
        .offset:         56
        .size:           8
        .value_kind:     global_buffer
      - .offset:         64
        .size:           4
        .value_kind:     by_value
      - .offset:         68
        .size:           4
        .value_kind:     by_value
      - .offset:         72
        .size:           4
        .value_kind:     by_value
      - .offset:         76
        .size:           4
        .value_kind:     by_value
      - .offset:         80
        .size:           4
        .value_kind:     by_value
      - .offset:         84
        .size:           4
        .value_kind:     by_value
      - .offset:         88
        .size:           4
        .value_kind:     by_value
      - .offset:         92
        .size:           12
        .value_kind:     by_value
      - .offset:         104
        .size:           4
        .value_kind:     by_value
      - .offset:         108
        .size:           4
        .value_kind:     by_value
      - .offset:         112
        .size:           4
        .value_kind:     by_value
      - .offset:         116
        .size:           4
        .value_kind:     by_value
      - .offset:         120
        .size:           4
        .value_kind:     by_value
      - .offset:         124
        .size:           4
        .value_kind:     by_value
      - .offset:         128
        .size:           4
        .value_kind:     by_value
      - .offset:         132
        .size:           4
        .value_kind:     by_value
      - .offset:         136
        .size:           4
        .value_kind:     by_value
      - .offset:         140
        .size:           4
        .value_kind:     by_value
      - .offset:         144
        .size:           4
        .value_kind:     by_value
      - .offset:         152
        .size:           8
        .value_kind:     by_value
      - .offset:         160
        .size:           4
        .value_kind:     by_value
      - .offset:         164
        .size:           4
        .value_kind:     by_value
      - .offset:         168
        .size:           8
        .value_kind:     by_value
      - .offset:         176
        .size:           4
        .value_kind:     by_value
      - .offset:         180
        .size:           4
        .value_kind:     by_value
      - .offset:         184
        .size:           4
        .value_kind:     by_value
      - .offset:         188
        .size:           4
        .value_kind:     by_value
      - .offset:         192
        .size:           4
        .value_kind:     by_value
      - .offset:         200
        .size:           8
        .value_kind:     by_value
      - .offset:         208
        .size:           4
        .value_kind:     hidden_block_count_x
      - .offset:         212
        .size:           4
        .value_kind:     hidden_block_count_y
      - .offset:         216
        .size:           4
        .value_kind:     hidden_block_count_z
      - .offset:         220
        .size:           2
        .value_kind:     hidden_group_size_x
      - .offset:         222
        .size:           2
        .value_kind:     hidden_group_size_y
      - .offset:         224
        .size:           2
        .value_kind:     hidden_group_size_z
      - .offset:         226
        .size:           2
        .value_kind:     hidden_remainder_x
      - .offset:         228
        .size:           2
        .value_kind:     hidden_remainder_y
      - .offset:         230
        .size:           2
        .value_kind:     hidden_remainder_z
      - .offset:         248
        .size:           8
        .value_kind:     hidden_global_offset_x
      - .offset:         256
        .size:           8
        .value_kind:     hidden_global_offset_y
      - .offset:         264
        .size:           8
        .value_kind:     hidden_global_offset_z
      - .offset:         272
        .size:           2
        .value_kind:     hidden_grid_dims
    .group_segment_fixed_size: 8768
    .kernarg_segment_align: 8
    .kernarg_segment_size: 464
    .language:       OpenCL C
    .language_version:
      - 2
      - 0
    .max_flat_workgroup_size: 256
    .name:           _ZL15flash_attn_tileILi112ELi112ELi4ELi4ELb0EEvPKcS1_S1_S1_S1_PKiPfP15HIP_vector_typeIfLj2EEffffjfiS5_IjLj3EEiiiiiiiiiiiliiliiiiil
    .private_segment_fixed_size: 0
    .sgpr_count:     60
    .sgpr_spill_count: 0
    .symbol:         _ZL15flash_attn_tileILi112ELi112ELi4ELi4ELb0EEvPKcS1_S1_S1_S1_PKiPfP15HIP_vector_typeIfLj2EEffffjfiS5_IjLj3EEiiiiiiiiiiiliiliiiiil.kd
    .uniform_work_group_size: 1
    .uses_dynamic_stack: false
    .vgpr_count:     119
    .vgpr_spill_count: 0
    .wavefront_size: 64
  - .agpr_count:     0
    .args:
      - .address_space:  global
        .offset:         0
        .size:           8
        .value_kind:     global_buffer
      - .address_space:  global
        .offset:         8
        .size:           8
        .value_kind:     global_buffer
      - .offset:         16
        .size:           4
        .value_kind:     by_value
      - .offset:         20
        .size:           4
        .value_kind:     by_value
      - .offset:         24
        .size:           4
        .value_kind:     by_value
      - .offset:         28
        .size:           4
        .value_kind:     by_value
      - .offset:         32
        .size:           4
        .value_kind:     by_value
      - .offset:         36
        .size:           4
        .value_kind:     by_value
      - .offset:         40
        .size:           12
        .value_kind:     by_value
      - .offset:         52
        .size:           12
        .value_kind:     by_value
      - .offset:         64
        .size:           12
        .value_kind:     by_value
    .group_segment_fixed_size: 0
    .kernarg_segment_align: 8
    .kernarg_segment_size: 76
    .language:       OpenCL C
    .language_version:
      - 2
      - 0
    .max_flat_workgroup_size: 112
    .name:           _ZL33flash_attn_stream_k_fixup_uniformILi112ELi4ELi4EEvPfPK15HIP_vector_typeIfLj2EEiiiiiiS1_IjLj3EES5_S5_
    .private_segment_fixed_size: 0
    .sgpr_count:     26
    .sgpr_spill_count: 0
    .symbol:         _ZL33flash_attn_stream_k_fixup_uniformILi112ELi4ELi4EEvPfPK15HIP_vector_typeIfLj2EEiiiiiiS1_IjLj3EES5_S5_.kd
    .uniform_work_group_size: 1
    .uses_dynamic_stack: false
    .vgpr_count:     17
    .vgpr_spill_count: 0
    .wavefront_size: 64
  - .agpr_count:     0
    .args:
      - .address_space:  global
        .offset:         0
        .size:           8
        .value_kind:     global_buffer
      - .address_space:  global
        .offset:         8
        .size:           8
        .value_kind:     global_buffer
      - .offset:         16
        .size:           4
        .value_kind:     by_value
      - .offset:         20
        .size:           4
        .value_kind:     by_value
      - .offset:         24
        .size:           4
        .value_kind:     by_value
      - .offset:         28
        .size:           4
        .value_kind:     by_value
      - .offset:         32
        .size:           12
        .value_kind:     by_value
      - .offset:         44
        .size:           12
        .value_kind:     by_value
      - .offset:         56
        .size:           12
        .value_kind:     by_value
      - .offset:         68
        .size:           12
        .value_kind:     by_value
      - .offset:         80
        .size:           4
        .value_kind:     hidden_block_count_x
      - .offset:         84
        .size:           4
        .value_kind:     hidden_block_count_y
      - .offset:         88
        .size:           4
        .value_kind:     hidden_block_count_z
      - .offset:         92
        .size:           2
        .value_kind:     hidden_group_size_x
      - .offset:         94
        .size:           2
        .value_kind:     hidden_group_size_y
      - .offset:         96
        .size:           2
        .value_kind:     hidden_group_size_z
      - .offset:         98
        .size:           2
        .value_kind:     hidden_remainder_x
      - .offset:         100
        .size:           2
        .value_kind:     hidden_remainder_y
      - .offset:         102
        .size:           2
        .value_kind:     hidden_remainder_z
      - .offset:         120
        .size:           8
        .value_kind:     hidden_global_offset_x
      - .offset:         128
        .size:           8
        .value_kind:     hidden_global_offset_y
      - .offset:         136
        .size:           8
        .value_kind:     hidden_global_offset_z
      - .offset:         144
        .size:           2
        .value_kind:     hidden_grid_dims
    .group_segment_fixed_size: 0
    .kernarg_segment_align: 8
    .kernarg_segment_size: 336
    .language:       OpenCL C
    .language_version:
      - 2
      - 0
    .max_flat_workgroup_size: 112
    .name:           _ZL33flash_attn_stream_k_fixup_generalILi112ELi4ELi4EEvPfPK15HIP_vector_typeIfLj2EEiiiiS1_IjLj3EES5_S5_S5_
    .private_segment_fixed_size: 0
    .sgpr_count:     42
    .sgpr_spill_count: 0
    .symbol:         _ZL33flash_attn_stream_k_fixup_generalILi112ELi4ELi4EEvPfPK15HIP_vector_typeIfLj2EEiiiiS1_IjLj3EES5_S5_S5_.kd
    .uniform_work_group_size: 1
    .uses_dynamic_stack: false
    .vgpr_count:     18
    .vgpr_spill_count: 0
    .wavefront_size: 64
  - .agpr_count:     0
    .args:
      - .address_space:  global
        .offset:         0
        .size:           8
        .value_kind:     global_buffer
      - .address_space:  global
        .offset:         8
        .size:           8
        .value_kind:     global_buffer
      - .address_space:  global
        .offset:         16
        .size:           8
        .value_kind:     global_buffer
      - .address_space:  global
        .offset:         24
        .size:           8
        .value_kind:     global_buffer
      - .address_space:  global
        .offset:         32
        .size:           8
        .value_kind:     global_buffer
      - .address_space:  global
        .offset:         40
        .size:           8
        .value_kind:     global_buffer
      - .address_space:  global
        .offset:         48
        .size:           8
        .value_kind:     global_buffer
      - .address_space:  global
        .offset:         56
        .size:           8
        .value_kind:     global_buffer
      - .offset:         64
        .size:           4
        .value_kind:     by_value
      - .offset:         68
        .size:           4
        .value_kind:     by_value
      - .offset:         72
        .size:           4
        .value_kind:     by_value
      - .offset:         76
        .size:           4
        .value_kind:     by_value
      - .offset:         80
        .size:           4
        .value_kind:     by_value
      - .offset:         84
        .size:           4
        .value_kind:     by_value
      - .offset:         88
        .size:           4
        .value_kind:     by_value
      - .offset:         92
        .size:           12
        .value_kind:     by_value
      - .offset:         104
        .size:           4
        .value_kind:     by_value
      - .offset:         108
        .size:           4
        .value_kind:     by_value
      - .offset:         112
        .size:           4
        .value_kind:     by_value
      - .offset:         116
        .size:           4
        .value_kind:     by_value
      - .offset:         120
        .size:           4
        .value_kind:     by_value
      - .offset:         124
        .size:           4
        .value_kind:     by_value
      - .offset:         128
        .size:           4
        .value_kind:     by_value
      - .offset:         132
        .size:           4
        .value_kind:     by_value
      - .offset:         136
        .size:           4
        .value_kind:     by_value
      - .offset:         140
        .size:           4
        .value_kind:     by_value
      - .offset:         144
        .size:           4
        .value_kind:     by_value
      - .offset:         152
        .size:           8
        .value_kind:     by_value
      - .offset:         160
        .size:           4
        .value_kind:     by_value
      - .offset:         164
        .size:           4
        .value_kind:     by_value
      - .offset:         168
        .size:           8
        .value_kind:     by_value
      - .offset:         176
        .size:           4
        .value_kind:     by_value
      - .offset:         180
        .size:           4
        .value_kind:     by_value
      - .offset:         184
        .size:           4
        .value_kind:     by_value
      - .offset:         188
        .size:           4
        .value_kind:     by_value
      - .offset:         192
        .size:           4
        .value_kind:     by_value
      - .offset:         200
        .size:           8
        .value_kind:     by_value
      - .offset:         208
        .size:           4
        .value_kind:     hidden_block_count_x
      - .offset:         212
        .size:           4
        .value_kind:     hidden_block_count_y
      - .offset:         216
        .size:           4
        .value_kind:     hidden_block_count_z
      - .offset:         220
        .size:           2
        .value_kind:     hidden_group_size_x
      - .offset:         222
        .size:           2
        .value_kind:     hidden_group_size_y
      - .offset:         224
        .size:           2
        .value_kind:     hidden_group_size_z
      - .offset:         226
        .size:           2
        .value_kind:     hidden_remainder_x
      - .offset:         228
        .size:           2
        .value_kind:     hidden_remainder_y
      - .offset:         230
        .size:           2
        .value_kind:     hidden_remainder_z
      - .offset:         248
        .size:           8
        .value_kind:     hidden_global_offset_x
      - .offset:         256
        .size:           8
        .value_kind:     hidden_global_offset_y
      - .offset:         264
        .size:           8
        .value_kind:     hidden_global_offset_z
      - .offset:         272
        .size:           2
        .value_kind:     hidden_grid_dims
    .group_segment_fixed_size: 6464
    .kernarg_segment_align: 8
    .kernarg_segment_size: 464
    .language:       OpenCL C
    .language_version:
      - 2
      - 0
    .max_flat_workgroup_size: 256
    .name:           _ZL15flash_attn_tileILi112ELi112ELi2ELi4ELb0EEvPKcS1_S1_S1_S1_PKiPfP15HIP_vector_typeIfLj2EEffffjfiS5_IjLj3EEiiiiiiiiiiiliiliiiiil
    .private_segment_fixed_size: 0
    .sgpr_count:     57
    .sgpr_spill_count: 0
    .symbol:         _ZL15flash_attn_tileILi112ELi112ELi2ELi4ELb0EEvPKcS1_S1_S1_S1_PKiPfP15HIP_vector_typeIfLj2EEffffjfiS5_IjLj3EEiiiiiiiiiiiliiliiiiil.kd
    .uniform_work_group_size: 1
    .uses_dynamic_stack: false
    .vgpr_count:     95
    .vgpr_spill_count: 0
    .wavefront_size: 64
  - .agpr_count:     0
    .args:
      - .address_space:  global
        .offset:         0
        .size:           8
        .value_kind:     global_buffer
      - .address_space:  global
        .offset:         8
        .size:           8
        .value_kind:     global_buffer
      - .offset:         16
        .size:           4
        .value_kind:     by_value
      - .offset:         20
        .size:           4
        .value_kind:     by_value
      - .offset:         24
        .size:           4
        .value_kind:     by_value
      - .offset:         28
        .size:           4
        .value_kind:     by_value
      - .offset:         32
        .size:           4
        .value_kind:     by_value
      - .offset:         36
        .size:           4
        .value_kind:     by_value
      - .offset:         40
        .size:           12
        .value_kind:     by_value
      - .offset:         52
        .size:           12
        .value_kind:     by_value
      - .offset:         64
        .size:           12
        .value_kind:     by_value
    .group_segment_fixed_size: 0
    .kernarg_segment_align: 8
    .kernarg_segment_size: 76
    .language:       OpenCL C
    .language_version:
      - 2
      - 0
    .max_flat_workgroup_size: 112
    .name:           _ZL33flash_attn_stream_k_fixup_uniformILi112ELi2ELi4EEvPfPK15HIP_vector_typeIfLj2EEiiiiiiS1_IjLj3EES5_S5_
    .private_segment_fixed_size: 0
    .sgpr_count:     26
    .sgpr_spill_count: 0
    .symbol:         _ZL33flash_attn_stream_k_fixup_uniformILi112ELi2ELi4EEvPfPK15HIP_vector_typeIfLj2EEiiiiiiS1_IjLj3EES5_S5_.kd
    .uniform_work_group_size: 1
    .uses_dynamic_stack: false
    .vgpr_count:     17
    .vgpr_spill_count: 0
    .wavefront_size: 64
  - .agpr_count:     0
    .args:
      - .address_space:  global
        .offset:         0
        .size:           8
        .value_kind:     global_buffer
      - .address_space:  global
        .offset:         8
        .size:           8
        .value_kind:     global_buffer
      - .offset:         16
        .size:           4
        .value_kind:     by_value
      - .offset:         20
        .size:           4
        .value_kind:     by_value
      - .offset:         24
        .size:           4
        .value_kind:     by_value
      - .offset:         28
        .size:           4
        .value_kind:     by_value
      - .offset:         32
        .size:           12
        .value_kind:     by_value
      - .offset:         44
        .size:           12
        .value_kind:     by_value
      - .offset:         56
        .size:           12
        .value_kind:     by_value
      - .offset:         68
        .size:           12
        .value_kind:     by_value
      - .offset:         80
        .size:           4
        .value_kind:     hidden_block_count_x
      - .offset:         84
        .size:           4
        .value_kind:     hidden_block_count_y
      - .offset:         88
        .size:           4
        .value_kind:     hidden_block_count_z
      - .offset:         92
        .size:           2
        .value_kind:     hidden_group_size_x
      - .offset:         94
        .size:           2
        .value_kind:     hidden_group_size_y
      - .offset:         96
        .size:           2
        .value_kind:     hidden_group_size_z
      - .offset:         98
        .size:           2
        .value_kind:     hidden_remainder_x
      - .offset:         100
        .size:           2
        .value_kind:     hidden_remainder_y
      - .offset:         102
        .size:           2
        .value_kind:     hidden_remainder_z
      - .offset:         120
        .size:           8
        .value_kind:     hidden_global_offset_x
      - .offset:         128
        .size:           8
        .value_kind:     hidden_global_offset_y
      - .offset:         136
        .size:           8
        .value_kind:     hidden_global_offset_z
      - .offset:         144
        .size:           2
        .value_kind:     hidden_grid_dims
    .group_segment_fixed_size: 0
    .kernarg_segment_align: 8
    .kernarg_segment_size: 336
    .language:       OpenCL C
    .language_version:
      - 2
      - 0
    .max_flat_workgroup_size: 112
    .name:           _ZL33flash_attn_stream_k_fixup_generalILi112ELi2ELi4EEvPfPK15HIP_vector_typeIfLj2EEiiiiS1_IjLj3EES5_S5_S5_
    .private_segment_fixed_size: 0
    .sgpr_count:     42
    .sgpr_spill_count: 0
    .symbol:         _ZL33flash_attn_stream_k_fixup_generalILi112ELi2ELi4EEvPfPK15HIP_vector_typeIfLj2EEiiiiS1_IjLj3EES5_S5_S5_.kd
    .uniform_work_group_size: 1
    .uses_dynamic_stack: false
    .vgpr_count:     18
    .vgpr_spill_count: 0
    .wavefront_size: 64
  - .agpr_count:     0
    .args:
      - .address_space:  global
        .offset:         0
        .size:           8
        .value_kind:     global_buffer
      - .address_space:  global
        .offset:         8
        .size:           8
        .value_kind:     global_buffer
      - .address_space:  global
        .offset:         16
        .size:           8
        .value_kind:     global_buffer
      - .address_space:  global
        .offset:         24
        .size:           8
        .value_kind:     global_buffer
      - .address_space:  global
        .offset:         32
        .size:           8
        .value_kind:     global_buffer
      - .address_space:  global
        .offset:         40
        .size:           8
        .value_kind:     global_buffer
      - .address_space:  global
        .offset:         48
        .size:           8
        .value_kind:     global_buffer
      - .address_space:  global
        .offset:         56
        .size:           8
        .value_kind:     global_buffer
      - .offset:         64
        .size:           4
        .value_kind:     by_value
      - .offset:         68
        .size:           4
        .value_kind:     by_value
      - .offset:         72
        .size:           4
        .value_kind:     by_value
      - .offset:         76
        .size:           4
        .value_kind:     by_value
      - .offset:         80
        .size:           4
        .value_kind:     by_value
      - .offset:         84
        .size:           4
        .value_kind:     by_value
      - .offset:         88
        .size:           4
        .value_kind:     by_value
      - .offset:         92
        .size:           12
        .value_kind:     by_value
      - .offset:         104
        .size:           4
        .value_kind:     by_value
      - .offset:         108
        .size:           4
        .value_kind:     by_value
      - .offset:         112
        .size:           4
        .value_kind:     by_value
      - .offset:         116
        .size:           4
        .value_kind:     by_value
      - .offset:         120
        .size:           4
        .value_kind:     by_value
      - .offset:         124
        .size:           4
        .value_kind:     by_value
      - .offset:         128
        .size:           4
        .value_kind:     by_value
      - .offset:         132
        .size:           4
        .value_kind:     by_value
      - .offset:         136
        .size:           4
        .value_kind:     by_value
      - .offset:         140
        .size:           4
        .value_kind:     by_value
      - .offset:         144
        .size:           4
        .value_kind:     by_value
      - .offset:         152
        .size:           8
        .value_kind:     by_value
      - .offset:         160
        .size:           4
        .value_kind:     by_value
      - .offset:         164
        .size:           4
        .value_kind:     by_value
      - .offset:         168
        .size:           8
        .value_kind:     by_value
      - .offset:         176
        .size:           4
        .value_kind:     by_value
      - .offset:         180
        .size:           4
        .value_kind:     by_value
      - .offset:         184
        .size:           4
        .value_kind:     by_value
      - .offset:         188
        .size:           4
        .value_kind:     by_value
      - .offset:         192
        .size:           4
        .value_kind:     by_value
      - .offset:         200
        .size:           8
        .value_kind:     by_value
      - .offset:         208
        .size:           4
        .value_kind:     hidden_block_count_x
      - .offset:         212
        .size:           4
        .value_kind:     hidden_block_count_y
      - .offset:         216
        .size:           4
        .value_kind:     hidden_block_count_z
      - .offset:         220
        .size:           2
        .value_kind:     hidden_group_size_x
      - .offset:         222
        .size:           2
        .value_kind:     hidden_group_size_y
      - .offset:         224
        .size:           2
        .value_kind:     hidden_group_size_z
      - .offset:         226
        .size:           2
        .value_kind:     hidden_remainder_x
      - .offset:         228
        .size:           2
        .value_kind:     hidden_remainder_y
      - .offset:         230
        .size:           2
        .value_kind:     hidden_remainder_z
      - .offset:         248
        .size:           8
        .value_kind:     hidden_global_offset_x
      - .offset:         256
        .size:           8
        .value_kind:     hidden_global_offset_y
      - .offset:         264
        .size:           8
        .value_kind:     hidden_global_offset_z
      - .offset:         272
        .size:           2
        .value_kind:     hidden_grid_dims
    .group_segment_fixed_size: 5312
    .kernarg_segment_align: 8
    .kernarg_segment_size: 464
    .language:       OpenCL C
    .language_version:
      - 2
      - 0
    .max_flat_workgroup_size: 128
    .name:           _ZL15flash_attn_tileILi112ELi112ELi1ELi4ELb0EEvPKcS1_S1_S1_S1_PKiPfP15HIP_vector_typeIfLj2EEffffjfiS5_IjLj3EEiiiiiiiiiiiliiliiiiil
    .private_segment_fixed_size: 0
    .sgpr_count:     53
    .sgpr_spill_count: 0
    .symbol:         _ZL15flash_attn_tileILi112ELi112ELi1ELi4ELb0EEvPKcS1_S1_S1_S1_PKiPfP15HIP_vector_typeIfLj2EEffffjfiS5_IjLj3EEiiiiiiiiiiiliiliiiiil.kd
    .uniform_work_group_size: 1
    .uses_dynamic_stack: false
    .vgpr_count:     102
    .vgpr_spill_count: 0
    .wavefront_size: 64
  - .agpr_count:     0
    .args:
      - .address_space:  global
        .offset:         0
        .size:           8
        .value_kind:     global_buffer
      - .address_space:  global
        .offset:         8
        .size:           8
        .value_kind:     global_buffer
      - .offset:         16
        .size:           4
        .value_kind:     by_value
      - .offset:         20
        .size:           4
        .value_kind:     by_value
      - .offset:         24
        .size:           4
        .value_kind:     by_value
      - .offset:         28
        .size:           4
        .value_kind:     by_value
      - .offset:         32
        .size:           4
        .value_kind:     by_value
      - .offset:         36
        .size:           4
        .value_kind:     by_value
      - .offset:         40
        .size:           12
        .value_kind:     by_value
      - .offset:         52
        .size:           12
        .value_kind:     by_value
      - .offset:         64
        .size:           12
        .value_kind:     by_value
    .group_segment_fixed_size: 0
    .kernarg_segment_align: 8
    .kernarg_segment_size: 76
    .language:       OpenCL C
    .language_version:
      - 2
      - 0
    .max_flat_workgroup_size: 112
    .name:           _ZL33flash_attn_stream_k_fixup_uniformILi112ELi1ELi4EEvPfPK15HIP_vector_typeIfLj2EEiiiiiiS1_IjLj3EES5_S5_
    .private_segment_fixed_size: 0
    .sgpr_count:     26
    .sgpr_spill_count: 0
    .symbol:         _ZL33flash_attn_stream_k_fixup_uniformILi112ELi1ELi4EEvPfPK15HIP_vector_typeIfLj2EEiiiiiiS1_IjLj3EES5_S5_.kd
    .uniform_work_group_size: 1
    .uses_dynamic_stack: false
    .vgpr_count:     17
    .vgpr_spill_count: 0
    .wavefront_size: 64
  - .agpr_count:     0
    .args:
      - .address_space:  global
        .offset:         0
        .size:           8
        .value_kind:     global_buffer
      - .address_space:  global
        .offset:         8
        .size:           8
        .value_kind:     global_buffer
      - .offset:         16
        .size:           4
        .value_kind:     by_value
      - .offset:         20
        .size:           4
        .value_kind:     by_value
      - .offset:         24
        .size:           4
        .value_kind:     by_value
      - .offset:         28
        .size:           4
        .value_kind:     by_value
      - .offset:         32
        .size:           12
        .value_kind:     by_value
      - .offset:         44
        .size:           12
        .value_kind:     by_value
      - .offset:         56
        .size:           12
        .value_kind:     by_value
      - .offset:         68
        .size:           12
        .value_kind:     by_value
      - .offset:         80
        .size:           4
        .value_kind:     hidden_block_count_x
      - .offset:         84
        .size:           4
        .value_kind:     hidden_block_count_y
      - .offset:         88
        .size:           4
        .value_kind:     hidden_block_count_z
      - .offset:         92
        .size:           2
        .value_kind:     hidden_group_size_x
      - .offset:         94
        .size:           2
        .value_kind:     hidden_group_size_y
      - .offset:         96
        .size:           2
        .value_kind:     hidden_group_size_z
      - .offset:         98
        .size:           2
        .value_kind:     hidden_remainder_x
      - .offset:         100
        .size:           2
        .value_kind:     hidden_remainder_y
      - .offset:         102
        .size:           2
        .value_kind:     hidden_remainder_z
      - .offset:         120
        .size:           8
        .value_kind:     hidden_global_offset_x
      - .offset:         128
        .size:           8
        .value_kind:     hidden_global_offset_y
      - .offset:         136
        .size:           8
        .value_kind:     hidden_global_offset_z
      - .offset:         144
        .size:           2
        .value_kind:     hidden_grid_dims
    .group_segment_fixed_size: 0
    .kernarg_segment_align: 8
    .kernarg_segment_size: 336
    .language:       OpenCL C
    .language_version:
      - 2
      - 0
    .max_flat_workgroup_size: 112
    .name:           _ZL33flash_attn_stream_k_fixup_generalILi112ELi1ELi4EEvPfPK15HIP_vector_typeIfLj2EEiiiiS1_IjLj3EES5_S5_S5_
    .private_segment_fixed_size: 0
    .sgpr_count:     43
    .sgpr_spill_count: 0
    .symbol:         _ZL33flash_attn_stream_k_fixup_generalILi112ELi1ELi4EEvPfPK15HIP_vector_typeIfLj2EEiiiiS1_IjLj3EES5_S5_S5_.kd
    .uniform_work_group_size: 1
    .uses_dynamic_stack: false
    .vgpr_count:     18
    .vgpr_spill_count: 0
    .wavefront_size: 64
  - .agpr_count:     0
    .args:
      - .address_space:  global
        .offset:         0
        .size:           8
        .value_kind:     global_buffer
      - .address_space:  global
        .offset:         8
        .size:           8
        .value_kind:     global_buffer
      - .address_space:  global
        .offset:         16
        .size:           8
        .value_kind:     global_buffer
      - .address_space:  global
        .offset:         24
        .size:           8
        .value_kind:     global_buffer
      - .address_space:  global
        .offset:         32
        .size:           8
        .value_kind:     global_buffer
      - .address_space:  global
        .offset:         40
        .size:           8
        .value_kind:     global_buffer
      - .address_space:  global
        .offset:         48
        .size:           8
        .value_kind:     global_buffer
      - .address_space:  global
        .offset:         56
        .size:           8
        .value_kind:     global_buffer
      - .offset:         64
        .size:           4
        .value_kind:     by_value
      - .offset:         68
        .size:           4
        .value_kind:     by_value
      - .offset:         72
        .size:           4
        .value_kind:     by_value
      - .offset:         76
        .size:           4
        .value_kind:     by_value
      - .offset:         80
        .size:           4
        .value_kind:     by_value
      - .offset:         84
        .size:           4
        .value_kind:     by_value
      - .offset:         88
        .size:           4
        .value_kind:     by_value
      - .offset:         92
        .size:           12
        .value_kind:     by_value
      - .offset:         104
        .size:           4
        .value_kind:     by_value
      - .offset:         108
        .size:           4
        .value_kind:     by_value
      - .offset:         112
        .size:           4
        .value_kind:     by_value
      - .offset:         116
        .size:           4
        .value_kind:     by_value
      - .offset:         120
        .size:           4
        .value_kind:     by_value
      - .offset:         124
        .size:           4
        .value_kind:     by_value
      - .offset:         128
        .size:           4
        .value_kind:     by_value
      - .offset:         132
        .size:           4
        .value_kind:     by_value
      - .offset:         136
        .size:           4
        .value_kind:     by_value
      - .offset:         140
        .size:           4
        .value_kind:     by_value
      - .offset:         144
        .size:           4
        .value_kind:     by_value
      - .offset:         152
        .size:           8
        .value_kind:     by_value
      - .offset:         160
        .size:           4
        .value_kind:     by_value
      - .offset:         164
        .size:           4
        .value_kind:     by_value
      - .offset:         168
        .size:           8
        .value_kind:     by_value
      - .offset:         176
        .size:           4
        .value_kind:     by_value
      - .offset:         180
        .size:           4
        .value_kind:     by_value
      - .offset:         184
        .size:           4
        .value_kind:     by_value
      - .offset:         188
        .size:           4
        .value_kind:     by_value
      - .offset:         192
        .size:           4
        .value_kind:     by_value
      - .offset:         200
        .size:           8
        .value_kind:     by_value
      - .offset:         208
        .size:           4
        .value_kind:     hidden_block_count_x
      - .offset:         212
        .size:           4
        .value_kind:     hidden_block_count_y
      - .offset:         216
        .size:           4
        .value_kind:     hidden_block_count_z
      - .offset:         220
        .size:           2
        .value_kind:     hidden_group_size_x
      - .offset:         222
        .size:           2
        .value_kind:     hidden_group_size_y
      - .offset:         224
        .size:           2
        .value_kind:     hidden_group_size_z
      - .offset:         226
        .size:           2
        .value_kind:     hidden_remainder_x
      - .offset:         228
        .size:           2
        .value_kind:     hidden_remainder_y
      - .offset:         230
        .size:           2
        .value_kind:     hidden_remainder_z
      - .offset:         248
        .size:           8
        .value_kind:     hidden_global_offset_x
      - .offset:         256
        .size:           8
        .value_kind:     hidden_global_offset_y
      - .offset:         264
        .size:           8
        .value_kind:     hidden_global_offset_z
      - .offset:         272
        .size:           2
        .value_kind:     hidden_grid_dims
    .group_segment_fixed_size: 22592
    .kernarg_segment_align: 8
    .kernarg_segment_size: 464
    .language:       OpenCL C
    .language_version:
      - 2
      - 0
    .max_flat_workgroup_size: 256
    .name:           _ZL15flash_attn_tileILi112ELi112ELi32ELi2ELb0EEvPKcS1_S1_S1_S1_PKiPfP15HIP_vector_typeIfLj2EEffffjfiS5_IjLj3EEiiiiiiiiiiiliiliiiiil
    .private_segment_fixed_size: 36
    .sgpr_count:     85
    .sgpr_spill_count: 0
    .symbol:         _ZL15flash_attn_tileILi112ELi112ELi32ELi2ELb0EEvPKcS1_S1_S1_S1_PKiPfP15HIP_vector_typeIfLj2EEffffjfiS5_IjLj3EEiiiiiiiiiiiliiliiiiil.kd
    .uniform_work_group_size: 1
    .uses_dynamic_stack: false
    .vgpr_count:     256
    .vgpr_spill_count: 8
    .wavefront_size: 64
  - .agpr_count:     0
    .args:
      - .actual_access:  read_only
        .address_space:  global
        .offset:         0
        .size:           8
        .value_kind:     global_buffer
      - .actual_access:  write_only
        .address_space:  global
        .offset:         8
        .size:           8
        .value_kind:     global_buffer
      - .offset:         16
        .size:           4
        .value_kind:     by_value
      - .offset:         20
        .size:           4
        .value_kind:     by_value
      - .offset:         24
        .size:           4
        .value_kind:     by_value
      - .offset:         32
        .size:           4
        .value_kind:     hidden_block_count_x
      - .offset:         36
        .size:           4
        .value_kind:     hidden_block_count_y
      - .offset:         40
        .size:           4
        .value_kind:     hidden_block_count_z
      - .offset:         44
        .size:           2
        .value_kind:     hidden_group_size_x
      - .offset:         46
        .size:           2
        .value_kind:     hidden_group_size_y
      - .offset:         48
        .size:           2
        .value_kind:     hidden_group_size_z
      - .offset:         50
        .size:           2
        .value_kind:     hidden_remainder_x
      - .offset:         52
        .size:           2
        .value_kind:     hidden_remainder_y
      - .offset:         54
        .size:           2
        .value_kind:     hidden_remainder_z
      - .offset:         72
        .size:           8
        .value_kind:     hidden_global_offset_x
      - .offset:         80
        .size:           8
        .value_kind:     hidden_global_offset_y
      - .offset:         88
        .size:           8
        .value_kind:     hidden_global_offset_z
      - .offset:         96
        .size:           2
        .value_kind:     hidden_grid_dims
    .group_segment_fixed_size: 128
    .kernarg_segment_align: 8
    .kernarg_segment_size: 288
    .language:       OpenCL C
    .language_version:
      - 2
      - 0
    .max_flat_workgroup_size: 128
    .name:           _ZL25flash_attn_mask_to_KV_maxILi32EEvPK7__half2Piiii
    .private_segment_fixed_size: 0
    .sgpr_count:     106
    .sgpr_spill_count: 42
    .symbol:         _ZL25flash_attn_mask_to_KV_maxILi32EEvPK7__half2Piiii.kd
    .uniform_work_group_size: 1
    .uses_dynamic_stack: false
    .vgpr_count:     13
    .vgpr_spill_count: 0
    .wavefront_size: 64
  - .agpr_count:     0
    .args:
      - .address_space:  global
        .offset:         0
        .size:           8
        .value_kind:     global_buffer
      - .address_space:  global
        .offset:         8
        .size:           8
        .value_kind:     global_buffer
      - .offset:         16
        .size:           4
        .value_kind:     by_value
      - .offset:         20
        .size:           4
        .value_kind:     by_value
      - .offset:         24
        .size:           4
        .value_kind:     by_value
      - .offset:         28
        .size:           4
        .value_kind:     by_value
      - .offset:         32
        .size:           4
        .value_kind:     by_value
      - .offset:         36
        .size:           4
        .value_kind:     by_value
      - .offset:         40
        .size:           12
        .value_kind:     by_value
      - .offset:         52
        .size:           12
        .value_kind:     by_value
      - .offset:         64
        .size:           12
        .value_kind:     by_value
    .group_segment_fixed_size: 0
    .kernarg_segment_align: 8
    .kernarg_segment_size: 76
    .language:       OpenCL C
    .language_version:
      - 2
      - 0
    .max_flat_workgroup_size: 112
    .name:           _ZL33flash_attn_stream_k_fixup_uniformILi112ELi32ELi2EEvPfPK15HIP_vector_typeIfLj2EEiiiiiiS1_IjLj3EES5_S5_
    .private_segment_fixed_size: 0
    .sgpr_count:     26
    .sgpr_spill_count: 0
    .symbol:         _ZL33flash_attn_stream_k_fixup_uniformILi112ELi32ELi2EEvPfPK15HIP_vector_typeIfLj2EEiiiiiiS1_IjLj3EES5_S5_.kd
    .uniform_work_group_size: 1
    .uses_dynamic_stack: false
    .vgpr_count:     17
    .vgpr_spill_count: 0
    .wavefront_size: 64
  - .agpr_count:     0
    .args:
      - .address_space:  global
        .offset:         0
        .size:           8
        .value_kind:     global_buffer
      - .address_space:  global
        .offset:         8
        .size:           8
        .value_kind:     global_buffer
      - .offset:         16
        .size:           4
        .value_kind:     by_value
      - .offset:         20
        .size:           4
        .value_kind:     by_value
      - .offset:         24
        .size:           4
        .value_kind:     by_value
      - .offset:         28
        .size:           4
        .value_kind:     by_value
      - .offset:         32
        .size:           12
        .value_kind:     by_value
      - .offset:         44
        .size:           12
        .value_kind:     by_value
      - .offset:         56
        .size:           12
        .value_kind:     by_value
      - .offset:         68
        .size:           12
        .value_kind:     by_value
      - .offset:         80
        .size:           4
        .value_kind:     hidden_block_count_x
      - .offset:         84
        .size:           4
        .value_kind:     hidden_block_count_y
      - .offset:         88
        .size:           4
        .value_kind:     hidden_block_count_z
      - .offset:         92
        .size:           2
        .value_kind:     hidden_group_size_x
      - .offset:         94
        .size:           2
        .value_kind:     hidden_group_size_y
      - .offset:         96
        .size:           2
        .value_kind:     hidden_group_size_z
      - .offset:         98
        .size:           2
        .value_kind:     hidden_remainder_x
      - .offset:         100
        .size:           2
        .value_kind:     hidden_remainder_y
      - .offset:         102
        .size:           2
        .value_kind:     hidden_remainder_z
      - .offset:         120
        .size:           8
        .value_kind:     hidden_global_offset_x
      - .offset:         128
        .size:           8
        .value_kind:     hidden_global_offset_y
      - .offset:         136
        .size:           8
        .value_kind:     hidden_global_offset_z
      - .offset:         144
        .size:           2
        .value_kind:     hidden_grid_dims
    .group_segment_fixed_size: 0
    .kernarg_segment_align: 8
    .kernarg_segment_size: 336
    .language:       OpenCL C
    .language_version:
      - 2
      - 0
    .max_flat_workgroup_size: 112
    .name:           _ZL33flash_attn_stream_k_fixup_generalILi112ELi32ELi2EEvPfPK15HIP_vector_typeIfLj2EEiiiiS1_IjLj3EES5_S5_S5_
    .private_segment_fixed_size: 0
    .sgpr_count:     42
    .sgpr_spill_count: 0
    .symbol:         _ZL33flash_attn_stream_k_fixup_generalILi112ELi32ELi2EEvPfPK15HIP_vector_typeIfLj2EEiiiiS1_IjLj3EES5_S5_S5_.kd
    .uniform_work_group_size: 1
    .uses_dynamic_stack: false
    .vgpr_count:     18
    .vgpr_spill_count: 0
    .wavefront_size: 64
  - .agpr_count:     0
    .args:
      - .address_space:  global
        .offset:         0
        .size:           8
        .value_kind:     global_buffer
      - .address_space:  global
        .offset:         8
        .size:           8
        .value_kind:     global_buffer
      - .address_space:  global
        .offset:         16
        .size:           8
        .value_kind:     global_buffer
      - .address_space:  global
        .offset:         24
        .size:           8
        .value_kind:     global_buffer
      - .address_space:  global
        .offset:         32
        .size:           8
        .value_kind:     global_buffer
      - .address_space:  global
        .offset:         40
        .size:           8
        .value_kind:     global_buffer
      - .address_space:  global
        .offset:         48
        .size:           8
        .value_kind:     global_buffer
      - .address_space:  global
        .offset:         56
        .size:           8
        .value_kind:     global_buffer
      - .offset:         64
        .size:           4
        .value_kind:     by_value
      - .offset:         68
        .size:           4
        .value_kind:     by_value
      - .offset:         72
        .size:           4
        .value_kind:     by_value
      - .offset:         76
        .size:           4
        .value_kind:     by_value
      - .offset:         80
        .size:           4
        .value_kind:     by_value
      - .offset:         84
        .size:           4
        .value_kind:     by_value
      - .offset:         88
        .size:           4
        .value_kind:     by_value
      - .offset:         92
        .size:           12
        .value_kind:     by_value
      - .offset:         104
        .size:           4
        .value_kind:     by_value
      - .offset:         108
        .size:           4
        .value_kind:     by_value
      - .offset:         112
        .size:           4
        .value_kind:     by_value
      - .offset:         116
        .size:           4
        .value_kind:     by_value
      - .offset:         120
        .size:           4
        .value_kind:     by_value
      - .offset:         124
        .size:           4
        .value_kind:     by_value
      - .offset:         128
        .size:           4
        .value_kind:     by_value
      - .offset:         132
        .size:           4
        .value_kind:     by_value
      - .offset:         136
        .size:           4
        .value_kind:     by_value
      - .offset:         140
        .size:           4
        .value_kind:     by_value
      - .offset:         144
        .size:           4
        .value_kind:     by_value
      - .offset:         152
        .size:           8
        .value_kind:     by_value
      - .offset:         160
        .size:           4
        .value_kind:     by_value
      - .offset:         164
        .size:           4
        .value_kind:     by_value
      - .offset:         168
        .size:           8
        .value_kind:     by_value
      - .offset:         176
        .size:           4
        .value_kind:     by_value
      - .offset:         180
        .size:           4
        .value_kind:     by_value
      - .offset:         184
        .size:           4
        .value_kind:     by_value
      - .offset:         188
        .size:           4
        .value_kind:     by_value
      - .offset:         192
        .size:           4
        .value_kind:     by_value
      - .offset:         200
        .size:           8
        .value_kind:     by_value
      - .offset:         208
        .size:           4
        .value_kind:     hidden_block_count_x
      - .offset:         212
        .size:           4
        .value_kind:     hidden_block_count_y
      - .offset:         216
        .size:           4
        .value_kind:     hidden_block_count_z
      - .offset:         220
        .size:           2
        .value_kind:     hidden_group_size_x
      - .offset:         222
        .size:           2
        .value_kind:     hidden_group_size_y
      - .offset:         224
        .size:           2
        .value_kind:     hidden_group_size_z
      - .offset:         226
        .size:           2
        .value_kind:     hidden_remainder_x
      - .offset:         228
        .size:           2
        .value_kind:     hidden_remainder_y
      - .offset:         230
        .size:           2
        .value_kind:     hidden_remainder_z
      - .offset:         248
        .size:           8
        .value_kind:     hidden_global_offset_x
      - .offset:         256
        .size:           8
        .value_kind:     hidden_global_offset_y
      - .offset:         264
        .size:           8
        .value_kind:     hidden_global_offset_z
      - .offset:         272
        .size:           2
        .value_kind:     hidden_grid_dims
    .group_segment_fixed_size: 13376
    .kernarg_segment_align: 8
    .kernarg_segment_size: 464
    .language:       OpenCL C
    .language_version:
      - 2
      - 0
    .max_flat_workgroup_size: 256
    .name:           _ZL15flash_attn_tileILi112ELi112ELi16ELi2ELb0EEvPKcS1_S1_S1_S1_PKiPfP15HIP_vector_typeIfLj2EEffffjfiS5_IjLj3EEiiiiiiiiiiiliiliiiiil
    .private_segment_fixed_size: 0
    .sgpr_count:     69
    .sgpr_spill_count: 0
    .symbol:         _ZL15flash_attn_tileILi112ELi112ELi16ELi2ELb0EEvPKcS1_S1_S1_S1_PKiPfP15HIP_vector_typeIfLj2EEffffjfiS5_IjLj3EEiiiiiiiiiiiliiliiiiil.kd
    .uniform_work_group_size: 1
    .uses_dynamic_stack: false
    .vgpr_count:     169
    .vgpr_spill_count: 0
    .wavefront_size: 64
  - .agpr_count:     0
    .args:
      - .address_space:  global
        .offset:         0
        .size:           8
        .value_kind:     global_buffer
      - .address_space:  global
        .offset:         8
        .size:           8
        .value_kind:     global_buffer
      - .offset:         16
        .size:           4
        .value_kind:     by_value
      - .offset:         20
        .size:           4
        .value_kind:     by_value
      - .offset:         24
        .size:           4
        .value_kind:     by_value
      - .offset:         28
        .size:           4
        .value_kind:     by_value
      - .offset:         32
        .size:           4
        .value_kind:     by_value
      - .offset:         36
        .size:           4
        .value_kind:     by_value
      - .offset:         40
        .size:           12
        .value_kind:     by_value
      - .offset:         52
        .size:           12
        .value_kind:     by_value
      - .offset:         64
        .size:           12
        .value_kind:     by_value
    .group_segment_fixed_size: 0
    .kernarg_segment_align: 8
    .kernarg_segment_size: 76
    .language:       OpenCL C
    .language_version:
      - 2
      - 0
    .max_flat_workgroup_size: 112
    .name:           _ZL33flash_attn_stream_k_fixup_uniformILi112ELi16ELi2EEvPfPK15HIP_vector_typeIfLj2EEiiiiiiS1_IjLj3EES5_S5_
    .private_segment_fixed_size: 0
    .sgpr_count:     26
    .sgpr_spill_count: 0
    .symbol:         _ZL33flash_attn_stream_k_fixup_uniformILi112ELi16ELi2EEvPfPK15HIP_vector_typeIfLj2EEiiiiiiS1_IjLj3EES5_S5_.kd
    .uniform_work_group_size: 1
    .uses_dynamic_stack: false
    .vgpr_count:     17
    .vgpr_spill_count: 0
    .wavefront_size: 64
  - .agpr_count:     0
    .args:
      - .address_space:  global
        .offset:         0
        .size:           8
        .value_kind:     global_buffer
      - .address_space:  global
        .offset:         8
        .size:           8
        .value_kind:     global_buffer
      - .offset:         16
        .size:           4
        .value_kind:     by_value
      - .offset:         20
        .size:           4
        .value_kind:     by_value
      - .offset:         24
        .size:           4
        .value_kind:     by_value
      - .offset:         28
        .size:           4
        .value_kind:     by_value
      - .offset:         32
        .size:           12
        .value_kind:     by_value
      - .offset:         44
        .size:           12
        .value_kind:     by_value
      - .offset:         56
        .size:           12
        .value_kind:     by_value
      - .offset:         68
        .size:           12
        .value_kind:     by_value
      - .offset:         80
        .size:           4
        .value_kind:     hidden_block_count_x
      - .offset:         84
        .size:           4
        .value_kind:     hidden_block_count_y
      - .offset:         88
        .size:           4
        .value_kind:     hidden_block_count_z
      - .offset:         92
        .size:           2
        .value_kind:     hidden_group_size_x
      - .offset:         94
        .size:           2
        .value_kind:     hidden_group_size_y
      - .offset:         96
        .size:           2
        .value_kind:     hidden_group_size_z
      - .offset:         98
        .size:           2
        .value_kind:     hidden_remainder_x
      - .offset:         100
        .size:           2
        .value_kind:     hidden_remainder_y
      - .offset:         102
        .size:           2
        .value_kind:     hidden_remainder_z
      - .offset:         120
        .size:           8
        .value_kind:     hidden_global_offset_x
      - .offset:         128
        .size:           8
        .value_kind:     hidden_global_offset_y
      - .offset:         136
        .size:           8
        .value_kind:     hidden_global_offset_z
      - .offset:         144
        .size:           2
        .value_kind:     hidden_grid_dims
    .group_segment_fixed_size: 0
    .kernarg_segment_align: 8
    .kernarg_segment_size: 336
    .language:       OpenCL C
    .language_version:
      - 2
      - 0
    .max_flat_workgroup_size: 112
    .name:           _ZL33flash_attn_stream_k_fixup_generalILi112ELi16ELi2EEvPfPK15HIP_vector_typeIfLj2EEiiiiS1_IjLj3EES5_S5_S5_
    .private_segment_fixed_size: 0
    .sgpr_count:     42
    .sgpr_spill_count: 0
    .symbol:         _ZL33flash_attn_stream_k_fixup_generalILi112ELi16ELi2EEvPfPK15HIP_vector_typeIfLj2EEiiiiS1_IjLj3EES5_S5_S5_.kd
    .uniform_work_group_size: 1
    .uses_dynamic_stack: false
    .vgpr_count:     18
    .vgpr_spill_count: 0
    .wavefront_size: 64
  - .agpr_count:     0
    .args:
      - .address_space:  global
        .offset:         0
        .size:           8
        .value_kind:     global_buffer
      - .address_space:  global
        .offset:         8
        .size:           8
        .value_kind:     global_buffer
      - .address_space:  global
        .offset:         16
        .size:           8
        .value_kind:     global_buffer
      - .address_space:  global
        .offset:         24
        .size:           8
        .value_kind:     global_buffer
      - .address_space:  global
        .offset:         32
        .size:           8
        .value_kind:     global_buffer
      - .address_space:  global
        .offset:         40
        .size:           8
        .value_kind:     global_buffer
      - .address_space:  global
        .offset:         48
        .size:           8
        .value_kind:     global_buffer
      - .address_space:  global
        .offset:         56
        .size:           8
        .value_kind:     global_buffer
      - .offset:         64
        .size:           4
        .value_kind:     by_value
      - .offset:         68
        .size:           4
        .value_kind:     by_value
      - .offset:         72
        .size:           4
        .value_kind:     by_value
      - .offset:         76
        .size:           4
        .value_kind:     by_value
      - .offset:         80
        .size:           4
        .value_kind:     by_value
      - .offset:         84
        .size:           4
        .value_kind:     by_value
      - .offset:         88
        .size:           4
        .value_kind:     by_value
      - .offset:         92
        .size:           12
        .value_kind:     by_value
      - .offset:         104
        .size:           4
        .value_kind:     by_value
      - .offset:         108
        .size:           4
        .value_kind:     by_value
      - .offset:         112
        .size:           4
        .value_kind:     by_value
      - .offset:         116
        .size:           4
        .value_kind:     by_value
      - .offset:         120
        .size:           4
        .value_kind:     by_value
      - .offset:         124
        .size:           4
        .value_kind:     by_value
      - .offset:         128
        .size:           4
        .value_kind:     by_value
      - .offset:         132
        .size:           4
        .value_kind:     by_value
      - .offset:         136
        .size:           4
        .value_kind:     by_value
      - .offset:         140
        .size:           4
        .value_kind:     by_value
      - .offset:         144
        .size:           4
        .value_kind:     by_value
      - .offset:         152
        .size:           8
        .value_kind:     by_value
      - .offset:         160
        .size:           4
        .value_kind:     by_value
      - .offset:         164
        .size:           4
        .value_kind:     by_value
      - .offset:         168
        .size:           8
        .value_kind:     by_value
      - .offset:         176
        .size:           4
        .value_kind:     by_value
      - .offset:         180
        .size:           4
        .value_kind:     by_value
      - .offset:         184
        .size:           4
        .value_kind:     by_value
      - .offset:         188
        .size:           4
        .value_kind:     by_value
      - .offset:         192
        .size:           4
        .value_kind:     by_value
      - .offset:         200
        .size:           8
        .value_kind:     by_value
      - .offset:         208
        .size:           4
        .value_kind:     hidden_block_count_x
      - .offset:         212
        .size:           4
        .value_kind:     hidden_block_count_y
      - .offset:         216
        .size:           4
        .value_kind:     hidden_block_count_z
      - .offset:         220
        .size:           2
        .value_kind:     hidden_group_size_x
      - .offset:         222
        .size:           2
        .value_kind:     hidden_group_size_y
      - .offset:         224
        .size:           2
        .value_kind:     hidden_group_size_z
      - .offset:         226
        .size:           2
        .value_kind:     hidden_remainder_x
      - .offset:         228
        .size:           2
        .value_kind:     hidden_remainder_y
      - .offset:         230
        .size:           2
        .value_kind:     hidden_remainder_z
      - .offset:         248
        .size:           8
        .value_kind:     hidden_global_offset_x
      - .offset:         256
        .size:           8
        .value_kind:     hidden_global_offset_y
      - .offset:         264
        .size:           8
        .value_kind:     hidden_global_offset_z
      - .offset:         272
        .size:           2
        .value_kind:     hidden_grid_dims
    .group_segment_fixed_size: 8768
    .kernarg_segment_align: 8
    .kernarg_segment_size: 464
    .language:       OpenCL C
    .language_version:
      - 2
      - 0
    .max_flat_workgroup_size: 256
    .name:           _ZL15flash_attn_tileILi112ELi112ELi8ELi2ELb0EEvPKcS1_S1_S1_S1_PKiPfP15HIP_vector_typeIfLj2EEffffjfiS5_IjLj3EEiiiiiiiiiiiliiliiiiil
    .private_segment_fixed_size: 0
    .sgpr_count:     60
    .sgpr_spill_count: 0
    .symbol:         _ZL15flash_attn_tileILi112ELi112ELi8ELi2ELb0EEvPKcS1_S1_S1_S1_PKiPfP15HIP_vector_typeIfLj2EEffffjfiS5_IjLj3EEiiiiiiiiiiiliiliiiiil.kd
    .uniform_work_group_size: 1
    .uses_dynamic_stack: false
    .vgpr_count:     118
    .vgpr_spill_count: 0
    .wavefront_size: 64
  - .agpr_count:     0
    .args:
      - .address_space:  global
        .offset:         0
        .size:           8
        .value_kind:     global_buffer
      - .address_space:  global
        .offset:         8
        .size:           8
        .value_kind:     global_buffer
      - .offset:         16
        .size:           4
        .value_kind:     by_value
      - .offset:         20
        .size:           4
        .value_kind:     by_value
      - .offset:         24
        .size:           4
        .value_kind:     by_value
      - .offset:         28
        .size:           4
        .value_kind:     by_value
      - .offset:         32
        .size:           4
        .value_kind:     by_value
      - .offset:         36
        .size:           4
        .value_kind:     by_value
      - .offset:         40
        .size:           12
        .value_kind:     by_value
      - .offset:         52
        .size:           12
        .value_kind:     by_value
      - .offset:         64
        .size:           12
        .value_kind:     by_value
    .group_segment_fixed_size: 0
    .kernarg_segment_align: 8
    .kernarg_segment_size: 76
    .language:       OpenCL C
    .language_version:
      - 2
      - 0
    .max_flat_workgroup_size: 112
    .name:           _ZL33flash_attn_stream_k_fixup_uniformILi112ELi8ELi2EEvPfPK15HIP_vector_typeIfLj2EEiiiiiiS1_IjLj3EES5_S5_
    .private_segment_fixed_size: 0
    .sgpr_count:     26
    .sgpr_spill_count: 0
    .symbol:         _ZL33flash_attn_stream_k_fixup_uniformILi112ELi8ELi2EEvPfPK15HIP_vector_typeIfLj2EEiiiiiiS1_IjLj3EES5_S5_.kd
    .uniform_work_group_size: 1
    .uses_dynamic_stack: false
    .vgpr_count:     17
    .vgpr_spill_count: 0
    .wavefront_size: 64
  - .agpr_count:     0
    .args:
      - .address_space:  global
        .offset:         0
        .size:           8
        .value_kind:     global_buffer
      - .address_space:  global
        .offset:         8
        .size:           8
        .value_kind:     global_buffer
      - .offset:         16
        .size:           4
        .value_kind:     by_value
      - .offset:         20
        .size:           4
        .value_kind:     by_value
      - .offset:         24
        .size:           4
        .value_kind:     by_value
      - .offset:         28
        .size:           4
        .value_kind:     by_value
      - .offset:         32
        .size:           12
        .value_kind:     by_value
      - .offset:         44
        .size:           12
        .value_kind:     by_value
      - .offset:         56
        .size:           12
        .value_kind:     by_value
      - .offset:         68
        .size:           12
        .value_kind:     by_value
      - .offset:         80
        .size:           4
        .value_kind:     hidden_block_count_x
      - .offset:         84
        .size:           4
        .value_kind:     hidden_block_count_y
      - .offset:         88
        .size:           4
        .value_kind:     hidden_block_count_z
      - .offset:         92
        .size:           2
        .value_kind:     hidden_group_size_x
      - .offset:         94
        .size:           2
        .value_kind:     hidden_group_size_y
      - .offset:         96
        .size:           2
        .value_kind:     hidden_group_size_z
      - .offset:         98
        .size:           2
        .value_kind:     hidden_remainder_x
      - .offset:         100
        .size:           2
        .value_kind:     hidden_remainder_y
      - .offset:         102
        .size:           2
        .value_kind:     hidden_remainder_z
      - .offset:         120
        .size:           8
        .value_kind:     hidden_global_offset_x
      - .offset:         128
        .size:           8
        .value_kind:     hidden_global_offset_y
      - .offset:         136
        .size:           8
        .value_kind:     hidden_global_offset_z
      - .offset:         144
        .size:           2
        .value_kind:     hidden_grid_dims
    .group_segment_fixed_size: 0
    .kernarg_segment_align: 8
    .kernarg_segment_size: 336
    .language:       OpenCL C
    .language_version:
      - 2
      - 0
    .max_flat_workgroup_size: 112
    .name:           _ZL33flash_attn_stream_k_fixup_generalILi112ELi8ELi2EEvPfPK15HIP_vector_typeIfLj2EEiiiiS1_IjLj3EES5_S5_S5_
    .private_segment_fixed_size: 0
    .sgpr_count:     42
    .sgpr_spill_count: 0
    .symbol:         _ZL33flash_attn_stream_k_fixup_generalILi112ELi8ELi2EEvPfPK15HIP_vector_typeIfLj2EEiiiiS1_IjLj3EES5_S5_S5_.kd
    .uniform_work_group_size: 1
    .uses_dynamic_stack: false
    .vgpr_count:     18
    .vgpr_spill_count: 0
    .wavefront_size: 64
  - .agpr_count:     0
    .args:
      - .address_space:  global
        .offset:         0
        .size:           8
        .value_kind:     global_buffer
      - .address_space:  global
        .offset:         8
        .size:           8
        .value_kind:     global_buffer
      - .address_space:  global
        .offset:         16
        .size:           8
        .value_kind:     global_buffer
      - .address_space:  global
        .offset:         24
        .size:           8
        .value_kind:     global_buffer
      - .address_space:  global
        .offset:         32
        .size:           8
        .value_kind:     global_buffer
      - .address_space:  global
        .offset:         40
        .size:           8
        .value_kind:     global_buffer
      - .address_space:  global
        .offset:         48
        .size:           8
        .value_kind:     global_buffer
      - .address_space:  global
        .offset:         56
        .size:           8
        .value_kind:     global_buffer
      - .offset:         64
        .size:           4
        .value_kind:     by_value
      - .offset:         68
        .size:           4
        .value_kind:     by_value
      - .offset:         72
        .size:           4
        .value_kind:     by_value
      - .offset:         76
        .size:           4
        .value_kind:     by_value
      - .offset:         80
        .size:           4
        .value_kind:     by_value
      - .offset:         84
        .size:           4
        .value_kind:     by_value
      - .offset:         88
        .size:           4
        .value_kind:     by_value
      - .offset:         92
        .size:           12
        .value_kind:     by_value
      - .offset:         104
        .size:           4
        .value_kind:     by_value
      - .offset:         108
        .size:           4
        .value_kind:     by_value
      - .offset:         112
        .size:           4
        .value_kind:     by_value
      - .offset:         116
        .size:           4
        .value_kind:     by_value
      - .offset:         120
        .size:           4
        .value_kind:     by_value
      - .offset:         124
        .size:           4
        .value_kind:     by_value
      - .offset:         128
        .size:           4
        .value_kind:     by_value
      - .offset:         132
        .size:           4
        .value_kind:     by_value
      - .offset:         136
        .size:           4
        .value_kind:     by_value
      - .offset:         140
        .size:           4
        .value_kind:     by_value
      - .offset:         144
        .size:           4
        .value_kind:     by_value
      - .offset:         152
        .size:           8
        .value_kind:     by_value
      - .offset:         160
        .size:           4
        .value_kind:     by_value
      - .offset:         164
        .size:           4
        .value_kind:     by_value
      - .offset:         168
        .size:           8
        .value_kind:     by_value
      - .offset:         176
        .size:           4
        .value_kind:     by_value
      - .offset:         180
        .size:           4
        .value_kind:     by_value
      - .offset:         184
        .size:           4
        .value_kind:     by_value
      - .offset:         188
        .size:           4
        .value_kind:     by_value
      - .offset:         192
        .size:           4
        .value_kind:     by_value
      - .offset:         200
        .size:           8
        .value_kind:     by_value
      - .offset:         208
        .size:           4
        .value_kind:     hidden_block_count_x
      - .offset:         212
        .size:           4
        .value_kind:     hidden_block_count_y
      - .offset:         216
        .size:           4
        .value_kind:     hidden_block_count_z
      - .offset:         220
        .size:           2
        .value_kind:     hidden_group_size_x
      - .offset:         222
        .size:           2
        .value_kind:     hidden_group_size_y
      - .offset:         224
        .size:           2
        .value_kind:     hidden_group_size_z
      - .offset:         226
        .size:           2
        .value_kind:     hidden_remainder_x
      - .offset:         228
        .size:           2
        .value_kind:     hidden_remainder_y
      - .offset:         230
        .size:           2
        .value_kind:     hidden_remainder_z
      - .offset:         248
        .size:           8
        .value_kind:     hidden_global_offset_x
      - .offset:         256
        .size:           8
        .value_kind:     hidden_global_offset_y
      - .offset:         264
        .size:           8
        .value_kind:     hidden_global_offset_z
      - .offset:         272
        .size:           2
        .value_kind:     hidden_grid_dims
    .group_segment_fixed_size: 6464
    .kernarg_segment_align: 8
    .kernarg_segment_size: 464
    .language:       OpenCL C
    .language_version:
      - 2
      - 0
    .max_flat_workgroup_size: 256
    .name:           _ZL15flash_attn_tileILi112ELi112ELi4ELi2ELb0EEvPKcS1_S1_S1_S1_PKiPfP15HIP_vector_typeIfLj2EEffffjfiS5_IjLj3EEiiiiiiiiiiiliiliiiiil
    .private_segment_fixed_size: 0
    .sgpr_count:     57
    .sgpr_spill_count: 0
    .symbol:         _ZL15flash_attn_tileILi112ELi112ELi4ELi2ELb0EEvPKcS1_S1_S1_S1_PKiPfP15HIP_vector_typeIfLj2EEffffjfiS5_IjLj3EEiiiiiiiiiiiliiliiiiil.kd
    .uniform_work_group_size: 1
    .uses_dynamic_stack: false
    .vgpr_count:     95
    .vgpr_spill_count: 0
    .wavefront_size: 64
  - .agpr_count:     0
    .args:
      - .address_space:  global
        .offset:         0
        .size:           8
        .value_kind:     global_buffer
      - .address_space:  global
        .offset:         8
        .size:           8
        .value_kind:     global_buffer
      - .offset:         16
        .size:           4
        .value_kind:     by_value
      - .offset:         20
        .size:           4
        .value_kind:     by_value
      - .offset:         24
        .size:           4
        .value_kind:     by_value
      - .offset:         28
        .size:           4
        .value_kind:     by_value
      - .offset:         32
        .size:           4
        .value_kind:     by_value
      - .offset:         36
        .size:           4
        .value_kind:     by_value
      - .offset:         40
        .size:           12
        .value_kind:     by_value
      - .offset:         52
        .size:           12
        .value_kind:     by_value
      - .offset:         64
        .size:           12
        .value_kind:     by_value
    .group_segment_fixed_size: 0
    .kernarg_segment_align: 8
    .kernarg_segment_size: 76
    .language:       OpenCL C
    .language_version:
      - 2
      - 0
    .max_flat_workgroup_size: 112
    .name:           _ZL33flash_attn_stream_k_fixup_uniformILi112ELi4ELi2EEvPfPK15HIP_vector_typeIfLj2EEiiiiiiS1_IjLj3EES5_S5_
    .private_segment_fixed_size: 0
    .sgpr_count:     26
    .sgpr_spill_count: 0
    .symbol:         _ZL33flash_attn_stream_k_fixup_uniformILi112ELi4ELi2EEvPfPK15HIP_vector_typeIfLj2EEiiiiiiS1_IjLj3EES5_S5_.kd
    .uniform_work_group_size: 1
    .uses_dynamic_stack: false
    .vgpr_count:     17
    .vgpr_spill_count: 0
    .wavefront_size: 64
  - .agpr_count:     0
    .args:
      - .address_space:  global
        .offset:         0
        .size:           8
        .value_kind:     global_buffer
      - .address_space:  global
        .offset:         8
        .size:           8
        .value_kind:     global_buffer
      - .offset:         16
        .size:           4
        .value_kind:     by_value
      - .offset:         20
        .size:           4
        .value_kind:     by_value
      - .offset:         24
        .size:           4
        .value_kind:     by_value
      - .offset:         28
        .size:           4
        .value_kind:     by_value
      - .offset:         32
        .size:           12
        .value_kind:     by_value
      - .offset:         44
        .size:           12
        .value_kind:     by_value
      - .offset:         56
        .size:           12
        .value_kind:     by_value
      - .offset:         68
        .size:           12
        .value_kind:     by_value
      - .offset:         80
        .size:           4
        .value_kind:     hidden_block_count_x
      - .offset:         84
        .size:           4
        .value_kind:     hidden_block_count_y
      - .offset:         88
        .size:           4
        .value_kind:     hidden_block_count_z
      - .offset:         92
        .size:           2
        .value_kind:     hidden_group_size_x
      - .offset:         94
        .size:           2
        .value_kind:     hidden_group_size_y
      - .offset:         96
        .size:           2
        .value_kind:     hidden_group_size_z
      - .offset:         98
        .size:           2
        .value_kind:     hidden_remainder_x
      - .offset:         100
        .size:           2
        .value_kind:     hidden_remainder_y
      - .offset:         102
        .size:           2
        .value_kind:     hidden_remainder_z
      - .offset:         120
        .size:           8
        .value_kind:     hidden_global_offset_x
      - .offset:         128
        .size:           8
        .value_kind:     hidden_global_offset_y
      - .offset:         136
        .size:           8
        .value_kind:     hidden_global_offset_z
      - .offset:         144
        .size:           2
        .value_kind:     hidden_grid_dims
    .group_segment_fixed_size: 0
    .kernarg_segment_align: 8
    .kernarg_segment_size: 336
    .language:       OpenCL C
    .language_version:
      - 2
      - 0
    .max_flat_workgroup_size: 112
    .name:           _ZL33flash_attn_stream_k_fixup_generalILi112ELi4ELi2EEvPfPK15HIP_vector_typeIfLj2EEiiiiS1_IjLj3EES5_S5_S5_
    .private_segment_fixed_size: 0
    .sgpr_count:     42
    .sgpr_spill_count: 0
    .symbol:         _ZL33flash_attn_stream_k_fixup_generalILi112ELi4ELi2EEvPfPK15HIP_vector_typeIfLj2EEiiiiS1_IjLj3EES5_S5_S5_.kd
    .uniform_work_group_size: 1
    .uses_dynamic_stack: false
    .vgpr_count:     18
    .vgpr_spill_count: 0
    .wavefront_size: 64
  - .agpr_count:     0
    .args:
      - .address_space:  global
        .offset:         0
        .size:           8
        .value_kind:     global_buffer
      - .address_space:  global
        .offset:         8
        .size:           8
        .value_kind:     global_buffer
      - .address_space:  global
        .offset:         16
        .size:           8
        .value_kind:     global_buffer
      - .address_space:  global
        .offset:         24
        .size:           8
        .value_kind:     global_buffer
      - .address_space:  global
        .offset:         32
        .size:           8
        .value_kind:     global_buffer
      - .address_space:  global
        .offset:         40
        .size:           8
        .value_kind:     global_buffer
      - .address_space:  global
        .offset:         48
        .size:           8
        .value_kind:     global_buffer
      - .address_space:  global
        .offset:         56
        .size:           8
        .value_kind:     global_buffer
      - .offset:         64
        .size:           4
        .value_kind:     by_value
      - .offset:         68
        .size:           4
        .value_kind:     by_value
      - .offset:         72
        .size:           4
        .value_kind:     by_value
      - .offset:         76
        .size:           4
        .value_kind:     by_value
      - .offset:         80
        .size:           4
        .value_kind:     by_value
      - .offset:         84
        .size:           4
        .value_kind:     by_value
      - .offset:         88
        .size:           4
        .value_kind:     by_value
      - .offset:         92
        .size:           12
        .value_kind:     by_value
      - .offset:         104
        .size:           4
        .value_kind:     by_value
      - .offset:         108
        .size:           4
        .value_kind:     by_value
      - .offset:         112
        .size:           4
        .value_kind:     by_value
      - .offset:         116
        .size:           4
        .value_kind:     by_value
      - .offset:         120
        .size:           4
        .value_kind:     by_value
      - .offset:         124
        .size:           4
        .value_kind:     by_value
      - .offset:         128
        .size:           4
        .value_kind:     by_value
      - .offset:         132
        .size:           4
        .value_kind:     by_value
      - .offset:         136
        .size:           4
        .value_kind:     by_value
      - .offset:         140
        .size:           4
        .value_kind:     by_value
      - .offset:         144
        .size:           4
        .value_kind:     by_value
      - .offset:         152
        .size:           8
        .value_kind:     by_value
      - .offset:         160
        .size:           4
        .value_kind:     by_value
      - .offset:         164
        .size:           4
        .value_kind:     by_value
      - .offset:         168
        .size:           8
        .value_kind:     by_value
      - .offset:         176
        .size:           4
        .value_kind:     by_value
      - .offset:         180
        .size:           4
        .value_kind:     by_value
      - .offset:         184
        .size:           4
        .value_kind:     by_value
      - .offset:         188
        .size:           4
        .value_kind:     by_value
      - .offset:         192
        .size:           4
        .value_kind:     by_value
      - .offset:         200
        .size:           8
        .value_kind:     by_value
      - .offset:         208
        .size:           4
        .value_kind:     hidden_block_count_x
      - .offset:         212
        .size:           4
        .value_kind:     hidden_block_count_y
      - .offset:         216
        .size:           4
        .value_kind:     hidden_block_count_z
      - .offset:         220
        .size:           2
        .value_kind:     hidden_group_size_x
      - .offset:         222
        .size:           2
        .value_kind:     hidden_group_size_y
      - .offset:         224
        .size:           2
        .value_kind:     hidden_group_size_z
      - .offset:         226
        .size:           2
        .value_kind:     hidden_remainder_x
      - .offset:         228
        .size:           2
        .value_kind:     hidden_remainder_y
      - .offset:         230
        .size:           2
        .value_kind:     hidden_remainder_z
      - .offset:         248
        .size:           8
        .value_kind:     hidden_global_offset_x
      - .offset:         256
        .size:           8
        .value_kind:     hidden_global_offset_y
      - .offset:         264
        .size:           8
        .value_kind:     hidden_global_offset_z
      - .offset:         272
        .size:           2
        .value_kind:     hidden_grid_dims
    .group_segment_fixed_size: 5312
    .kernarg_segment_align: 8
    .kernarg_segment_size: 464
    .language:       OpenCL C
    .language_version:
      - 2
      - 0
    .max_flat_workgroup_size: 128
    .name:           _ZL15flash_attn_tileILi112ELi112ELi2ELi2ELb0EEvPKcS1_S1_S1_S1_PKiPfP15HIP_vector_typeIfLj2EEffffjfiS5_IjLj3EEiiiiiiiiiiiliiliiiiil
    .private_segment_fixed_size: 0
    .sgpr_count:     53
    .sgpr_spill_count: 0
    .symbol:         _ZL15flash_attn_tileILi112ELi112ELi2ELi2ELb0EEvPKcS1_S1_S1_S1_PKiPfP15HIP_vector_typeIfLj2EEffffjfiS5_IjLj3EEiiiiiiiiiiiliiliiiiil.kd
    .uniform_work_group_size: 1
    .uses_dynamic_stack: false
    .vgpr_count:     102
    .vgpr_spill_count: 0
    .wavefront_size: 64
  - .agpr_count:     0
    .args:
      - .address_space:  global
        .offset:         0
        .size:           8
        .value_kind:     global_buffer
      - .address_space:  global
        .offset:         8
        .size:           8
        .value_kind:     global_buffer
      - .offset:         16
        .size:           4
        .value_kind:     by_value
      - .offset:         20
        .size:           4
        .value_kind:     by_value
      - .offset:         24
        .size:           4
        .value_kind:     by_value
      - .offset:         28
        .size:           4
        .value_kind:     by_value
      - .offset:         32
        .size:           4
        .value_kind:     by_value
      - .offset:         36
        .size:           4
        .value_kind:     by_value
      - .offset:         40
        .size:           12
        .value_kind:     by_value
      - .offset:         52
        .size:           12
        .value_kind:     by_value
      - .offset:         64
        .size:           12
        .value_kind:     by_value
    .group_segment_fixed_size: 0
    .kernarg_segment_align: 8
    .kernarg_segment_size: 76
    .language:       OpenCL C
    .language_version:
      - 2
      - 0
    .max_flat_workgroup_size: 112
    .name:           _ZL33flash_attn_stream_k_fixup_uniformILi112ELi2ELi2EEvPfPK15HIP_vector_typeIfLj2EEiiiiiiS1_IjLj3EES5_S5_
    .private_segment_fixed_size: 0
    .sgpr_count:     26
    .sgpr_spill_count: 0
    .symbol:         _ZL33flash_attn_stream_k_fixup_uniformILi112ELi2ELi2EEvPfPK15HIP_vector_typeIfLj2EEiiiiiiS1_IjLj3EES5_S5_.kd
    .uniform_work_group_size: 1
    .uses_dynamic_stack: false
    .vgpr_count:     17
    .vgpr_spill_count: 0
    .wavefront_size: 64
  - .agpr_count:     0
    .args:
      - .address_space:  global
        .offset:         0
        .size:           8
        .value_kind:     global_buffer
      - .address_space:  global
        .offset:         8
        .size:           8
        .value_kind:     global_buffer
      - .offset:         16
        .size:           4
        .value_kind:     by_value
      - .offset:         20
        .size:           4
        .value_kind:     by_value
      - .offset:         24
        .size:           4
        .value_kind:     by_value
      - .offset:         28
        .size:           4
        .value_kind:     by_value
      - .offset:         32
        .size:           12
        .value_kind:     by_value
      - .offset:         44
        .size:           12
        .value_kind:     by_value
      - .offset:         56
        .size:           12
        .value_kind:     by_value
      - .offset:         68
        .size:           12
        .value_kind:     by_value
      - .offset:         80
        .size:           4
        .value_kind:     hidden_block_count_x
      - .offset:         84
        .size:           4
        .value_kind:     hidden_block_count_y
      - .offset:         88
        .size:           4
        .value_kind:     hidden_block_count_z
      - .offset:         92
        .size:           2
        .value_kind:     hidden_group_size_x
      - .offset:         94
        .size:           2
        .value_kind:     hidden_group_size_y
      - .offset:         96
        .size:           2
        .value_kind:     hidden_group_size_z
      - .offset:         98
        .size:           2
        .value_kind:     hidden_remainder_x
      - .offset:         100
        .size:           2
        .value_kind:     hidden_remainder_y
      - .offset:         102
        .size:           2
        .value_kind:     hidden_remainder_z
      - .offset:         120
        .size:           8
        .value_kind:     hidden_global_offset_x
      - .offset:         128
        .size:           8
        .value_kind:     hidden_global_offset_y
      - .offset:         136
        .size:           8
        .value_kind:     hidden_global_offset_z
      - .offset:         144
        .size:           2
        .value_kind:     hidden_grid_dims
    .group_segment_fixed_size: 0
    .kernarg_segment_align: 8
    .kernarg_segment_size: 336
    .language:       OpenCL C
    .language_version:
      - 2
      - 0
    .max_flat_workgroup_size: 112
    .name:           _ZL33flash_attn_stream_k_fixup_generalILi112ELi2ELi2EEvPfPK15HIP_vector_typeIfLj2EEiiiiS1_IjLj3EES5_S5_S5_
    .private_segment_fixed_size: 0
    .sgpr_count:     42
    .sgpr_spill_count: 0
    .symbol:         _ZL33flash_attn_stream_k_fixup_generalILi112ELi2ELi2EEvPfPK15HIP_vector_typeIfLj2EEiiiiS1_IjLj3EES5_S5_S5_.kd
    .uniform_work_group_size: 1
    .uses_dynamic_stack: false
    .vgpr_count:     18
    .vgpr_spill_count: 0
    .wavefront_size: 64
  - .agpr_count:     0
    .args:
      - .address_space:  global
        .offset:         0
        .size:           8
        .value_kind:     global_buffer
      - .address_space:  global
        .offset:         8
        .size:           8
        .value_kind:     global_buffer
      - .address_space:  global
        .offset:         16
        .size:           8
        .value_kind:     global_buffer
      - .address_space:  global
        .offset:         24
        .size:           8
        .value_kind:     global_buffer
      - .address_space:  global
        .offset:         32
        .size:           8
        .value_kind:     global_buffer
      - .address_space:  global
        .offset:         40
        .size:           8
        .value_kind:     global_buffer
      - .address_space:  global
        .offset:         48
        .size:           8
        .value_kind:     global_buffer
      - .address_space:  global
        .offset:         56
        .size:           8
        .value_kind:     global_buffer
      - .offset:         64
        .size:           4
        .value_kind:     by_value
      - .offset:         68
        .size:           4
        .value_kind:     by_value
      - .offset:         72
        .size:           4
        .value_kind:     by_value
      - .offset:         76
        .size:           4
        .value_kind:     by_value
      - .offset:         80
        .size:           4
        .value_kind:     by_value
      - .offset:         84
        .size:           4
        .value_kind:     by_value
      - .offset:         88
        .size:           4
        .value_kind:     by_value
      - .offset:         92
        .size:           12
        .value_kind:     by_value
      - .offset:         104
        .size:           4
        .value_kind:     by_value
      - .offset:         108
        .size:           4
        .value_kind:     by_value
      - .offset:         112
        .size:           4
        .value_kind:     by_value
      - .offset:         116
        .size:           4
        .value_kind:     by_value
      - .offset:         120
        .size:           4
        .value_kind:     by_value
      - .offset:         124
        .size:           4
        .value_kind:     by_value
      - .offset:         128
        .size:           4
        .value_kind:     by_value
      - .offset:         132
        .size:           4
        .value_kind:     by_value
      - .offset:         136
        .size:           4
        .value_kind:     by_value
      - .offset:         140
        .size:           4
        .value_kind:     by_value
      - .offset:         144
        .size:           4
        .value_kind:     by_value
      - .offset:         152
        .size:           8
        .value_kind:     by_value
      - .offset:         160
        .size:           4
        .value_kind:     by_value
      - .offset:         164
        .size:           4
        .value_kind:     by_value
      - .offset:         168
        .size:           8
        .value_kind:     by_value
      - .offset:         176
        .size:           4
        .value_kind:     by_value
      - .offset:         180
        .size:           4
        .value_kind:     by_value
      - .offset:         184
        .size:           4
        .value_kind:     by_value
      - .offset:         188
        .size:           4
        .value_kind:     by_value
      - .offset:         192
        .size:           4
        .value_kind:     by_value
      - .offset:         200
        .size:           8
        .value_kind:     by_value
      - .offset:         208
        .size:           4
        .value_kind:     hidden_block_count_x
      - .offset:         212
        .size:           4
        .value_kind:     hidden_block_count_y
      - .offset:         216
        .size:           4
        .value_kind:     hidden_block_count_z
      - .offset:         220
        .size:           2
        .value_kind:     hidden_group_size_x
      - .offset:         222
        .size:           2
        .value_kind:     hidden_group_size_y
      - .offset:         224
        .size:           2
        .value_kind:     hidden_group_size_z
      - .offset:         226
        .size:           2
        .value_kind:     hidden_remainder_x
      - .offset:         228
        .size:           2
        .value_kind:     hidden_remainder_y
      - .offset:         230
        .size:           2
        .value_kind:     hidden_remainder_z
      - .offset:         248
        .size:           8
        .value_kind:     hidden_global_offset_x
      - .offset:         256
        .size:           8
        .value_kind:     hidden_global_offset_y
      - .offset:         264
        .size:           8
        .value_kind:     hidden_global_offset_z
      - .offset:         272
        .size:           2
        .value_kind:     hidden_grid_dims
    .group_segment_fixed_size: 4736
    .kernarg_segment_align: 8
    .kernarg_segment_size: 464
    .language:       OpenCL C
    .language_version:
      - 2
      - 0
    .max_flat_workgroup_size: 64
    .name:           _ZL15flash_attn_tileILi112ELi112ELi1ELi2ELb0EEvPKcS1_S1_S1_S1_PKiPfP15HIP_vector_typeIfLj2EEffffjfiS5_IjLj3EEiiiiiiiiiiiliiliiiiil
    .private_segment_fixed_size: 0
    .sgpr_count:     50
    .sgpr_spill_count: 0
    .symbol:         _ZL15flash_attn_tileILi112ELi112ELi1ELi2ELb0EEvPKcS1_S1_S1_S1_PKiPfP15HIP_vector_typeIfLj2EEffffjfiS5_IjLj3EEiiiiiiiiiiiliiliiiiil.kd
    .uniform_work_group_size: 1
    .uses_dynamic_stack: false
    .vgpr_count:     114
    .vgpr_spill_count: 0
    .wavefront_size: 64
  - .agpr_count:     0
    .args:
      - .address_space:  global
        .offset:         0
        .size:           8
        .value_kind:     global_buffer
      - .address_space:  global
        .offset:         8
        .size:           8
        .value_kind:     global_buffer
      - .offset:         16
        .size:           4
        .value_kind:     by_value
      - .offset:         20
        .size:           4
        .value_kind:     by_value
      - .offset:         24
        .size:           4
        .value_kind:     by_value
      - .offset:         28
        .size:           4
        .value_kind:     by_value
      - .offset:         32
        .size:           4
        .value_kind:     by_value
      - .offset:         36
        .size:           4
        .value_kind:     by_value
      - .offset:         40
        .size:           12
        .value_kind:     by_value
      - .offset:         52
        .size:           12
        .value_kind:     by_value
      - .offset:         64
        .size:           12
        .value_kind:     by_value
    .group_segment_fixed_size: 0
    .kernarg_segment_align: 8
    .kernarg_segment_size: 76
    .language:       OpenCL C
    .language_version:
      - 2
      - 0
    .max_flat_workgroup_size: 112
    .name:           _ZL33flash_attn_stream_k_fixup_uniformILi112ELi1ELi2EEvPfPK15HIP_vector_typeIfLj2EEiiiiiiS1_IjLj3EES5_S5_
    .private_segment_fixed_size: 0
    .sgpr_count:     26
    .sgpr_spill_count: 0
    .symbol:         _ZL33flash_attn_stream_k_fixup_uniformILi112ELi1ELi2EEvPfPK15HIP_vector_typeIfLj2EEiiiiiiS1_IjLj3EES5_S5_.kd
    .uniform_work_group_size: 1
    .uses_dynamic_stack: false
    .vgpr_count:     17
    .vgpr_spill_count: 0
    .wavefront_size: 64
  - .agpr_count:     0
    .args:
      - .address_space:  global
        .offset:         0
        .size:           8
        .value_kind:     global_buffer
      - .address_space:  global
        .offset:         8
        .size:           8
        .value_kind:     global_buffer
      - .offset:         16
        .size:           4
        .value_kind:     by_value
      - .offset:         20
        .size:           4
        .value_kind:     by_value
      - .offset:         24
        .size:           4
        .value_kind:     by_value
      - .offset:         28
        .size:           4
        .value_kind:     by_value
      - .offset:         32
        .size:           12
        .value_kind:     by_value
      - .offset:         44
        .size:           12
        .value_kind:     by_value
      - .offset:         56
        .size:           12
        .value_kind:     by_value
      - .offset:         68
        .size:           12
        .value_kind:     by_value
      - .offset:         80
        .size:           4
        .value_kind:     hidden_block_count_x
      - .offset:         84
        .size:           4
        .value_kind:     hidden_block_count_y
      - .offset:         88
        .size:           4
        .value_kind:     hidden_block_count_z
      - .offset:         92
        .size:           2
        .value_kind:     hidden_group_size_x
      - .offset:         94
        .size:           2
        .value_kind:     hidden_group_size_y
      - .offset:         96
        .size:           2
        .value_kind:     hidden_group_size_z
      - .offset:         98
        .size:           2
        .value_kind:     hidden_remainder_x
      - .offset:         100
        .size:           2
        .value_kind:     hidden_remainder_y
      - .offset:         102
        .size:           2
        .value_kind:     hidden_remainder_z
      - .offset:         120
        .size:           8
        .value_kind:     hidden_global_offset_x
      - .offset:         128
        .size:           8
        .value_kind:     hidden_global_offset_y
      - .offset:         136
        .size:           8
        .value_kind:     hidden_global_offset_z
      - .offset:         144
        .size:           2
        .value_kind:     hidden_grid_dims
    .group_segment_fixed_size: 0
    .kernarg_segment_align: 8
    .kernarg_segment_size: 336
    .language:       OpenCL C
    .language_version:
      - 2
      - 0
    .max_flat_workgroup_size: 112
    .name:           _ZL33flash_attn_stream_k_fixup_generalILi112ELi1ELi2EEvPfPK15HIP_vector_typeIfLj2EEiiiiS1_IjLj3EES5_S5_S5_
    .private_segment_fixed_size: 0
    .sgpr_count:     43
    .sgpr_spill_count: 0
    .symbol:         _ZL33flash_attn_stream_k_fixup_generalILi112ELi1ELi2EEvPfPK15HIP_vector_typeIfLj2EEiiiiS1_IjLj3EES5_S5_S5_.kd
    .uniform_work_group_size: 1
    .uses_dynamic_stack: false
    .vgpr_count:     18
    .vgpr_spill_count: 0
    .wavefront_size: 64
  - .agpr_count:     0
    .args:
      - .address_space:  global
        .offset:         0
        .size:           8
        .value_kind:     global_buffer
      - .address_space:  global
        .offset:         8
        .size:           8
        .value_kind:     global_buffer
      - .address_space:  global
        .offset:         16
        .size:           8
        .value_kind:     global_buffer
      - .address_space:  global
        .offset:         24
        .size:           8
        .value_kind:     global_buffer
      - .address_space:  global
        .offset:         32
        .size:           8
        .value_kind:     global_buffer
      - .address_space:  global
        .offset:         40
        .size:           8
        .value_kind:     global_buffer
      - .address_space:  global
        .offset:         48
        .size:           8
        .value_kind:     global_buffer
      - .address_space:  global
        .offset:         56
        .size:           8
        .value_kind:     global_buffer
      - .offset:         64
        .size:           4
        .value_kind:     by_value
      - .offset:         68
        .size:           4
        .value_kind:     by_value
      - .offset:         72
        .size:           4
        .value_kind:     by_value
      - .offset:         76
        .size:           4
        .value_kind:     by_value
      - .offset:         80
        .size:           4
        .value_kind:     by_value
      - .offset:         84
        .size:           4
        .value_kind:     by_value
      - .offset:         88
        .size:           4
        .value_kind:     by_value
      - .offset:         92
        .size:           12
        .value_kind:     by_value
      - .offset:         104
        .size:           4
        .value_kind:     by_value
      - .offset:         108
        .size:           4
        .value_kind:     by_value
      - .offset:         112
        .size:           4
        .value_kind:     by_value
      - .offset:         116
        .size:           4
        .value_kind:     by_value
      - .offset:         120
        .size:           4
        .value_kind:     by_value
      - .offset:         124
        .size:           4
        .value_kind:     by_value
      - .offset:         128
        .size:           4
        .value_kind:     by_value
      - .offset:         132
        .size:           4
        .value_kind:     by_value
      - .offset:         136
        .size:           4
        .value_kind:     by_value
      - .offset:         140
        .size:           4
        .value_kind:     by_value
      - .offset:         144
        .size:           4
        .value_kind:     by_value
      - .offset:         152
        .size:           8
        .value_kind:     by_value
      - .offset:         160
        .size:           4
        .value_kind:     by_value
      - .offset:         164
        .size:           4
        .value_kind:     by_value
      - .offset:         168
        .size:           8
        .value_kind:     by_value
      - .offset:         176
        .size:           4
        .value_kind:     by_value
      - .offset:         180
        .size:           4
        .value_kind:     by_value
      - .offset:         184
        .size:           4
        .value_kind:     by_value
      - .offset:         188
        .size:           4
        .value_kind:     by_value
      - .offset:         192
        .size:           4
        .value_kind:     by_value
      - .offset:         200
        .size:           8
        .value_kind:     by_value
      - .offset:         208
        .size:           4
        .value_kind:     hidden_block_count_x
      - .offset:         212
        .size:           4
        .value_kind:     hidden_block_count_y
      - .offset:         216
        .size:           4
        .value_kind:     hidden_block_count_z
      - .offset:         220
        .size:           2
        .value_kind:     hidden_group_size_x
      - .offset:         222
        .size:           2
        .value_kind:     hidden_group_size_y
      - .offset:         224
        .size:           2
        .value_kind:     hidden_group_size_z
      - .offset:         226
        .size:           2
        .value_kind:     hidden_remainder_x
      - .offset:         228
        .size:           2
        .value_kind:     hidden_remainder_y
      - .offset:         230
        .size:           2
        .value_kind:     hidden_remainder_z
      - .offset:         248
        .size:           8
        .value_kind:     hidden_global_offset_x
      - .offset:         256
        .size:           8
        .value_kind:     hidden_global_offset_y
      - .offset:         264
        .size:           8
        .value_kind:     hidden_global_offset_z
      - .offset:         272
        .size:           2
        .value_kind:     hidden_grid_dims
    .group_segment_fixed_size: 22592
    .kernarg_segment_align: 8
    .kernarg_segment_size: 464
    .language:       OpenCL C
    .language_version:
      - 2
      - 0
    .max_flat_workgroup_size: 256
    .name:           _ZL15flash_attn_tileILi112ELi112ELi64ELi1ELb0EEvPKcS1_S1_S1_S1_PKiPfP15HIP_vector_typeIfLj2EEffffjfiS5_IjLj3EEiiiiiiiiiiiliiliiiiil
    .private_segment_fixed_size: 112
    .sgpr_count:     86
    .sgpr_spill_count: 0
    .symbol:         _ZL15flash_attn_tileILi112ELi112ELi64ELi1ELb0EEvPKcS1_S1_S1_S1_PKiPfP15HIP_vector_typeIfLj2EEffffjfiS5_IjLj3EEiiiiiiiiiiiliiliiiiil.kd
    .uniform_work_group_size: 1
    .uses_dynamic_stack: false
    .vgpr_count:     256
    .vgpr_spill_count: 23
    .wavefront_size: 64
  - .agpr_count:     0
    .args:
      - .actual_access:  read_only
        .address_space:  global
        .offset:         0
        .size:           8
        .value_kind:     global_buffer
      - .actual_access:  write_only
        .address_space:  global
        .offset:         8
        .size:           8
        .value_kind:     global_buffer
      - .offset:         16
        .size:           4
        .value_kind:     by_value
      - .offset:         20
        .size:           4
        .value_kind:     by_value
      - .offset:         24
        .size:           4
        .value_kind:     by_value
      - .offset:         32
        .size:           4
        .value_kind:     hidden_block_count_x
      - .offset:         36
        .size:           4
        .value_kind:     hidden_block_count_y
      - .offset:         40
        .size:           4
        .value_kind:     hidden_block_count_z
      - .offset:         44
        .size:           2
        .value_kind:     hidden_group_size_x
      - .offset:         46
        .size:           2
        .value_kind:     hidden_group_size_y
      - .offset:         48
        .size:           2
        .value_kind:     hidden_group_size_z
      - .offset:         50
        .size:           2
        .value_kind:     hidden_remainder_x
      - .offset:         52
        .size:           2
        .value_kind:     hidden_remainder_y
      - .offset:         54
        .size:           2
        .value_kind:     hidden_remainder_z
      - .offset:         72
        .size:           8
        .value_kind:     hidden_global_offset_x
      - .offset:         80
        .size:           8
        .value_kind:     hidden_global_offset_y
      - .offset:         88
        .size:           8
        .value_kind:     hidden_global_offset_z
      - .offset:         96
        .size:           2
        .value_kind:     hidden_grid_dims
    .group_segment_fixed_size: 128
    .kernarg_segment_align: 8
    .kernarg_segment_size: 288
    .language:       OpenCL C
    .language_version:
      - 2
      - 0
    .max_flat_workgroup_size: 128
    .name:           _ZL25flash_attn_mask_to_KV_maxILi64EEvPK7__half2Piiii
    .private_segment_fixed_size: 0
    .sgpr_count:     106
    .sgpr_spill_count: 170
    .symbol:         _ZL25flash_attn_mask_to_KV_maxILi64EEvPK7__half2Piiii.kd
    .uniform_work_group_size: 1
    .uses_dynamic_stack: false
    .vgpr_count:     15
    .vgpr_spill_count: 0
    .wavefront_size: 64
  - .agpr_count:     0
    .args:
      - .address_space:  global
        .offset:         0
        .size:           8
        .value_kind:     global_buffer
      - .address_space:  global
        .offset:         8
        .size:           8
        .value_kind:     global_buffer
      - .offset:         16
        .size:           4
        .value_kind:     by_value
      - .offset:         20
        .size:           4
        .value_kind:     by_value
      - .offset:         24
        .size:           4
        .value_kind:     by_value
      - .offset:         28
        .size:           4
        .value_kind:     by_value
      - .offset:         32
        .size:           4
        .value_kind:     by_value
      - .offset:         36
        .size:           4
        .value_kind:     by_value
      - .offset:         40
        .size:           12
        .value_kind:     by_value
      - .offset:         52
        .size:           12
        .value_kind:     by_value
      - .offset:         64
        .size:           12
        .value_kind:     by_value
    .group_segment_fixed_size: 0
    .kernarg_segment_align: 8
    .kernarg_segment_size: 76
    .language:       OpenCL C
    .language_version:
      - 2
      - 0
    .max_flat_workgroup_size: 112
    .name:           _ZL33flash_attn_stream_k_fixup_uniformILi112ELi64ELi1EEvPfPK15HIP_vector_typeIfLj2EEiiiiiiS1_IjLj3EES5_S5_
    .private_segment_fixed_size: 0
    .sgpr_count:     26
    .sgpr_spill_count: 0
    .symbol:         _ZL33flash_attn_stream_k_fixup_uniformILi112ELi64ELi1EEvPfPK15HIP_vector_typeIfLj2EEiiiiiiS1_IjLj3EES5_S5_.kd
    .uniform_work_group_size: 1
    .uses_dynamic_stack: false
    .vgpr_count:     17
    .vgpr_spill_count: 0
    .wavefront_size: 64
  - .agpr_count:     0
    .args:
      - .address_space:  global
        .offset:         0
        .size:           8
        .value_kind:     global_buffer
      - .address_space:  global
        .offset:         8
        .size:           8
        .value_kind:     global_buffer
      - .offset:         16
        .size:           4
        .value_kind:     by_value
      - .offset:         20
        .size:           4
        .value_kind:     by_value
      - .offset:         24
        .size:           4
        .value_kind:     by_value
      - .offset:         28
        .size:           4
        .value_kind:     by_value
      - .offset:         32
        .size:           12
        .value_kind:     by_value
      - .offset:         44
        .size:           12
        .value_kind:     by_value
      - .offset:         56
        .size:           12
        .value_kind:     by_value
      - .offset:         68
        .size:           12
        .value_kind:     by_value
      - .offset:         80
        .size:           4
        .value_kind:     hidden_block_count_x
      - .offset:         84
        .size:           4
        .value_kind:     hidden_block_count_y
      - .offset:         88
        .size:           4
        .value_kind:     hidden_block_count_z
      - .offset:         92
        .size:           2
        .value_kind:     hidden_group_size_x
      - .offset:         94
        .size:           2
        .value_kind:     hidden_group_size_y
      - .offset:         96
        .size:           2
        .value_kind:     hidden_group_size_z
      - .offset:         98
        .size:           2
        .value_kind:     hidden_remainder_x
      - .offset:         100
        .size:           2
        .value_kind:     hidden_remainder_y
      - .offset:         102
        .size:           2
        .value_kind:     hidden_remainder_z
      - .offset:         120
        .size:           8
        .value_kind:     hidden_global_offset_x
      - .offset:         128
        .size:           8
        .value_kind:     hidden_global_offset_y
      - .offset:         136
        .size:           8
        .value_kind:     hidden_global_offset_z
      - .offset:         144
        .size:           2
        .value_kind:     hidden_grid_dims
    .group_segment_fixed_size: 0
    .kernarg_segment_align: 8
    .kernarg_segment_size: 336
    .language:       OpenCL C
    .language_version:
      - 2
      - 0
    .max_flat_workgroup_size: 112
    .name:           _ZL33flash_attn_stream_k_fixup_generalILi112ELi64ELi1EEvPfPK15HIP_vector_typeIfLj2EEiiiiS1_IjLj3EES5_S5_S5_
    .private_segment_fixed_size: 0
    .sgpr_count:     42
    .sgpr_spill_count: 0
    .symbol:         _ZL33flash_attn_stream_k_fixup_generalILi112ELi64ELi1EEvPfPK15HIP_vector_typeIfLj2EEiiiiS1_IjLj3EES5_S5_S5_.kd
    .uniform_work_group_size: 1
    .uses_dynamic_stack: false
    .vgpr_count:     18
    .vgpr_spill_count: 0
    .wavefront_size: 64
  - .agpr_count:     0
    .args:
      - .address_space:  global
        .offset:         0
        .size:           8
        .value_kind:     global_buffer
      - .address_space:  global
        .offset:         8
        .size:           8
        .value_kind:     global_buffer
      - .address_space:  global
        .offset:         16
        .size:           8
        .value_kind:     global_buffer
      - .address_space:  global
        .offset:         24
        .size:           8
        .value_kind:     global_buffer
      - .address_space:  global
        .offset:         32
        .size:           8
        .value_kind:     global_buffer
      - .address_space:  global
        .offset:         40
        .size:           8
        .value_kind:     global_buffer
      - .address_space:  global
        .offset:         48
        .size:           8
        .value_kind:     global_buffer
      - .address_space:  global
        .offset:         56
        .size:           8
        .value_kind:     global_buffer
      - .offset:         64
        .size:           4
        .value_kind:     by_value
      - .offset:         68
        .size:           4
        .value_kind:     by_value
      - .offset:         72
        .size:           4
        .value_kind:     by_value
      - .offset:         76
        .size:           4
        .value_kind:     by_value
      - .offset:         80
        .size:           4
        .value_kind:     by_value
      - .offset:         84
        .size:           4
        .value_kind:     by_value
      - .offset:         88
        .size:           4
        .value_kind:     by_value
      - .offset:         92
        .size:           12
        .value_kind:     by_value
      - .offset:         104
        .size:           4
        .value_kind:     by_value
      - .offset:         108
        .size:           4
        .value_kind:     by_value
      - .offset:         112
        .size:           4
        .value_kind:     by_value
      - .offset:         116
        .size:           4
        .value_kind:     by_value
      - .offset:         120
        .size:           4
        .value_kind:     by_value
      - .offset:         124
        .size:           4
        .value_kind:     by_value
      - .offset:         128
        .size:           4
        .value_kind:     by_value
      - .offset:         132
        .size:           4
        .value_kind:     by_value
      - .offset:         136
        .size:           4
        .value_kind:     by_value
      - .offset:         140
        .size:           4
        .value_kind:     by_value
      - .offset:         144
        .size:           4
        .value_kind:     by_value
      - .offset:         152
        .size:           8
        .value_kind:     by_value
      - .offset:         160
        .size:           4
        .value_kind:     by_value
      - .offset:         164
        .size:           4
        .value_kind:     by_value
      - .offset:         168
        .size:           8
        .value_kind:     by_value
      - .offset:         176
        .size:           4
        .value_kind:     by_value
      - .offset:         180
        .size:           4
        .value_kind:     by_value
      - .offset:         184
        .size:           4
        .value_kind:     by_value
      - .offset:         188
        .size:           4
        .value_kind:     by_value
      - .offset:         192
        .size:           4
        .value_kind:     by_value
      - .offset:         200
        .size:           8
        .value_kind:     by_value
      - .offset:         208
        .size:           4
        .value_kind:     hidden_block_count_x
      - .offset:         212
        .size:           4
        .value_kind:     hidden_block_count_y
      - .offset:         216
        .size:           4
        .value_kind:     hidden_block_count_z
      - .offset:         220
        .size:           2
        .value_kind:     hidden_group_size_x
      - .offset:         222
        .size:           2
        .value_kind:     hidden_group_size_y
      - .offset:         224
        .size:           2
        .value_kind:     hidden_group_size_z
      - .offset:         226
        .size:           2
        .value_kind:     hidden_remainder_x
      - .offset:         228
        .size:           2
        .value_kind:     hidden_remainder_y
      - .offset:         230
        .size:           2
        .value_kind:     hidden_remainder_z
      - .offset:         248
        .size:           8
        .value_kind:     hidden_global_offset_x
      - .offset:         256
        .size:           8
        .value_kind:     hidden_global_offset_y
      - .offset:         264
        .size:           8
        .value_kind:     hidden_global_offset_z
      - .offset:         272
        .size:           2
        .value_kind:     hidden_grid_dims
    .group_segment_fixed_size: 13376
    .kernarg_segment_align: 8
    .kernarg_segment_size: 464
    .language:       OpenCL C
    .language_version:
      - 2
      - 0
    .max_flat_workgroup_size: 256
    .name:           _ZL15flash_attn_tileILi112ELi112ELi32ELi1ELb0EEvPKcS1_S1_S1_S1_PKiPfP15HIP_vector_typeIfLj2EEffffjfiS5_IjLj3EEiiiiiiiiiiiliiliiiiil
    .private_segment_fixed_size: 32
    .sgpr_count:     70
    .sgpr_spill_count: 0
    .symbol:         _ZL15flash_attn_tileILi112ELi112ELi32ELi1ELb0EEvPKcS1_S1_S1_S1_PKiPfP15HIP_vector_typeIfLj2EEffffjfiS5_IjLj3EEiiiiiiiiiiiliiliiiiil.kd
    .uniform_work_group_size: 1
    .uses_dynamic_stack: false
    .vgpr_count:     182
    .vgpr_spill_count: 0
    .wavefront_size: 64
  - .agpr_count:     0
    .args:
      - .address_space:  global
        .offset:         0
        .size:           8
        .value_kind:     global_buffer
      - .address_space:  global
        .offset:         8
        .size:           8
        .value_kind:     global_buffer
      - .offset:         16
        .size:           4
        .value_kind:     by_value
      - .offset:         20
        .size:           4
        .value_kind:     by_value
      - .offset:         24
        .size:           4
        .value_kind:     by_value
      - .offset:         28
        .size:           4
        .value_kind:     by_value
      - .offset:         32
        .size:           4
        .value_kind:     by_value
      - .offset:         36
        .size:           4
        .value_kind:     by_value
      - .offset:         40
        .size:           12
        .value_kind:     by_value
      - .offset:         52
        .size:           12
        .value_kind:     by_value
      - .offset:         64
        .size:           12
        .value_kind:     by_value
    .group_segment_fixed_size: 0
    .kernarg_segment_align: 8
    .kernarg_segment_size: 76
    .language:       OpenCL C
    .language_version:
      - 2
      - 0
    .max_flat_workgroup_size: 112
    .name:           _ZL33flash_attn_stream_k_fixup_uniformILi112ELi32ELi1EEvPfPK15HIP_vector_typeIfLj2EEiiiiiiS1_IjLj3EES5_S5_
    .private_segment_fixed_size: 0
    .sgpr_count:     26
    .sgpr_spill_count: 0
    .symbol:         _ZL33flash_attn_stream_k_fixup_uniformILi112ELi32ELi1EEvPfPK15HIP_vector_typeIfLj2EEiiiiiiS1_IjLj3EES5_S5_.kd
    .uniform_work_group_size: 1
    .uses_dynamic_stack: false
    .vgpr_count:     17
    .vgpr_spill_count: 0
    .wavefront_size: 64
  - .agpr_count:     0
    .args:
      - .address_space:  global
        .offset:         0
        .size:           8
        .value_kind:     global_buffer
      - .address_space:  global
        .offset:         8
        .size:           8
        .value_kind:     global_buffer
      - .offset:         16
        .size:           4
        .value_kind:     by_value
      - .offset:         20
        .size:           4
        .value_kind:     by_value
      - .offset:         24
        .size:           4
        .value_kind:     by_value
      - .offset:         28
        .size:           4
        .value_kind:     by_value
      - .offset:         32
        .size:           12
        .value_kind:     by_value
      - .offset:         44
        .size:           12
        .value_kind:     by_value
      - .offset:         56
        .size:           12
        .value_kind:     by_value
      - .offset:         68
        .size:           12
        .value_kind:     by_value
      - .offset:         80
        .size:           4
        .value_kind:     hidden_block_count_x
      - .offset:         84
        .size:           4
        .value_kind:     hidden_block_count_y
      - .offset:         88
        .size:           4
        .value_kind:     hidden_block_count_z
      - .offset:         92
        .size:           2
        .value_kind:     hidden_group_size_x
      - .offset:         94
        .size:           2
        .value_kind:     hidden_group_size_y
      - .offset:         96
        .size:           2
        .value_kind:     hidden_group_size_z
      - .offset:         98
        .size:           2
        .value_kind:     hidden_remainder_x
      - .offset:         100
        .size:           2
        .value_kind:     hidden_remainder_y
      - .offset:         102
        .size:           2
        .value_kind:     hidden_remainder_z
      - .offset:         120
        .size:           8
        .value_kind:     hidden_global_offset_x
      - .offset:         128
        .size:           8
        .value_kind:     hidden_global_offset_y
      - .offset:         136
        .size:           8
        .value_kind:     hidden_global_offset_z
      - .offset:         144
        .size:           2
        .value_kind:     hidden_grid_dims
    .group_segment_fixed_size: 0
    .kernarg_segment_align: 8
    .kernarg_segment_size: 336
    .language:       OpenCL C
    .language_version:
      - 2
      - 0
    .max_flat_workgroup_size: 112
    .name:           _ZL33flash_attn_stream_k_fixup_generalILi112ELi32ELi1EEvPfPK15HIP_vector_typeIfLj2EEiiiiS1_IjLj3EES5_S5_S5_
    .private_segment_fixed_size: 0
    .sgpr_count:     42
    .sgpr_spill_count: 0
    .symbol:         _ZL33flash_attn_stream_k_fixup_generalILi112ELi32ELi1EEvPfPK15HIP_vector_typeIfLj2EEiiiiS1_IjLj3EES5_S5_S5_.kd
    .uniform_work_group_size: 1
    .uses_dynamic_stack: false
    .vgpr_count:     18
    .vgpr_spill_count: 0
    .wavefront_size: 64
  - .agpr_count:     0
    .args:
      - .address_space:  global
        .offset:         0
        .size:           8
        .value_kind:     global_buffer
      - .address_space:  global
        .offset:         8
        .size:           8
        .value_kind:     global_buffer
      - .address_space:  global
        .offset:         16
        .size:           8
        .value_kind:     global_buffer
      - .address_space:  global
        .offset:         24
        .size:           8
        .value_kind:     global_buffer
      - .address_space:  global
        .offset:         32
        .size:           8
        .value_kind:     global_buffer
      - .address_space:  global
        .offset:         40
        .size:           8
        .value_kind:     global_buffer
      - .address_space:  global
        .offset:         48
        .size:           8
        .value_kind:     global_buffer
      - .address_space:  global
        .offset:         56
        .size:           8
        .value_kind:     global_buffer
      - .offset:         64
        .size:           4
        .value_kind:     by_value
      - .offset:         68
        .size:           4
        .value_kind:     by_value
      - .offset:         72
        .size:           4
        .value_kind:     by_value
      - .offset:         76
        .size:           4
        .value_kind:     by_value
      - .offset:         80
        .size:           4
        .value_kind:     by_value
      - .offset:         84
        .size:           4
        .value_kind:     by_value
      - .offset:         88
        .size:           4
        .value_kind:     by_value
      - .offset:         92
        .size:           12
        .value_kind:     by_value
      - .offset:         104
        .size:           4
        .value_kind:     by_value
      - .offset:         108
        .size:           4
        .value_kind:     by_value
      - .offset:         112
        .size:           4
        .value_kind:     by_value
      - .offset:         116
        .size:           4
        .value_kind:     by_value
      - .offset:         120
        .size:           4
        .value_kind:     by_value
      - .offset:         124
        .size:           4
        .value_kind:     by_value
      - .offset:         128
        .size:           4
        .value_kind:     by_value
      - .offset:         132
        .size:           4
        .value_kind:     by_value
      - .offset:         136
        .size:           4
        .value_kind:     by_value
      - .offset:         140
        .size:           4
        .value_kind:     by_value
      - .offset:         144
        .size:           4
        .value_kind:     by_value
      - .offset:         152
        .size:           8
        .value_kind:     by_value
      - .offset:         160
        .size:           4
        .value_kind:     by_value
      - .offset:         164
        .size:           4
        .value_kind:     by_value
      - .offset:         168
        .size:           8
        .value_kind:     by_value
      - .offset:         176
        .size:           4
        .value_kind:     by_value
      - .offset:         180
        .size:           4
        .value_kind:     by_value
      - .offset:         184
        .size:           4
        .value_kind:     by_value
      - .offset:         188
        .size:           4
        .value_kind:     by_value
      - .offset:         192
        .size:           4
        .value_kind:     by_value
      - .offset:         200
        .size:           8
        .value_kind:     by_value
      - .offset:         208
        .size:           4
        .value_kind:     hidden_block_count_x
      - .offset:         212
        .size:           4
        .value_kind:     hidden_block_count_y
      - .offset:         216
        .size:           4
        .value_kind:     hidden_block_count_z
      - .offset:         220
        .size:           2
        .value_kind:     hidden_group_size_x
      - .offset:         222
        .size:           2
        .value_kind:     hidden_group_size_y
      - .offset:         224
        .size:           2
        .value_kind:     hidden_group_size_z
      - .offset:         226
        .size:           2
        .value_kind:     hidden_remainder_x
      - .offset:         228
        .size:           2
        .value_kind:     hidden_remainder_y
      - .offset:         230
        .size:           2
        .value_kind:     hidden_remainder_z
      - .offset:         248
        .size:           8
        .value_kind:     hidden_global_offset_x
      - .offset:         256
        .size:           8
        .value_kind:     hidden_global_offset_y
      - .offset:         264
        .size:           8
        .value_kind:     hidden_global_offset_z
      - .offset:         272
        .size:           2
        .value_kind:     hidden_grid_dims
    .group_segment_fixed_size: 8768
    .kernarg_segment_align: 8
    .kernarg_segment_size: 464
    .language:       OpenCL C
    .language_version:
      - 2
      - 0
    .max_flat_workgroup_size: 256
    .name:           _ZL15flash_attn_tileILi112ELi112ELi16ELi1ELb0EEvPKcS1_S1_S1_S1_PKiPfP15HIP_vector_typeIfLj2EEffffjfiS5_IjLj3EEiiiiiiiiiiiliiliiiiil
    .private_segment_fixed_size: 32
    .sgpr_count:     62
    .sgpr_spill_count: 0
    .symbol:         _ZL15flash_attn_tileILi112ELi112ELi16ELi1ELb0EEvPKcS1_S1_S1_S1_PKiPfP15HIP_vector_typeIfLj2EEffffjfiS5_IjLj3EEiiiiiiiiiiiliiliiiiil.kd
    .uniform_work_group_size: 1
    .uses_dynamic_stack: false
    .vgpr_count:     129
    .vgpr_spill_count: 0
    .wavefront_size: 64
  - .agpr_count:     0
    .args:
      - .address_space:  global
        .offset:         0
        .size:           8
        .value_kind:     global_buffer
      - .address_space:  global
        .offset:         8
        .size:           8
        .value_kind:     global_buffer
      - .offset:         16
        .size:           4
        .value_kind:     by_value
      - .offset:         20
        .size:           4
        .value_kind:     by_value
      - .offset:         24
        .size:           4
        .value_kind:     by_value
      - .offset:         28
        .size:           4
        .value_kind:     by_value
      - .offset:         32
        .size:           4
        .value_kind:     by_value
      - .offset:         36
        .size:           4
        .value_kind:     by_value
      - .offset:         40
        .size:           12
        .value_kind:     by_value
      - .offset:         52
        .size:           12
        .value_kind:     by_value
      - .offset:         64
        .size:           12
        .value_kind:     by_value
    .group_segment_fixed_size: 0
    .kernarg_segment_align: 8
    .kernarg_segment_size: 76
    .language:       OpenCL C
    .language_version:
      - 2
      - 0
    .max_flat_workgroup_size: 112
    .name:           _ZL33flash_attn_stream_k_fixup_uniformILi112ELi16ELi1EEvPfPK15HIP_vector_typeIfLj2EEiiiiiiS1_IjLj3EES5_S5_
    .private_segment_fixed_size: 0
    .sgpr_count:     26
    .sgpr_spill_count: 0
    .symbol:         _ZL33flash_attn_stream_k_fixup_uniformILi112ELi16ELi1EEvPfPK15HIP_vector_typeIfLj2EEiiiiiiS1_IjLj3EES5_S5_.kd
    .uniform_work_group_size: 1
    .uses_dynamic_stack: false
    .vgpr_count:     17
    .vgpr_spill_count: 0
    .wavefront_size: 64
  - .agpr_count:     0
    .args:
      - .address_space:  global
        .offset:         0
        .size:           8
        .value_kind:     global_buffer
      - .address_space:  global
        .offset:         8
        .size:           8
        .value_kind:     global_buffer
      - .offset:         16
        .size:           4
        .value_kind:     by_value
      - .offset:         20
        .size:           4
        .value_kind:     by_value
      - .offset:         24
        .size:           4
        .value_kind:     by_value
      - .offset:         28
        .size:           4
        .value_kind:     by_value
      - .offset:         32
        .size:           12
        .value_kind:     by_value
      - .offset:         44
        .size:           12
        .value_kind:     by_value
      - .offset:         56
        .size:           12
        .value_kind:     by_value
      - .offset:         68
        .size:           12
        .value_kind:     by_value
      - .offset:         80
        .size:           4
        .value_kind:     hidden_block_count_x
      - .offset:         84
        .size:           4
        .value_kind:     hidden_block_count_y
      - .offset:         88
        .size:           4
        .value_kind:     hidden_block_count_z
      - .offset:         92
        .size:           2
        .value_kind:     hidden_group_size_x
      - .offset:         94
        .size:           2
        .value_kind:     hidden_group_size_y
      - .offset:         96
        .size:           2
        .value_kind:     hidden_group_size_z
      - .offset:         98
        .size:           2
        .value_kind:     hidden_remainder_x
      - .offset:         100
        .size:           2
        .value_kind:     hidden_remainder_y
      - .offset:         102
        .size:           2
        .value_kind:     hidden_remainder_z
      - .offset:         120
        .size:           8
        .value_kind:     hidden_global_offset_x
      - .offset:         128
        .size:           8
        .value_kind:     hidden_global_offset_y
      - .offset:         136
        .size:           8
        .value_kind:     hidden_global_offset_z
      - .offset:         144
        .size:           2
        .value_kind:     hidden_grid_dims
    .group_segment_fixed_size: 0
    .kernarg_segment_align: 8
    .kernarg_segment_size: 336
    .language:       OpenCL C
    .language_version:
      - 2
      - 0
    .max_flat_workgroup_size: 112
    .name:           _ZL33flash_attn_stream_k_fixup_generalILi112ELi16ELi1EEvPfPK15HIP_vector_typeIfLj2EEiiiiS1_IjLj3EES5_S5_S5_
    .private_segment_fixed_size: 0
    .sgpr_count:     42
    .sgpr_spill_count: 0
    .symbol:         _ZL33flash_attn_stream_k_fixup_generalILi112ELi16ELi1EEvPfPK15HIP_vector_typeIfLj2EEiiiiS1_IjLj3EES5_S5_S5_.kd
    .uniform_work_group_size: 1
    .uses_dynamic_stack: false
    .vgpr_count:     18
    .vgpr_spill_count: 0
    .wavefront_size: 64
  - .agpr_count:     0
    .args:
      - .address_space:  global
        .offset:         0
        .size:           8
        .value_kind:     global_buffer
      - .address_space:  global
        .offset:         8
        .size:           8
        .value_kind:     global_buffer
      - .address_space:  global
        .offset:         16
        .size:           8
        .value_kind:     global_buffer
      - .address_space:  global
        .offset:         24
        .size:           8
        .value_kind:     global_buffer
      - .address_space:  global
        .offset:         32
        .size:           8
        .value_kind:     global_buffer
      - .address_space:  global
        .offset:         40
        .size:           8
        .value_kind:     global_buffer
      - .address_space:  global
        .offset:         48
        .size:           8
        .value_kind:     global_buffer
      - .address_space:  global
        .offset:         56
        .size:           8
        .value_kind:     global_buffer
      - .offset:         64
        .size:           4
        .value_kind:     by_value
      - .offset:         68
        .size:           4
        .value_kind:     by_value
      - .offset:         72
        .size:           4
        .value_kind:     by_value
      - .offset:         76
        .size:           4
        .value_kind:     by_value
      - .offset:         80
        .size:           4
        .value_kind:     by_value
      - .offset:         84
        .size:           4
        .value_kind:     by_value
      - .offset:         88
        .size:           4
        .value_kind:     by_value
      - .offset:         92
        .size:           12
        .value_kind:     by_value
      - .offset:         104
        .size:           4
        .value_kind:     by_value
      - .offset:         108
        .size:           4
        .value_kind:     by_value
      - .offset:         112
        .size:           4
        .value_kind:     by_value
      - .offset:         116
        .size:           4
        .value_kind:     by_value
      - .offset:         120
        .size:           4
        .value_kind:     by_value
      - .offset:         124
        .size:           4
        .value_kind:     by_value
      - .offset:         128
        .size:           4
        .value_kind:     by_value
      - .offset:         132
        .size:           4
        .value_kind:     by_value
      - .offset:         136
        .size:           4
        .value_kind:     by_value
      - .offset:         140
        .size:           4
        .value_kind:     by_value
      - .offset:         144
        .size:           4
        .value_kind:     by_value
      - .offset:         152
        .size:           8
        .value_kind:     by_value
      - .offset:         160
        .size:           4
        .value_kind:     by_value
      - .offset:         164
        .size:           4
        .value_kind:     by_value
      - .offset:         168
        .size:           8
        .value_kind:     by_value
      - .offset:         176
        .size:           4
        .value_kind:     by_value
      - .offset:         180
        .size:           4
        .value_kind:     by_value
      - .offset:         184
        .size:           4
        .value_kind:     by_value
      - .offset:         188
        .size:           4
        .value_kind:     by_value
      - .offset:         192
        .size:           4
        .value_kind:     by_value
      - .offset:         200
        .size:           8
        .value_kind:     by_value
      - .offset:         208
        .size:           4
        .value_kind:     hidden_block_count_x
      - .offset:         212
        .size:           4
        .value_kind:     hidden_block_count_y
      - .offset:         216
        .size:           4
        .value_kind:     hidden_block_count_z
      - .offset:         220
        .size:           2
        .value_kind:     hidden_group_size_x
      - .offset:         222
        .size:           2
        .value_kind:     hidden_group_size_y
      - .offset:         224
        .size:           2
        .value_kind:     hidden_group_size_z
      - .offset:         226
        .size:           2
        .value_kind:     hidden_remainder_x
      - .offset:         228
        .size:           2
        .value_kind:     hidden_remainder_y
      - .offset:         230
        .size:           2
        .value_kind:     hidden_remainder_z
      - .offset:         248
        .size:           8
        .value_kind:     hidden_global_offset_x
      - .offset:         256
        .size:           8
        .value_kind:     hidden_global_offset_y
      - .offset:         264
        .size:           8
        .value_kind:     hidden_global_offset_z
      - .offset:         272
        .size:           2
        .value_kind:     hidden_grid_dims
    .group_segment_fixed_size: 6464
    .kernarg_segment_align: 8
    .kernarg_segment_size: 464
    .language:       OpenCL C
    .language_version:
      - 2
      - 0
    .max_flat_workgroup_size: 256
    .name:           _ZL15flash_attn_tileILi112ELi112ELi8ELi1ELb0EEvPKcS1_S1_S1_S1_PKiPfP15HIP_vector_typeIfLj2EEffffjfiS5_IjLj3EEiiiiiiiiiiiliiliiiiil
    .private_segment_fixed_size: 32
    .sgpr_count:     57
    .sgpr_spill_count: 0
    .symbol:         _ZL15flash_attn_tileILi112ELi112ELi8ELi1ELb0EEvPKcS1_S1_S1_S1_PKiPfP15HIP_vector_typeIfLj2EEffffjfiS5_IjLj3EEiiiiiiiiiiiliiliiiiil.kd
    .uniform_work_group_size: 1
    .uses_dynamic_stack: false
    .vgpr_count:     102
    .vgpr_spill_count: 0
    .wavefront_size: 64
  - .agpr_count:     0
    .args:
      - .address_space:  global
        .offset:         0
        .size:           8
        .value_kind:     global_buffer
      - .address_space:  global
        .offset:         8
        .size:           8
        .value_kind:     global_buffer
      - .offset:         16
        .size:           4
        .value_kind:     by_value
      - .offset:         20
        .size:           4
        .value_kind:     by_value
      - .offset:         24
        .size:           4
        .value_kind:     by_value
      - .offset:         28
        .size:           4
        .value_kind:     by_value
      - .offset:         32
        .size:           4
        .value_kind:     by_value
      - .offset:         36
        .size:           4
        .value_kind:     by_value
      - .offset:         40
        .size:           12
        .value_kind:     by_value
      - .offset:         52
        .size:           12
        .value_kind:     by_value
      - .offset:         64
        .size:           12
        .value_kind:     by_value
    .group_segment_fixed_size: 0
    .kernarg_segment_align: 8
    .kernarg_segment_size: 76
    .language:       OpenCL C
    .language_version:
      - 2
      - 0
    .max_flat_workgroup_size: 112
    .name:           _ZL33flash_attn_stream_k_fixup_uniformILi112ELi8ELi1EEvPfPK15HIP_vector_typeIfLj2EEiiiiiiS1_IjLj3EES5_S5_
    .private_segment_fixed_size: 0
    .sgpr_count:     26
    .sgpr_spill_count: 0
    .symbol:         _ZL33flash_attn_stream_k_fixup_uniformILi112ELi8ELi1EEvPfPK15HIP_vector_typeIfLj2EEiiiiiiS1_IjLj3EES5_S5_.kd
    .uniform_work_group_size: 1
    .uses_dynamic_stack: false
    .vgpr_count:     17
    .vgpr_spill_count: 0
    .wavefront_size: 64
  - .agpr_count:     0
    .args:
      - .address_space:  global
        .offset:         0
        .size:           8
        .value_kind:     global_buffer
      - .address_space:  global
        .offset:         8
        .size:           8
        .value_kind:     global_buffer
      - .offset:         16
        .size:           4
        .value_kind:     by_value
      - .offset:         20
        .size:           4
        .value_kind:     by_value
      - .offset:         24
        .size:           4
        .value_kind:     by_value
      - .offset:         28
        .size:           4
        .value_kind:     by_value
      - .offset:         32
        .size:           12
        .value_kind:     by_value
      - .offset:         44
        .size:           12
        .value_kind:     by_value
      - .offset:         56
        .size:           12
        .value_kind:     by_value
      - .offset:         68
        .size:           12
        .value_kind:     by_value
      - .offset:         80
        .size:           4
        .value_kind:     hidden_block_count_x
      - .offset:         84
        .size:           4
        .value_kind:     hidden_block_count_y
      - .offset:         88
        .size:           4
        .value_kind:     hidden_block_count_z
      - .offset:         92
        .size:           2
        .value_kind:     hidden_group_size_x
      - .offset:         94
        .size:           2
        .value_kind:     hidden_group_size_y
      - .offset:         96
        .size:           2
        .value_kind:     hidden_group_size_z
      - .offset:         98
        .size:           2
        .value_kind:     hidden_remainder_x
      - .offset:         100
        .size:           2
        .value_kind:     hidden_remainder_y
      - .offset:         102
        .size:           2
        .value_kind:     hidden_remainder_z
      - .offset:         120
        .size:           8
        .value_kind:     hidden_global_offset_x
      - .offset:         128
        .size:           8
        .value_kind:     hidden_global_offset_y
      - .offset:         136
        .size:           8
        .value_kind:     hidden_global_offset_z
      - .offset:         144
        .size:           2
        .value_kind:     hidden_grid_dims
    .group_segment_fixed_size: 0
    .kernarg_segment_align: 8
    .kernarg_segment_size: 336
    .language:       OpenCL C
    .language_version:
      - 2
      - 0
    .max_flat_workgroup_size: 112
    .name:           _ZL33flash_attn_stream_k_fixup_generalILi112ELi8ELi1EEvPfPK15HIP_vector_typeIfLj2EEiiiiS1_IjLj3EES5_S5_S5_
    .private_segment_fixed_size: 0
    .sgpr_count:     42
    .sgpr_spill_count: 0
    .symbol:         _ZL33flash_attn_stream_k_fixup_generalILi112ELi8ELi1EEvPfPK15HIP_vector_typeIfLj2EEiiiiS1_IjLj3EES5_S5_S5_.kd
    .uniform_work_group_size: 1
    .uses_dynamic_stack: false
    .vgpr_count:     18
    .vgpr_spill_count: 0
    .wavefront_size: 64
  - .agpr_count:     0
    .args:
      - .address_space:  global
        .offset:         0
        .size:           8
        .value_kind:     global_buffer
      - .address_space:  global
        .offset:         8
        .size:           8
        .value_kind:     global_buffer
      - .address_space:  global
        .offset:         16
        .size:           8
        .value_kind:     global_buffer
      - .address_space:  global
        .offset:         24
        .size:           8
        .value_kind:     global_buffer
      - .address_space:  global
        .offset:         32
        .size:           8
        .value_kind:     global_buffer
      - .address_space:  global
        .offset:         40
        .size:           8
        .value_kind:     global_buffer
      - .address_space:  global
        .offset:         48
        .size:           8
        .value_kind:     global_buffer
      - .address_space:  global
        .offset:         56
        .size:           8
        .value_kind:     global_buffer
      - .offset:         64
        .size:           4
        .value_kind:     by_value
      - .offset:         68
        .size:           4
        .value_kind:     by_value
      - .offset:         72
        .size:           4
        .value_kind:     by_value
      - .offset:         76
        .size:           4
        .value_kind:     by_value
      - .offset:         80
        .size:           4
        .value_kind:     by_value
      - .offset:         84
        .size:           4
        .value_kind:     by_value
      - .offset:         88
        .size:           4
        .value_kind:     by_value
      - .offset:         92
        .size:           12
        .value_kind:     by_value
      - .offset:         104
        .size:           4
        .value_kind:     by_value
      - .offset:         108
        .size:           4
        .value_kind:     by_value
      - .offset:         112
        .size:           4
        .value_kind:     by_value
      - .offset:         116
        .size:           4
        .value_kind:     by_value
      - .offset:         120
        .size:           4
        .value_kind:     by_value
      - .offset:         124
        .size:           4
        .value_kind:     by_value
      - .offset:         128
        .size:           4
        .value_kind:     by_value
      - .offset:         132
        .size:           4
        .value_kind:     by_value
      - .offset:         136
        .size:           4
        .value_kind:     by_value
      - .offset:         140
        .size:           4
        .value_kind:     by_value
      - .offset:         144
        .size:           4
        .value_kind:     by_value
      - .offset:         152
        .size:           8
        .value_kind:     by_value
      - .offset:         160
        .size:           4
        .value_kind:     by_value
      - .offset:         164
        .size:           4
        .value_kind:     by_value
      - .offset:         168
        .size:           8
        .value_kind:     by_value
      - .offset:         176
        .size:           4
        .value_kind:     by_value
      - .offset:         180
        .size:           4
        .value_kind:     by_value
      - .offset:         184
        .size:           4
        .value_kind:     by_value
      - .offset:         188
        .size:           4
        .value_kind:     by_value
      - .offset:         192
        .size:           4
        .value_kind:     by_value
      - .offset:         200
        .size:           8
        .value_kind:     by_value
      - .offset:         208
        .size:           4
        .value_kind:     hidden_block_count_x
      - .offset:         212
        .size:           4
        .value_kind:     hidden_block_count_y
      - .offset:         216
        .size:           4
        .value_kind:     hidden_block_count_z
      - .offset:         220
        .size:           2
        .value_kind:     hidden_group_size_x
      - .offset:         222
        .size:           2
        .value_kind:     hidden_group_size_y
      - .offset:         224
        .size:           2
        .value_kind:     hidden_group_size_z
      - .offset:         226
        .size:           2
        .value_kind:     hidden_remainder_x
      - .offset:         228
        .size:           2
        .value_kind:     hidden_remainder_y
      - .offset:         230
        .size:           2
        .value_kind:     hidden_remainder_z
      - .offset:         248
        .size:           8
        .value_kind:     hidden_global_offset_x
      - .offset:         256
        .size:           8
        .value_kind:     hidden_global_offset_y
      - .offset:         264
        .size:           8
        .value_kind:     hidden_global_offset_z
      - .offset:         272
        .size:           2
        .value_kind:     hidden_grid_dims
    .group_segment_fixed_size: 5312
    .kernarg_segment_align: 8
    .kernarg_segment_size: 464
    .language:       OpenCL C
    .language_version:
      - 2
      - 0
    .max_flat_workgroup_size: 128
    .name:           _ZL15flash_attn_tileILi112ELi112ELi4ELi1ELb0EEvPKcS1_S1_S1_S1_PKiPfP15HIP_vector_typeIfLj2EEffffjfiS5_IjLj3EEiiiiiiiiiiiliiliiiiil
    .private_segment_fixed_size: 32
    .sgpr_count:     54
    .sgpr_spill_count: 0
    .symbol:         _ZL15flash_attn_tileILi112ELi112ELi4ELi1ELb0EEvPKcS1_S1_S1_S1_PKiPfP15HIP_vector_typeIfLj2EEffffjfiS5_IjLj3EEiiiiiiiiiiiliiliiiiil.kd
    .uniform_work_group_size: 1
    .uses_dynamic_stack: false
    .vgpr_count:     105
    .vgpr_spill_count: 0
    .wavefront_size: 64
  - .agpr_count:     0
    .args:
      - .address_space:  global
        .offset:         0
        .size:           8
        .value_kind:     global_buffer
      - .address_space:  global
        .offset:         8
        .size:           8
        .value_kind:     global_buffer
      - .offset:         16
        .size:           4
        .value_kind:     by_value
      - .offset:         20
        .size:           4
        .value_kind:     by_value
      - .offset:         24
        .size:           4
        .value_kind:     by_value
      - .offset:         28
        .size:           4
        .value_kind:     by_value
      - .offset:         32
        .size:           4
        .value_kind:     by_value
      - .offset:         36
        .size:           4
        .value_kind:     by_value
      - .offset:         40
        .size:           12
        .value_kind:     by_value
      - .offset:         52
        .size:           12
        .value_kind:     by_value
      - .offset:         64
        .size:           12
        .value_kind:     by_value
    .group_segment_fixed_size: 0
    .kernarg_segment_align: 8
    .kernarg_segment_size: 76
    .language:       OpenCL C
    .language_version:
      - 2
      - 0
    .max_flat_workgroup_size: 112
    .name:           _ZL33flash_attn_stream_k_fixup_uniformILi112ELi4ELi1EEvPfPK15HIP_vector_typeIfLj2EEiiiiiiS1_IjLj3EES5_S5_
    .private_segment_fixed_size: 0
    .sgpr_count:     26
    .sgpr_spill_count: 0
    .symbol:         _ZL33flash_attn_stream_k_fixup_uniformILi112ELi4ELi1EEvPfPK15HIP_vector_typeIfLj2EEiiiiiiS1_IjLj3EES5_S5_.kd
    .uniform_work_group_size: 1
    .uses_dynamic_stack: false
    .vgpr_count:     17
    .vgpr_spill_count: 0
    .wavefront_size: 64
  - .agpr_count:     0
    .args:
      - .address_space:  global
        .offset:         0
        .size:           8
        .value_kind:     global_buffer
      - .address_space:  global
        .offset:         8
        .size:           8
        .value_kind:     global_buffer
      - .offset:         16
        .size:           4
        .value_kind:     by_value
      - .offset:         20
        .size:           4
        .value_kind:     by_value
      - .offset:         24
        .size:           4
        .value_kind:     by_value
      - .offset:         28
        .size:           4
        .value_kind:     by_value
      - .offset:         32
        .size:           12
        .value_kind:     by_value
      - .offset:         44
        .size:           12
        .value_kind:     by_value
      - .offset:         56
        .size:           12
        .value_kind:     by_value
      - .offset:         68
        .size:           12
        .value_kind:     by_value
      - .offset:         80
        .size:           4
        .value_kind:     hidden_block_count_x
      - .offset:         84
        .size:           4
        .value_kind:     hidden_block_count_y
      - .offset:         88
        .size:           4
        .value_kind:     hidden_block_count_z
      - .offset:         92
        .size:           2
        .value_kind:     hidden_group_size_x
      - .offset:         94
        .size:           2
        .value_kind:     hidden_group_size_y
      - .offset:         96
        .size:           2
        .value_kind:     hidden_group_size_z
      - .offset:         98
        .size:           2
        .value_kind:     hidden_remainder_x
      - .offset:         100
        .size:           2
        .value_kind:     hidden_remainder_y
      - .offset:         102
        .size:           2
        .value_kind:     hidden_remainder_z
      - .offset:         120
        .size:           8
        .value_kind:     hidden_global_offset_x
      - .offset:         128
        .size:           8
        .value_kind:     hidden_global_offset_y
      - .offset:         136
        .size:           8
        .value_kind:     hidden_global_offset_z
      - .offset:         144
        .size:           2
        .value_kind:     hidden_grid_dims
    .group_segment_fixed_size: 0
    .kernarg_segment_align: 8
    .kernarg_segment_size: 336
    .language:       OpenCL C
    .language_version:
      - 2
      - 0
    .max_flat_workgroup_size: 112
    .name:           _ZL33flash_attn_stream_k_fixup_generalILi112ELi4ELi1EEvPfPK15HIP_vector_typeIfLj2EEiiiiS1_IjLj3EES5_S5_S5_
    .private_segment_fixed_size: 0
    .sgpr_count:     42
    .sgpr_spill_count: 0
    .symbol:         _ZL33flash_attn_stream_k_fixup_generalILi112ELi4ELi1EEvPfPK15HIP_vector_typeIfLj2EEiiiiS1_IjLj3EES5_S5_S5_.kd
    .uniform_work_group_size: 1
    .uses_dynamic_stack: false
    .vgpr_count:     18
    .vgpr_spill_count: 0
    .wavefront_size: 64
  - .agpr_count:     0
    .args:
      - .address_space:  global
        .offset:         0
        .size:           8
        .value_kind:     global_buffer
      - .address_space:  global
        .offset:         8
        .size:           8
        .value_kind:     global_buffer
      - .address_space:  global
        .offset:         16
        .size:           8
        .value_kind:     global_buffer
      - .address_space:  global
        .offset:         24
        .size:           8
        .value_kind:     global_buffer
      - .address_space:  global
        .offset:         32
        .size:           8
        .value_kind:     global_buffer
      - .address_space:  global
        .offset:         40
        .size:           8
        .value_kind:     global_buffer
      - .address_space:  global
        .offset:         48
        .size:           8
        .value_kind:     global_buffer
      - .address_space:  global
        .offset:         56
        .size:           8
        .value_kind:     global_buffer
      - .offset:         64
        .size:           4
        .value_kind:     by_value
      - .offset:         68
        .size:           4
        .value_kind:     by_value
      - .offset:         72
        .size:           4
        .value_kind:     by_value
      - .offset:         76
        .size:           4
        .value_kind:     by_value
      - .offset:         80
        .size:           4
        .value_kind:     by_value
      - .offset:         84
        .size:           4
        .value_kind:     by_value
      - .offset:         88
        .size:           4
        .value_kind:     by_value
      - .offset:         92
        .size:           12
        .value_kind:     by_value
      - .offset:         104
        .size:           4
        .value_kind:     by_value
      - .offset:         108
        .size:           4
        .value_kind:     by_value
      - .offset:         112
        .size:           4
        .value_kind:     by_value
      - .offset:         116
        .size:           4
        .value_kind:     by_value
      - .offset:         120
        .size:           4
        .value_kind:     by_value
      - .offset:         124
        .size:           4
        .value_kind:     by_value
      - .offset:         128
        .size:           4
        .value_kind:     by_value
      - .offset:         132
        .size:           4
        .value_kind:     by_value
      - .offset:         136
        .size:           4
        .value_kind:     by_value
      - .offset:         140
        .size:           4
        .value_kind:     by_value
      - .offset:         144
        .size:           4
        .value_kind:     by_value
      - .offset:         152
        .size:           8
        .value_kind:     by_value
      - .offset:         160
        .size:           4
        .value_kind:     by_value
      - .offset:         164
        .size:           4
        .value_kind:     by_value
      - .offset:         168
        .size:           8
        .value_kind:     by_value
      - .offset:         176
        .size:           4
        .value_kind:     by_value
      - .offset:         180
        .size:           4
        .value_kind:     by_value
      - .offset:         184
        .size:           4
        .value_kind:     by_value
      - .offset:         188
        .size:           4
        .value_kind:     by_value
      - .offset:         192
        .size:           4
        .value_kind:     by_value
      - .offset:         200
        .size:           8
        .value_kind:     by_value
      - .offset:         208
        .size:           4
        .value_kind:     hidden_block_count_x
      - .offset:         212
        .size:           4
        .value_kind:     hidden_block_count_y
      - .offset:         216
        .size:           4
        .value_kind:     hidden_block_count_z
      - .offset:         220
        .size:           2
        .value_kind:     hidden_group_size_x
      - .offset:         222
        .size:           2
        .value_kind:     hidden_group_size_y
      - .offset:         224
        .size:           2
        .value_kind:     hidden_group_size_z
      - .offset:         226
        .size:           2
        .value_kind:     hidden_remainder_x
      - .offset:         228
        .size:           2
        .value_kind:     hidden_remainder_y
      - .offset:         230
        .size:           2
        .value_kind:     hidden_remainder_z
      - .offset:         248
        .size:           8
        .value_kind:     hidden_global_offset_x
      - .offset:         256
        .size:           8
        .value_kind:     hidden_global_offset_y
      - .offset:         264
        .size:           8
        .value_kind:     hidden_global_offset_z
      - .offset:         272
        .size:           2
        .value_kind:     hidden_grid_dims
    .group_segment_fixed_size: 4736
    .kernarg_segment_align: 8
    .kernarg_segment_size: 464
    .language:       OpenCL C
    .language_version:
      - 2
      - 0
    .max_flat_workgroup_size: 64
    .name:           _ZL15flash_attn_tileILi112ELi112ELi2ELi1ELb0EEvPKcS1_S1_S1_S1_PKiPfP15HIP_vector_typeIfLj2EEffffjfiS5_IjLj3EEiiiiiiiiiiiliiliiiiil
    .private_segment_fixed_size: 32
    .sgpr_count:     54
    .sgpr_spill_count: 0
    .symbol:         _ZL15flash_attn_tileILi112ELi112ELi2ELi1ELb0EEvPKcS1_S1_S1_S1_PKiPfP15HIP_vector_typeIfLj2EEffffjfiS5_IjLj3EEiiiiiiiiiiiliiliiiiil.kd
    .uniform_work_group_size: 1
    .uses_dynamic_stack: false
    .vgpr_count:     119
    .vgpr_spill_count: 0
    .wavefront_size: 64
  - .agpr_count:     0
    .args:
      - .address_space:  global
        .offset:         0
        .size:           8
        .value_kind:     global_buffer
      - .address_space:  global
        .offset:         8
        .size:           8
        .value_kind:     global_buffer
      - .offset:         16
        .size:           4
        .value_kind:     by_value
      - .offset:         20
        .size:           4
        .value_kind:     by_value
      - .offset:         24
        .size:           4
        .value_kind:     by_value
      - .offset:         28
        .size:           4
        .value_kind:     by_value
      - .offset:         32
        .size:           4
        .value_kind:     by_value
      - .offset:         36
        .size:           4
        .value_kind:     by_value
      - .offset:         40
        .size:           12
        .value_kind:     by_value
      - .offset:         52
        .size:           12
        .value_kind:     by_value
      - .offset:         64
        .size:           12
        .value_kind:     by_value
    .group_segment_fixed_size: 0
    .kernarg_segment_align: 8
    .kernarg_segment_size: 76
    .language:       OpenCL C
    .language_version:
      - 2
      - 0
    .max_flat_workgroup_size: 112
    .name:           _ZL33flash_attn_stream_k_fixup_uniformILi112ELi2ELi1EEvPfPK15HIP_vector_typeIfLj2EEiiiiiiS1_IjLj3EES5_S5_
    .private_segment_fixed_size: 0
    .sgpr_count:     26
    .sgpr_spill_count: 0
    .symbol:         _ZL33flash_attn_stream_k_fixup_uniformILi112ELi2ELi1EEvPfPK15HIP_vector_typeIfLj2EEiiiiiiS1_IjLj3EES5_S5_.kd
    .uniform_work_group_size: 1
    .uses_dynamic_stack: false
    .vgpr_count:     17
    .vgpr_spill_count: 0
    .wavefront_size: 64
  - .agpr_count:     0
    .args:
      - .address_space:  global
        .offset:         0
        .size:           8
        .value_kind:     global_buffer
      - .address_space:  global
        .offset:         8
        .size:           8
        .value_kind:     global_buffer
      - .offset:         16
        .size:           4
        .value_kind:     by_value
      - .offset:         20
        .size:           4
        .value_kind:     by_value
      - .offset:         24
        .size:           4
        .value_kind:     by_value
      - .offset:         28
        .size:           4
        .value_kind:     by_value
      - .offset:         32
        .size:           12
        .value_kind:     by_value
      - .offset:         44
        .size:           12
        .value_kind:     by_value
      - .offset:         56
        .size:           12
        .value_kind:     by_value
      - .offset:         68
        .size:           12
        .value_kind:     by_value
      - .offset:         80
        .size:           4
        .value_kind:     hidden_block_count_x
      - .offset:         84
        .size:           4
        .value_kind:     hidden_block_count_y
      - .offset:         88
        .size:           4
        .value_kind:     hidden_block_count_z
      - .offset:         92
        .size:           2
        .value_kind:     hidden_group_size_x
      - .offset:         94
        .size:           2
        .value_kind:     hidden_group_size_y
      - .offset:         96
        .size:           2
        .value_kind:     hidden_group_size_z
      - .offset:         98
        .size:           2
        .value_kind:     hidden_remainder_x
      - .offset:         100
        .size:           2
        .value_kind:     hidden_remainder_y
      - .offset:         102
        .size:           2
        .value_kind:     hidden_remainder_z
      - .offset:         120
        .size:           8
        .value_kind:     hidden_global_offset_x
      - .offset:         128
        .size:           8
        .value_kind:     hidden_global_offset_y
      - .offset:         136
        .size:           8
        .value_kind:     hidden_global_offset_z
      - .offset:         144
        .size:           2
        .value_kind:     hidden_grid_dims
    .group_segment_fixed_size: 0
    .kernarg_segment_align: 8
    .kernarg_segment_size: 336
    .language:       OpenCL C
    .language_version:
      - 2
      - 0
    .max_flat_workgroup_size: 112
    .name:           _ZL33flash_attn_stream_k_fixup_generalILi112ELi2ELi1EEvPfPK15HIP_vector_typeIfLj2EEiiiiS1_IjLj3EES5_S5_S5_
    .private_segment_fixed_size: 0
    .sgpr_count:     42
    .sgpr_spill_count: 0
    .symbol:         _ZL33flash_attn_stream_k_fixup_generalILi112ELi2ELi1EEvPfPK15HIP_vector_typeIfLj2EEiiiiS1_IjLj3EES5_S5_S5_.kd
    .uniform_work_group_size: 1
    .uses_dynamic_stack: false
    .vgpr_count:     18
    .vgpr_spill_count: 0
    .wavefront_size: 64
  - .agpr_count:     0
    .args:
      - .address_space:  global
        .offset:         0
        .size:           8
        .value_kind:     global_buffer
      - .address_space:  global
        .offset:         8
        .size:           8
        .value_kind:     global_buffer
      - .address_space:  global
        .offset:         16
        .size:           8
        .value_kind:     global_buffer
      - .address_space:  global
        .offset:         24
        .size:           8
        .value_kind:     global_buffer
      - .address_space:  global
        .offset:         32
        .size:           8
        .value_kind:     global_buffer
      - .address_space:  global
        .offset:         40
        .size:           8
        .value_kind:     global_buffer
      - .address_space:  global
        .offset:         48
        .size:           8
        .value_kind:     global_buffer
      - .address_space:  global
        .offset:         56
        .size:           8
        .value_kind:     global_buffer
      - .offset:         64
        .size:           4
        .value_kind:     by_value
      - .offset:         68
        .size:           4
        .value_kind:     by_value
      - .offset:         72
        .size:           4
        .value_kind:     by_value
      - .offset:         76
        .size:           4
        .value_kind:     by_value
      - .offset:         80
        .size:           4
        .value_kind:     by_value
      - .offset:         84
        .size:           4
        .value_kind:     by_value
      - .offset:         88
        .size:           4
        .value_kind:     by_value
      - .offset:         92
        .size:           12
        .value_kind:     by_value
      - .offset:         104
        .size:           4
        .value_kind:     by_value
      - .offset:         108
        .size:           4
        .value_kind:     by_value
      - .offset:         112
        .size:           4
        .value_kind:     by_value
      - .offset:         116
        .size:           4
        .value_kind:     by_value
      - .offset:         120
        .size:           4
        .value_kind:     by_value
      - .offset:         124
        .size:           4
        .value_kind:     by_value
      - .offset:         128
        .size:           4
        .value_kind:     by_value
      - .offset:         132
        .size:           4
        .value_kind:     by_value
      - .offset:         136
        .size:           4
        .value_kind:     by_value
      - .offset:         140
        .size:           4
        .value_kind:     by_value
      - .offset:         144
        .size:           4
        .value_kind:     by_value
      - .offset:         152
        .size:           8
        .value_kind:     by_value
      - .offset:         160
        .size:           4
        .value_kind:     by_value
      - .offset:         164
        .size:           4
        .value_kind:     by_value
      - .offset:         168
        .size:           8
        .value_kind:     by_value
      - .offset:         176
        .size:           4
        .value_kind:     by_value
      - .offset:         180
        .size:           4
        .value_kind:     by_value
      - .offset:         184
        .size:           4
        .value_kind:     by_value
      - .offset:         188
        .size:           4
        .value_kind:     by_value
      - .offset:         192
        .size:           4
        .value_kind:     by_value
      - .offset:         200
        .size:           8
        .value_kind:     by_value
      - .offset:         208
        .size:           4
        .value_kind:     hidden_block_count_x
      - .offset:         212
        .size:           4
        .value_kind:     hidden_block_count_y
      - .offset:         216
        .size:           4
        .value_kind:     hidden_block_count_z
      - .offset:         220
        .size:           2
        .value_kind:     hidden_group_size_x
      - .offset:         222
        .size:           2
        .value_kind:     hidden_group_size_y
      - .offset:         224
        .size:           2
        .value_kind:     hidden_group_size_z
      - .offset:         226
        .size:           2
        .value_kind:     hidden_remainder_x
      - .offset:         228
        .size:           2
        .value_kind:     hidden_remainder_y
      - .offset:         230
        .size:           2
        .value_kind:     hidden_remainder_z
      - .offset:         248
        .size:           8
        .value_kind:     hidden_global_offset_x
      - .offset:         256
        .size:           8
        .value_kind:     hidden_global_offset_y
      - .offset:         264
        .size:           8
        .value_kind:     hidden_global_offset_z
      - .offset:         272
        .size:           2
        .value_kind:     hidden_grid_dims
      - .offset:         288
        .size:           8
        .value_kind:     hidden_hostcall_buffer
    .group_segment_fixed_size: 0
    .kernarg_segment_align: 8
    .kernarg_segment_size: 464
    .language:       OpenCL C
    .language_version:
      - 2
      - 0
    .max_flat_workgroup_size: 256
    .name:           _ZL15flash_attn_tileILi112ELi112ELi8ELi8ELb1EEvPKcS1_S1_S1_S1_PKiPfP15HIP_vector_typeIfLj2EEffffjfiS5_IjLj3EEiiiiiiiiiiiliiliiiiil
    .private_segment_fixed_size: 16
    .sgpr_count:     40
    .sgpr_spill_count: 0
    .symbol:         _ZL15flash_attn_tileILi112ELi112ELi8ELi8ELb1EEvPKcS1_S1_S1_S1_PKiPfP15HIP_vector_typeIfLj2EEffffjfiS5_IjLj3EEiiiiiiiiiiiliiliiiiil.kd
    .uniform_work_group_size: 1
    .uses_dynamic_stack: false
    .vgpr_count:     50
    .vgpr_spill_count: 0
    .wavefront_size: 64
  - .agpr_count:     0
    .args:
      - .address_space:  global
        .offset:         0
        .size:           8
        .value_kind:     global_buffer
      - .address_space:  global
        .offset:         8
        .size:           8
        .value_kind:     global_buffer
      - .address_space:  global
        .offset:         16
        .size:           8
        .value_kind:     global_buffer
      - .address_space:  global
        .offset:         24
        .size:           8
        .value_kind:     global_buffer
      - .address_space:  global
        .offset:         32
        .size:           8
        .value_kind:     global_buffer
      - .address_space:  global
        .offset:         40
        .size:           8
        .value_kind:     global_buffer
      - .address_space:  global
        .offset:         48
        .size:           8
        .value_kind:     global_buffer
      - .address_space:  global
        .offset:         56
        .size:           8
        .value_kind:     global_buffer
      - .offset:         64
        .size:           4
        .value_kind:     by_value
      - .offset:         68
        .size:           4
        .value_kind:     by_value
      - .offset:         72
        .size:           4
        .value_kind:     by_value
      - .offset:         76
        .size:           4
        .value_kind:     by_value
      - .offset:         80
        .size:           4
        .value_kind:     by_value
      - .offset:         84
        .size:           4
        .value_kind:     by_value
      - .offset:         88
        .size:           4
        .value_kind:     by_value
      - .offset:         92
        .size:           12
        .value_kind:     by_value
      - .offset:         104
        .size:           4
        .value_kind:     by_value
      - .offset:         108
        .size:           4
        .value_kind:     by_value
      - .offset:         112
        .size:           4
        .value_kind:     by_value
      - .offset:         116
        .size:           4
        .value_kind:     by_value
      - .offset:         120
        .size:           4
        .value_kind:     by_value
      - .offset:         124
        .size:           4
        .value_kind:     by_value
      - .offset:         128
        .size:           4
        .value_kind:     by_value
      - .offset:         132
        .size:           4
        .value_kind:     by_value
      - .offset:         136
        .size:           4
        .value_kind:     by_value
      - .offset:         140
        .size:           4
        .value_kind:     by_value
      - .offset:         144
        .size:           4
        .value_kind:     by_value
      - .offset:         152
        .size:           8
        .value_kind:     by_value
      - .offset:         160
        .size:           4
        .value_kind:     by_value
      - .offset:         164
        .size:           4
        .value_kind:     by_value
      - .offset:         168
        .size:           8
        .value_kind:     by_value
      - .offset:         176
        .size:           4
        .value_kind:     by_value
      - .offset:         180
        .size:           4
        .value_kind:     by_value
      - .offset:         184
        .size:           4
        .value_kind:     by_value
      - .offset:         188
        .size:           4
        .value_kind:     by_value
      - .offset:         192
        .size:           4
        .value_kind:     by_value
      - .offset:         200
        .size:           8
        .value_kind:     by_value
      - .offset:         208
        .size:           4
        .value_kind:     hidden_block_count_x
      - .offset:         212
        .size:           4
        .value_kind:     hidden_block_count_y
      - .offset:         216
        .size:           4
        .value_kind:     hidden_block_count_z
      - .offset:         220
        .size:           2
        .value_kind:     hidden_group_size_x
      - .offset:         222
        .size:           2
        .value_kind:     hidden_group_size_y
      - .offset:         224
        .size:           2
        .value_kind:     hidden_group_size_z
      - .offset:         226
        .size:           2
        .value_kind:     hidden_remainder_x
      - .offset:         228
        .size:           2
        .value_kind:     hidden_remainder_y
      - .offset:         230
        .size:           2
        .value_kind:     hidden_remainder_z
      - .offset:         248
        .size:           8
        .value_kind:     hidden_global_offset_x
      - .offset:         256
        .size:           8
        .value_kind:     hidden_global_offset_y
      - .offset:         264
        .size:           8
        .value_kind:     hidden_global_offset_z
      - .offset:         272
        .size:           2
        .value_kind:     hidden_grid_dims
      - .offset:         288
        .size:           8
        .value_kind:     hidden_hostcall_buffer
    .group_segment_fixed_size: 0
    .kernarg_segment_align: 8
    .kernarg_segment_size: 464
    .language:       OpenCL C
    .language_version:
      - 2
      - 0
    .max_flat_workgroup_size: 256
    .name:           _ZL15flash_attn_tileILi112ELi112ELi4ELi8ELb1EEvPKcS1_S1_S1_S1_PKiPfP15HIP_vector_typeIfLj2EEffffjfiS5_IjLj3EEiiiiiiiiiiiliiliiiiil
    .private_segment_fixed_size: 16
    .sgpr_count:     40
    .sgpr_spill_count: 0
    .symbol:         _ZL15flash_attn_tileILi112ELi112ELi4ELi8ELb1EEvPKcS1_S1_S1_S1_PKiPfP15HIP_vector_typeIfLj2EEffffjfiS5_IjLj3EEiiiiiiiiiiiliiliiiiil.kd
    .uniform_work_group_size: 1
    .uses_dynamic_stack: false
    .vgpr_count:     50
    .vgpr_spill_count: 0
    .wavefront_size: 64
  - .agpr_count:     0
    .args:
      - .address_space:  global
        .offset:         0
        .size:           8
        .value_kind:     global_buffer
      - .address_space:  global
        .offset:         8
        .size:           8
        .value_kind:     global_buffer
      - .address_space:  global
        .offset:         16
        .size:           8
        .value_kind:     global_buffer
      - .address_space:  global
        .offset:         24
        .size:           8
        .value_kind:     global_buffer
      - .address_space:  global
        .offset:         32
        .size:           8
        .value_kind:     global_buffer
      - .address_space:  global
        .offset:         40
        .size:           8
        .value_kind:     global_buffer
      - .address_space:  global
        .offset:         48
        .size:           8
        .value_kind:     global_buffer
      - .address_space:  global
        .offset:         56
        .size:           8
        .value_kind:     global_buffer
      - .offset:         64
        .size:           4
        .value_kind:     by_value
      - .offset:         68
        .size:           4
        .value_kind:     by_value
      - .offset:         72
        .size:           4
        .value_kind:     by_value
      - .offset:         76
        .size:           4
        .value_kind:     by_value
      - .offset:         80
        .size:           4
        .value_kind:     by_value
      - .offset:         84
        .size:           4
        .value_kind:     by_value
      - .offset:         88
        .size:           4
        .value_kind:     by_value
      - .offset:         92
        .size:           12
        .value_kind:     by_value
      - .offset:         104
        .size:           4
        .value_kind:     by_value
      - .offset:         108
        .size:           4
        .value_kind:     by_value
      - .offset:         112
        .size:           4
        .value_kind:     by_value
      - .offset:         116
        .size:           4
        .value_kind:     by_value
      - .offset:         120
        .size:           4
        .value_kind:     by_value
      - .offset:         124
        .size:           4
        .value_kind:     by_value
      - .offset:         128
        .size:           4
        .value_kind:     by_value
      - .offset:         132
        .size:           4
        .value_kind:     by_value
      - .offset:         136
        .size:           4
        .value_kind:     by_value
      - .offset:         140
        .size:           4
        .value_kind:     by_value
      - .offset:         144
        .size:           4
        .value_kind:     by_value
      - .offset:         152
        .size:           8
        .value_kind:     by_value
      - .offset:         160
        .size:           4
        .value_kind:     by_value
      - .offset:         164
        .size:           4
        .value_kind:     by_value
      - .offset:         168
        .size:           8
        .value_kind:     by_value
      - .offset:         176
        .size:           4
        .value_kind:     by_value
      - .offset:         180
        .size:           4
        .value_kind:     by_value
      - .offset:         184
        .size:           4
        .value_kind:     by_value
      - .offset:         188
        .size:           4
        .value_kind:     by_value
      - .offset:         192
        .size:           4
        .value_kind:     by_value
      - .offset:         200
        .size:           8
        .value_kind:     by_value
      - .offset:         208
        .size:           4
        .value_kind:     hidden_block_count_x
      - .offset:         212
        .size:           4
        .value_kind:     hidden_block_count_y
      - .offset:         216
        .size:           4
        .value_kind:     hidden_block_count_z
      - .offset:         220
        .size:           2
        .value_kind:     hidden_group_size_x
      - .offset:         222
        .size:           2
        .value_kind:     hidden_group_size_y
      - .offset:         224
        .size:           2
        .value_kind:     hidden_group_size_z
      - .offset:         226
        .size:           2
        .value_kind:     hidden_remainder_x
      - .offset:         228
        .size:           2
        .value_kind:     hidden_remainder_y
      - .offset:         230
        .size:           2
        .value_kind:     hidden_remainder_z
      - .offset:         248
        .size:           8
        .value_kind:     hidden_global_offset_x
      - .offset:         256
        .size:           8
        .value_kind:     hidden_global_offset_y
      - .offset:         264
        .size:           8
        .value_kind:     hidden_global_offset_z
      - .offset:         272
        .size:           2
        .value_kind:     hidden_grid_dims
      - .offset:         288
        .size:           8
        .value_kind:     hidden_hostcall_buffer
    .group_segment_fixed_size: 0
    .kernarg_segment_align: 8
    .kernarg_segment_size: 464
    .language:       OpenCL C
    .language_version:
      - 2
      - 0
    .max_flat_workgroup_size: 256
    .name:           _ZL15flash_attn_tileILi112ELi112ELi2ELi8ELb1EEvPKcS1_S1_S1_S1_PKiPfP15HIP_vector_typeIfLj2EEffffjfiS5_IjLj3EEiiiiiiiiiiiliiliiiiil
    .private_segment_fixed_size: 16
    .sgpr_count:     40
    .sgpr_spill_count: 0
    .symbol:         _ZL15flash_attn_tileILi112ELi112ELi2ELi8ELb1EEvPKcS1_S1_S1_S1_PKiPfP15HIP_vector_typeIfLj2EEffffjfiS5_IjLj3EEiiiiiiiiiiiliiliiiiil.kd
    .uniform_work_group_size: 1
    .uses_dynamic_stack: false
    .vgpr_count:     50
    .vgpr_spill_count: 0
    .wavefront_size: 64
  - .agpr_count:     0
    .args:
      - .address_space:  global
        .offset:         0
        .size:           8
        .value_kind:     global_buffer
      - .address_space:  global
        .offset:         8
        .size:           8
        .value_kind:     global_buffer
      - .address_space:  global
        .offset:         16
        .size:           8
        .value_kind:     global_buffer
      - .address_space:  global
        .offset:         24
        .size:           8
        .value_kind:     global_buffer
      - .address_space:  global
        .offset:         32
        .size:           8
        .value_kind:     global_buffer
      - .address_space:  global
        .offset:         40
        .size:           8
        .value_kind:     global_buffer
      - .address_space:  global
        .offset:         48
        .size:           8
        .value_kind:     global_buffer
      - .address_space:  global
        .offset:         56
        .size:           8
        .value_kind:     global_buffer
      - .offset:         64
        .size:           4
        .value_kind:     by_value
      - .offset:         68
        .size:           4
        .value_kind:     by_value
      - .offset:         72
        .size:           4
        .value_kind:     by_value
      - .offset:         76
        .size:           4
        .value_kind:     by_value
      - .offset:         80
        .size:           4
        .value_kind:     by_value
      - .offset:         84
        .size:           4
        .value_kind:     by_value
      - .offset:         88
        .size:           4
        .value_kind:     by_value
      - .offset:         92
        .size:           12
        .value_kind:     by_value
      - .offset:         104
        .size:           4
        .value_kind:     by_value
      - .offset:         108
        .size:           4
        .value_kind:     by_value
      - .offset:         112
        .size:           4
        .value_kind:     by_value
      - .offset:         116
        .size:           4
        .value_kind:     by_value
      - .offset:         120
        .size:           4
        .value_kind:     by_value
      - .offset:         124
        .size:           4
        .value_kind:     by_value
      - .offset:         128
        .size:           4
        .value_kind:     by_value
      - .offset:         132
        .size:           4
        .value_kind:     by_value
      - .offset:         136
        .size:           4
        .value_kind:     by_value
      - .offset:         140
        .size:           4
        .value_kind:     by_value
      - .offset:         144
        .size:           4
        .value_kind:     by_value
      - .offset:         152
        .size:           8
        .value_kind:     by_value
      - .offset:         160
        .size:           4
        .value_kind:     by_value
      - .offset:         164
        .size:           4
        .value_kind:     by_value
      - .offset:         168
        .size:           8
        .value_kind:     by_value
      - .offset:         176
        .size:           4
        .value_kind:     by_value
      - .offset:         180
        .size:           4
        .value_kind:     by_value
      - .offset:         184
        .size:           4
        .value_kind:     by_value
      - .offset:         188
        .size:           4
        .value_kind:     by_value
      - .offset:         192
        .size:           4
        .value_kind:     by_value
      - .offset:         200
        .size:           8
        .value_kind:     by_value
      - .offset:         208
        .size:           4
        .value_kind:     hidden_block_count_x
      - .offset:         212
        .size:           4
        .value_kind:     hidden_block_count_y
      - .offset:         216
        .size:           4
        .value_kind:     hidden_block_count_z
      - .offset:         220
        .size:           2
        .value_kind:     hidden_group_size_x
      - .offset:         222
        .size:           2
        .value_kind:     hidden_group_size_y
      - .offset:         224
        .size:           2
        .value_kind:     hidden_group_size_z
      - .offset:         226
        .size:           2
        .value_kind:     hidden_remainder_x
      - .offset:         228
        .size:           2
        .value_kind:     hidden_remainder_y
      - .offset:         230
        .size:           2
        .value_kind:     hidden_remainder_z
      - .offset:         248
        .size:           8
        .value_kind:     hidden_global_offset_x
      - .offset:         256
        .size:           8
        .value_kind:     hidden_global_offset_y
      - .offset:         264
        .size:           8
        .value_kind:     hidden_global_offset_z
      - .offset:         272
        .size:           2
        .value_kind:     hidden_grid_dims
      - .offset:         288
        .size:           8
        .value_kind:     hidden_hostcall_buffer
    .group_segment_fixed_size: 0
    .kernarg_segment_align: 8
    .kernarg_segment_size: 464
    .language:       OpenCL C
    .language_version:
      - 2
      - 0
    .max_flat_workgroup_size: 256
    .name:           _ZL15flash_attn_tileILi112ELi112ELi1ELi8ELb1EEvPKcS1_S1_S1_S1_PKiPfP15HIP_vector_typeIfLj2EEffffjfiS5_IjLj3EEiiiiiiiiiiiliiliiiiil
    .private_segment_fixed_size: 16
    .sgpr_count:     40
    .sgpr_spill_count: 0
    .symbol:         _ZL15flash_attn_tileILi112ELi112ELi1ELi8ELb1EEvPKcS1_S1_S1_S1_PKiPfP15HIP_vector_typeIfLj2EEffffjfiS5_IjLj3EEiiiiiiiiiiiliiliiiiil.kd
    .uniform_work_group_size: 1
    .uses_dynamic_stack: false
    .vgpr_count:     50
    .vgpr_spill_count: 0
    .wavefront_size: 64
  - .agpr_count:     0
    .args:
      - .address_space:  global
        .offset:         0
        .size:           8
        .value_kind:     global_buffer
      - .address_space:  global
        .offset:         8
        .size:           8
        .value_kind:     global_buffer
      - .address_space:  global
        .offset:         16
        .size:           8
        .value_kind:     global_buffer
      - .address_space:  global
        .offset:         24
        .size:           8
        .value_kind:     global_buffer
      - .address_space:  global
        .offset:         32
        .size:           8
        .value_kind:     global_buffer
      - .address_space:  global
        .offset:         40
        .size:           8
        .value_kind:     global_buffer
      - .address_space:  global
        .offset:         48
        .size:           8
        .value_kind:     global_buffer
      - .address_space:  global
        .offset:         56
        .size:           8
        .value_kind:     global_buffer
      - .offset:         64
        .size:           4
        .value_kind:     by_value
      - .offset:         68
        .size:           4
        .value_kind:     by_value
      - .offset:         72
        .size:           4
        .value_kind:     by_value
      - .offset:         76
        .size:           4
        .value_kind:     by_value
      - .offset:         80
        .size:           4
        .value_kind:     by_value
      - .offset:         84
        .size:           4
        .value_kind:     by_value
      - .offset:         88
        .size:           4
        .value_kind:     by_value
      - .offset:         92
        .size:           12
        .value_kind:     by_value
      - .offset:         104
        .size:           4
        .value_kind:     by_value
      - .offset:         108
        .size:           4
        .value_kind:     by_value
      - .offset:         112
        .size:           4
        .value_kind:     by_value
      - .offset:         116
        .size:           4
        .value_kind:     by_value
      - .offset:         120
        .size:           4
        .value_kind:     by_value
      - .offset:         124
        .size:           4
        .value_kind:     by_value
      - .offset:         128
        .size:           4
        .value_kind:     by_value
      - .offset:         132
        .size:           4
        .value_kind:     by_value
      - .offset:         136
        .size:           4
        .value_kind:     by_value
      - .offset:         140
        .size:           4
        .value_kind:     by_value
      - .offset:         144
        .size:           4
        .value_kind:     by_value
      - .offset:         152
        .size:           8
        .value_kind:     by_value
      - .offset:         160
        .size:           4
        .value_kind:     by_value
      - .offset:         164
        .size:           4
        .value_kind:     by_value
      - .offset:         168
        .size:           8
        .value_kind:     by_value
      - .offset:         176
        .size:           4
        .value_kind:     by_value
      - .offset:         180
        .size:           4
        .value_kind:     by_value
      - .offset:         184
        .size:           4
        .value_kind:     by_value
      - .offset:         188
        .size:           4
        .value_kind:     by_value
      - .offset:         192
        .size:           4
        .value_kind:     by_value
      - .offset:         200
        .size:           8
        .value_kind:     by_value
      - .offset:         208
        .size:           4
        .value_kind:     hidden_block_count_x
      - .offset:         212
        .size:           4
        .value_kind:     hidden_block_count_y
      - .offset:         216
        .size:           4
        .value_kind:     hidden_block_count_z
      - .offset:         220
        .size:           2
        .value_kind:     hidden_group_size_x
      - .offset:         222
        .size:           2
        .value_kind:     hidden_group_size_y
      - .offset:         224
        .size:           2
        .value_kind:     hidden_group_size_z
      - .offset:         226
        .size:           2
        .value_kind:     hidden_remainder_x
      - .offset:         228
        .size:           2
        .value_kind:     hidden_remainder_y
      - .offset:         230
        .size:           2
        .value_kind:     hidden_remainder_z
      - .offset:         248
        .size:           8
        .value_kind:     hidden_global_offset_x
      - .offset:         256
        .size:           8
        .value_kind:     hidden_global_offset_y
      - .offset:         264
        .size:           8
        .value_kind:     hidden_global_offset_z
      - .offset:         272
        .size:           2
        .value_kind:     hidden_grid_dims
      - .offset:         288
        .size:           8
        .value_kind:     hidden_hostcall_buffer
    .group_segment_fixed_size: 0
    .kernarg_segment_align: 8
    .kernarg_segment_size: 464
    .language:       OpenCL C
    .language_version:
      - 2
      - 0
    .max_flat_workgroup_size: 256
    .name:           _ZL15flash_attn_tileILi112ELi112ELi16ELi4ELb1EEvPKcS1_S1_S1_S1_PKiPfP15HIP_vector_typeIfLj2EEffffjfiS5_IjLj3EEiiiiiiiiiiiliiliiiiil
    .private_segment_fixed_size: 16
    .sgpr_count:     40
    .sgpr_spill_count: 0
    .symbol:         _ZL15flash_attn_tileILi112ELi112ELi16ELi4ELb1EEvPKcS1_S1_S1_S1_PKiPfP15HIP_vector_typeIfLj2EEffffjfiS5_IjLj3EEiiiiiiiiiiiliiliiiiil.kd
    .uniform_work_group_size: 1
    .uses_dynamic_stack: false
    .vgpr_count:     50
    .vgpr_spill_count: 0
    .wavefront_size: 64
  - .agpr_count:     0
    .args:
      - .address_space:  global
        .offset:         0
        .size:           8
        .value_kind:     global_buffer
      - .address_space:  global
        .offset:         8
        .size:           8
        .value_kind:     global_buffer
      - .address_space:  global
        .offset:         16
        .size:           8
        .value_kind:     global_buffer
      - .address_space:  global
        .offset:         24
        .size:           8
        .value_kind:     global_buffer
      - .address_space:  global
        .offset:         32
        .size:           8
        .value_kind:     global_buffer
      - .address_space:  global
        .offset:         40
        .size:           8
        .value_kind:     global_buffer
      - .address_space:  global
        .offset:         48
        .size:           8
        .value_kind:     global_buffer
      - .address_space:  global
        .offset:         56
        .size:           8
        .value_kind:     global_buffer
      - .offset:         64
        .size:           4
        .value_kind:     by_value
      - .offset:         68
        .size:           4
        .value_kind:     by_value
      - .offset:         72
        .size:           4
        .value_kind:     by_value
      - .offset:         76
        .size:           4
        .value_kind:     by_value
      - .offset:         80
        .size:           4
        .value_kind:     by_value
      - .offset:         84
        .size:           4
        .value_kind:     by_value
      - .offset:         88
        .size:           4
        .value_kind:     by_value
      - .offset:         92
        .size:           12
        .value_kind:     by_value
      - .offset:         104
        .size:           4
        .value_kind:     by_value
      - .offset:         108
        .size:           4
        .value_kind:     by_value
      - .offset:         112
        .size:           4
        .value_kind:     by_value
      - .offset:         116
        .size:           4
        .value_kind:     by_value
      - .offset:         120
        .size:           4
        .value_kind:     by_value
      - .offset:         124
        .size:           4
        .value_kind:     by_value
      - .offset:         128
        .size:           4
        .value_kind:     by_value
      - .offset:         132
        .size:           4
        .value_kind:     by_value
      - .offset:         136
        .size:           4
        .value_kind:     by_value
      - .offset:         140
        .size:           4
        .value_kind:     by_value
      - .offset:         144
        .size:           4
        .value_kind:     by_value
      - .offset:         152
        .size:           8
        .value_kind:     by_value
      - .offset:         160
        .size:           4
        .value_kind:     by_value
      - .offset:         164
        .size:           4
        .value_kind:     by_value
      - .offset:         168
        .size:           8
        .value_kind:     by_value
      - .offset:         176
        .size:           4
        .value_kind:     by_value
      - .offset:         180
        .size:           4
        .value_kind:     by_value
      - .offset:         184
        .size:           4
        .value_kind:     by_value
      - .offset:         188
        .size:           4
        .value_kind:     by_value
      - .offset:         192
        .size:           4
        .value_kind:     by_value
      - .offset:         200
        .size:           8
        .value_kind:     by_value
      - .offset:         208
        .size:           4
        .value_kind:     hidden_block_count_x
      - .offset:         212
        .size:           4
        .value_kind:     hidden_block_count_y
      - .offset:         216
        .size:           4
        .value_kind:     hidden_block_count_z
      - .offset:         220
        .size:           2
        .value_kind:     hidden_group_size_x
      - .offset:         222
        .size:           2
        .value_kind:     hidden_group_size_y
      - .offset:         224
        .size:           2
        .value_kind:     hidden_group_size_z
      - .offset:         226
        .size:           2
        .value_kind:     hidden_remainder_x
      - .offset:         228
        .size:           2
        .value_kind:     hidden_remainder_y
      - .offset:         230
        .size:           2
        .value_kind:     hidden_remainder_z
      - .offset:         248
        .size:           8
        .value_kind:     hidden_global_offset_x
      - .offset:         256
        .size:           8
        .value_kind:     hidden_global_offset_y
      - .offset:         264
        .size:           8
        .value_kind:     hidden_global_offset_z
      - .offset:         272
        .size:           2
        .value_kind:     hidden_grid_dims
      - .offset:         288
        .size:           8
        .value_kind:     hidden_hostcall_buffer
    .group_segment_fixed_size: 0
    .kernarg_segment_align: 8
    .kernarg_segment_size: 464
    .language:       OpenCL C
    .language_version:
      - 2
      - 0
    .max_flat_workgroup_size: 256
    .name:           _ZL15flash_attn_tileILi112ELi112ELi8ELi4ELb1EEvPKcS1_S1_S1_S1_PKiPfP15HIP_vector_typeIfLj2EEffffjfiS5_IjLj3EEiiiiiiiiiiiliiliiiiil
    .private_segment_fixed_size: 16
    .sgpr_count:     40
    .sgpr_spill_count: 0
    .symbol:         _ZL15flash_attn_tileILi112ELi112ELi8ELi4ELb1EEvPKcS1_S1_S1_S1_PKiPfP15HIP_vector_typeIfLj2EEffffjfiS5_IjLj3EEiiiiiiiiiiiliiliiiiil.kd
    .uniform_work_group_size: 1
    .uses_dynamic_stack: false
    .vgpr_count:     50
    .vgpr_spill_count: 0
    .wavefront_size: 64
  - .agpr_count:     0
    .args:
      - .address_space:  global
        .offset:         0
        .size:           8
        .value_kind:     global_buffer
      - .address_space:  global
        .offset:         8
        .size:           8
        .value_kind:     global_buffer
      - .address_space:  global
        .offset:         16
        .size:           8
        .value_kind:     global_buffer
      - .address_space:  global
        .offset:         24
        .size:           8
        .value_kind:     global_buffer
      - .address_space:  global
        .offset:         32
        .size:           8
        .value_kind:     global_buffer
      - .address_space:  global
        .offset:         40
        .size:           8
        .value_kind:     global_buffer
      - .address_space:  global
        .offset:         48
        .size:           8
        .value_kind:     global_buffer
      - .address_space:  global
        .offset:         56
        .size:           8
        .value_kind:     global_buffer
      - .offset:         64
        .size:           4
        .value_kind:     by_value
      - .offset:         68
        .size:           4
        .value_kind:     by_value
      - .offset:         72
        .size:           4
        .value_kind:     by_value
      - .offset:         76
        .size:           4
        .value_kind:     by_value
      - .offset:         80
        .size:           4
        .value_kind:     by_value
      - .offset:         84
        .size:           4
        .value_kind:     by_value
      - .offset:         88
        .size:           4
        .value_kind:     by_value
      - .offset:         92
        .size:           12
        .value_kind:     by_value
      - .offset:         104
        .size:           4
        .value_kind:     by_value
      - .offset:         108
        .size:           4
        .value_kind:     by_value
      - .offset:         112
        .size:           4
        .value_kind:     by_value
      - .offset:         116
        .size:           4
        .value_kind:     by_value
      - .offset:         120
        .size:           4
        .value_kind:     by_value
      - .offset:         124
        .size:           4
        .value_kind:     by_value
      - .offset:         128
        .size:           4
        .value_kind:     by_value
      - .offset:         132
        .size:           4
        .value_kind:     by_value
      - .offset:         136
        .size:           4
        .value_kind:     by_value
      - .offset:         140
        .size:           4
        .value_kind:     by_value
      - .offset:         144
        .size:           4
        .value_kind:     by_value
      - .offset:         152
        .size:           8
        .value_kind:     by_value
      - .offset:         160
        .size:           4
        .value_kind:     by_value
      - .offset:         164
        .size:           4
        .value_kind:     by_value
      - .offset:         168
        .size:           8
        .value_kind:     by_value
      - .offset:         176
        .size:           4
        .value_kind:     by_value
      - .offset:         180
        .size:           4
        .value_kind:     by_value
      - .offset:         184
        .size:           4
        .value_kind:     by_value
      - .offset:         188
        .size:           4
        .value_kind:     by_value
      - .offset:         192
        .size:           4
        .value_kind:     by_value
      - .offset:         200
        .size:           8
        .value_kind:     by_value
      - .offset:         208
        .size:           4
        .value_kind:     hidden_block_count_x
      - .offset:         212
        .size:           4
        .value_kind:     hidden_block_count_y
      - .offset:         216
        .size:           4
        .value_kind:     hidden_block_count_z
      - .offset:         220
        .size:           2
        .value_kind:     hidden_group_size_x
      - .offset:         222
        .size:           2
        .value_kind:     hidden_group_size_y
      - .offset:         224
        .size:           2
        .value_kind:     hidden_group_size_z
      - .offset:         226
        .size:           2
        .value_kind:     hidden_remainder_x
      - .offset:         228
        .size:           2
        .value_kind:     hidden_remainder_y
      - .offset:         230
        .size:           2
        .value_kind:     hidden_remainder_z
      - .offset:         248
        .size:           8
        .value_kind:     hidden_global_offset_x
      - .offset:         256
        .size:           8
        .value_kind:     hidden_global_offset_y
      - .offset:         264
        .size:           8
        .value_kind:     hidden_global_offset_z
      - .offset:         272
        .size:           2
        .value_kind:     hidden_grid_dims
      - .offset:         288
        .size:           8
        .value_kind:     hidden_hostcall_buffer
    .group_segment_fixed_size: 0
    .kernarg_segment_align: 8
    .kernarg_segment_size: 464
    .language:       OpenCL C
    .language_version:
      - 2
      - 0
    .max_flat_workgroup_size: 256
    .name:           _ZL15flash_attn_tileILi112ELi112ELi4ELi4ELb1EEvPKcS1_S1_S1_S1_PKiPfP15HIP_vector_typeIfLj2EEffffjfiS5_IjLj3EEiiiiiiiiiiiliiliiiiil
    .private_segment_fixed_size: 16
    .sgpr_count:     40
    .sgpr_spill_count: 0
    .symbol:         _ZL15flash_attn_tileILi112ELi112ELi4ELi4ELb1EEvPKcS1_S1_S1_S1_PKiPfP15HIP_vector_typeIfLj2EEffffjfiS5_IjLj3EEiiiiiiiiiiiliiliiiiil.kd
    .uniform_work_group_size: 1
    .uses_dynamic_stack: false
    .vgpr_count:     50
    .vgpr_spill_count: 0
    .wavefront_size: 64
  - .agpr_count:     0
    .args:
      - .address_space:  global
        .offset:         0
        .size:           8
        .value_kind:     global_buffer
      - .address_space:  global
        .offset:         8
        .size:           8
        .value_kind:     global_buffer
      - .address_space:  global
        .offset:         16
        .size:           8
        .value_kind:     global_buffer
      - .address_space:  global
        .offset:         24
        .size:           8
        .value_kind:     global_buffer
      - .address_space:  global
        .offset:         32
        .size:           8
        .value_kind:     global_buffer
      - .address_space:  global
        .offset:         40
        .size:           8
        .value_kind:     global_buffer
      - .address_space:  global
        .offset:         48
        .size:           8
        .value_kind:     global_buffer
      - .address_space:  global
        .offset:         56
        .size:           8
        .value_kind:     global_buffer
      - .offset:         64
        .size:           4
        .value_kind:     by_value
      - .offset:         68
        .size:           4
        .value_kind:     by_value
      - .offset:         72
        .size:           4
        .value_kind:     by_value
      - .offset:         76
        .size:           4
        .value_kind:     by_value
      - .offset:         80
        .size:           4
        .value_kind:     by_value
      - .offset:         84
        .size:           4
        .value_kind:     by_value
      - .offset:         88
        .size:           4
        .value_kind:     by_value
      - .offset:         92
        .size:           12
        .value_kind:     by_value
      - .offset:         104
        .size:           4
        .value_kind:     by_value
      - .offset:         108
        .size:           4
        .value_kind:     by_value
      - .offset:         112
        .size:           4
        .value_kind:     by_value
      - .offset:         116
        .size:           4
        .value_kind:     by_value
      - .offset:         120
        .size:           4
        .value_kind:     by_value
      - .offset:         124
        .size:           4
        .value_kind:     by_value
      - .offset:         128
        .size:           4
        .value_kind:     by_value
      - .offset:         132
        .size:           4
        .value_kind:     by_value
      - .offset:         136
        .size:           4
        .value_kind:     by_value
      - .offset:         140
        .size:           4
        .value_kind:     by_value
      - .offset:         144
        .size:           4
        .value_kind:     by_value
      - .offset:         152
        .size:           8
        .value_kind:     by_value
      - .offset:         160
        .size:           4
        .value_kind:     by_value
      - .offset:         164
        .size:           4
        .value_kind:     by_value
      - .offset:         168
        .size:           8
        .value_kind:     by_value
      - .offset:         176
        .size:           4
        .value_kind:     by_value
      - .offset:         180
        .size:           4
        .value_kind:     by_value
      - .offset:         184
        .size:           4
        .value_kind:     by_value
      - .offset:         188
        .size:           4
        .value_kind:     by_value
      - .offset:         192
        .size:           4
        .value_kind:     by_value
      - .offset:         200
        .size:           8
        .value_kind:     by_value
      - .offset:         208
        .size:           4
        .value_kind:     hidden_block_count_x
      - .offset:         212
        .size:           4
        .value_kind:     hidden_block_count_y
      - .offset:         216
        .size:           4
        .value_kind:     hidden_block_count_z
      - .offset:         220
        .size:           2
        .value_kind:     hidden_group_size_x
      - .offset:         222
        .size:           2
        .value_kind:     hidden_group_size_y
      - .offset:         224
        .size:           2
        .value_kind:     hidden_group_size_z
      - .offset:         226
        .size:           2
        .value_kind:     hidden_remainder_x
      - .offset:         228
        .size:           2
        .value_kind:     hidden_remainder_y
      - .offset:         230
        .size:           2
        .value_kind:     hidden_remainder_z
      - .offset:         248
        .size:           8
        .value_kind:     hidden_global_offset_x
      - .offset:         256
        .size:           8
        .value_kind:     hidden_global_offset_y
      - .offset:         264
        .size:           8
        .value_kind:     hidden_global_offset_z
      - .offset:         272
        .size:           2
        .value_kind:     hidden_grid_dims
      - .offset:         288
        .size:           8
        .value_kind:     hidden_hostcall_buffer
    .group_segment_fixed_size: 0
    .kernarg_segment_align: 8
    .kernarg_segment_size: 464
    .language:       OpenCL C
    .language_version:
      - 2
      - 0
    .max_flat_workgroup_size: 256
    .name:           _ZL15flash_attn_tileILi112ELi112ELi2ELi4ELb1EEvPKcS1_S1_S1_S1_PKiPfP15HIP_vector_typeIfLj2EEffffjfiS5_IjLj3EEiiiiiiiiiiiliiliiiiil
    .private_segment_fixed_size: 16
    .sgpr_count:     40
    .sgpr_spill_count: 0
    .symbol:         _ZL15flash_attn_tileILi112ELi112ELi2ELi4ELb1EEvPKcS1_S1_S1_S1_PKiPfP15HIP_vector_typeIfLj2EEffffjfiS5_IjLj3EEiiiiiiiiiiiliiliiiiil.kd
    .uniform_work_group_size: 1
    .uses_dynamic_stack: false
    .vgpr_count:     50
    .vgpr_spill_count: 0
    .wavefront_size: 64
  - .agpr_count:     0
    .args:
      - .address_space:  global
        .offset:         0
        .size:           8
        .value_kind:     global_buffer
      - .address_space:  global
        .offset:         8
        .size:           8
        .value_kind:     global_buffer
      - .address_space:  global
        .offset:         16
        .size:           8
        .value_kind:     global_buffer
      - .address_space:  global
        .offset:         24
        .size:           8
        .value_kind:     global_buffer
      - .address_space:  global
        .offset:         32
        .size:           8
        .value_kind:     global_buffer
      - .address_space:  global
        .offset:         40
        .size:           8
        .value_kind:     global_buffer
      - .address_space:  global
        .offset:         48
        .size:           8
        .value_kind:     global_buffer
      - .address_space:  global
        .offset:         56
        .size:           8
        .value_kind:     global_buffer
      - .offset:         64
        .size:           4
        .value_kind:     by_value
      - .offset:         68
        .size:           4
        .value_kind:     by_value
      - .offset:         72
        .size:           4
        .value_kind:     by_value
      - .offset:         76
        .size:           4
        .value_kind:     by_value
      - .offset:         80
        .size:           4
        .value_kind:     by_value
      - .offset:         84
        .size:           4
        .value_kind:     by_value
      - .offset:         88
        .size:           4
        .value_kind:     by_value
      - .offset:         92
        .size:           12
        .value_kind:     by_value
      - .offset:         104
        .size:           4
        .value_kind:     by_value
      - .offset:         108
        .size:           4
        .value_kind:     by_value
      - .offset:         112
        .size:           4
        .value_kind:     by_value
      - .offset:         116
        .size:           4
        .value_kind:     by_value
      - .offset:         120
        .size:           4
        .value_kind:     by_value
      - .offset:         124
        .size:           4
        .value_kind:     by_value
      - .offset:         128
        .size:           4
        .value_kind:     by_value
      - .offset:         132
        .size:           4
        .value_kind:     by_value
      - .offset:         136
        .size:           4
        .value_kind:     by_value
      - .offset:         140
        .size:           4
        .value_kind:     by_value
      - .offset:         144
        .size:           4
        .value_kind:     by_value
      - .offset:         152
        .size:           8
        .value_kind:     by_value
      - .offset:         160
        .size:           4
        .value_kind:     by_value
      - .offset:         164
        .size:           4
        .value_kind:     by_value
      - .offset:         168
        .size:           8
        .value_kind:     by_value
      - .offset:         176
        .size:           4
        .value_kind:     by_value
      - .offset:         180
        .size:           4
        .value_kind:     by_value
      - .offset:         184
        .size:           4
        .value_kind:     by_value
      - .offset:         188
        .size:           4
        .value_kind:     by_value
      - .offset:         192
        .size:           4
        .value_kind:     by_value
      - .offset:         200
        .size:           8
        .value_kind:     by_value
      - .offset:         208
        .size:           4
        .value_kind:     hidden_block_count_x
      - .offset:         212
        .size:           4
        .value_kind:     hidden_block_count_y
      - .offset:         216
        .size:           4
        .value_kind:     hidden_block_count_z
      - .offset:         220
        .size:           2
        .value_kind:     hidden_group_size_x
      - .offset:         222
        .size:           2
        .value_kind:     hidden_group_size_y
      - .offset:         224
        .size:           2
        .value_kind:     hidden_group_size_z
      - .offset:         226
        .size:           2
        .value_kind:     hidden_remainder_x
      - .offset:         228
        .size:           2
        .value_kind:     hidden_remainder_y
      - .offset:         230
        .size:           2
        .value_kind:     hidden_remainder_z
      - .offset:         248
        .size:           8
        .value_kind:     hidden_global_offset_x
      - .offset:         256
        .size:           8
        .value_kind:     hidden_global_offset_y
      - .offset:         264
        .size:           8
        .value_kind:     hidden_global_offset_z
      - .offset:         272
        .size:           2
        .value_kind:     hidden_grid_dims
      - .offset:         288
        .size:           8
        .value_kind:     hidden_hostcall_buffer
    .group_segment_fixed_size: 0
    .kernarg_segment_align: 8
    .kernarg_segment_size: 464
    .language:       OpenCL C
    .language_version:
      - 2
      - 0
    .max_flat_workgroup_size: 128
    .name:           _ZL15flash_attn_tileILi112ELi112ELi1ELi4ELb1EEvPKcS1_S1_S1_S1_PKiPfP15HIP_vector_typeIfLj2EEffffjfiS5_IjLj3EEiiiiiiiiiiiliiliiiiil
    .private_segment_fixed_size: 16
    .sgpr_count:     40
    .sgpr_spill_count: 0
    .symbol:         _ZL15flash_attn_tileILi112ELi112ELi1ELi4ELb1EEvPKcS1_S1_S1_S1_PKiPfP15HIP_vector_typeIfLj2EEffffjfiS5_IjLj3EEiiiiiiiiiiiliiliiiiil.kd
    .uniform_work_group_size: 1
    .uses_dynamic_stack: false
    .vgpr_count:     50
    .vgpr_spill_count: 0
    .wavefront_size: 64
  - .agpr_count:     0
    .args:
      - .address_space:  global
        .offset:         0
        .size:           8
        .value_kind:     global_buffer
      - .address_space:  global
        .offset:         8
        .size:           8
        .value_kind:     global_buffer
      - .address_space:  global
        .offset:         16
        .size:           8
        .value_kind:     global_buffer
      - .address_space:  global
        .offset:         24
        .size:           8
        .value_kind:     global_buffer
      - .address_space:  global
        .offset:         32
        .size:           8
        .value_kind:     global_buffer
      - .address_space:  global
        .offset:         40
        .size:           8
        .value_kind:     global_buffer
      - .address_space:  global
        .offset:         48
        .size:           8
        .value_kind:     global_buffer
      - .address_space:  global
        .offset:         56
        .size:           8
        .value_kind:     global_buffer
      - .offset:         64
        .size:           4
        .value_kind:     by_value
      - .offset:         68
        .size:           4
        .value_kind:     by_value
      - .offset:         72
        .size:           4
        .value_kind:     by_value
      - .offset:         76
        .size:           4
        .value_kind:     by_value
      - .offset:         80
        .size:           4
        .value_kind:     by_value
      - .offset:         84
        .size:           4
        .value_kind:     by_value
      - .offset:         88
        .size:           4
        .value_kind:     by_value
      - .offset:         92
        .size:           12
        .value_kind:     by_value
      - .offset:         104
        .size:           4
        .value_kind:     by_value
      - .offset:         108
        .size:           4
        .value_kind:     by_value
      - .offset:         112
        .size:           4
        .value_kind:     by_value
      - .offset:         116
        .size:           4
        .value_kind:     by_value
      - .offset:         120
        .size:           4
        .value_kind:     by_value
      - .offset:         124
        .size:           4
        .value_kind:     by_value
      - .offset:         128
        .size:           4
        .value_kind:     by_value
      - .offset:         132
        .size:           4
        .value_kind:     by_value
      - .offset:         136
        .size:           4
        .value_kind:     by_value
      - .offset:         140
        .size:           4
        .value_kind:     by_value
      - .offset:         144
        .size:           4
        .value_kind:     by_value
      - .offset:         152
        .size:           8
        .value_kind:     by_value
      - .offset:         160
        .size:           4
        .value_kind:     by_value
      - .offset:         164
        .size:           4
        .value_kind:     by_value
      - .offset:         168
        .size:           8
        .value_kind:     by_value
      - .offset:         176
        .size:           4
        .value_kind:     by_value
      - .offset:         180
        .size:           4
        .value_kind:     by_value
      - .offset:         184
        .size:           4
        .value_kind:     by_value
      - .offset:         188
        .size:           4
        .value_kind:     by_value
      - .offset:         192
        .size:           4
        .value_kind:     by_value
      - .offset:         200
        .size:           8
        .value_kind:     by_value
      - .offset:         208
        .size:           4
        .value_kind:     hidden_block_count_x
      - .offset:         212
        .size:           4
        .value_kind:     hidden_block_count_y
      - .offset:         216
        .size:           4
        .value_kind:     hidden_block_count_z
      - .offset:         220
        .size:           2
        .value_kind:     hidden_group_size_x
      - .offset:         222
        .size:           2
        .value_kind:     hidden_group_size_y
      - .offset:         224
        .size:           2
        .value_kind:     hidden_group_size_z
      - .offset:         226
        .size:           2
        .value_kind:     hidden_remainder_x
      - .offset:         228
        .size:           2
        .value_kind:     hidden_remainder_y
      - .offset:         230
        .size:           2
        .value_kind:     hidden_remainder_z
      - .offset:         248
        .size:           8
        .value_kind:     hidden_global_offset_x
      - .offset:         256
        .size:           8
        .value_kind:     hidden_global_offset_y
      - .offset:         264
        .size:           8
        .value_kind:     hidden_global_offset_z
      - .offset:         272
        .size:           2
        .value_kind:     hidden_grid_dims
      - .offset:         288
        .size:           8
        .value_kind:     hidden_hostcall_buffer
    .group_segment_fixed_size: 0
    .kernarg_segment_align: 8
    .kernarg_segment_size: 464
    .language:       OpenCL C
    .language_version:
      - 2
      - 0
    .max_flat_workgroup_size: 256
    .name:           _ZL15flash_attn_tileILi112ELi112ELi32ELi2ELb1EEvPKcS1_S1_S1_S1_PKiPfP15HIP_vector_typeIfLj2EEffffjfiS5_IjLj3EEiiiiiiiiiiiliiliiiiil
    .private_segment_fixed_size: 16
    .sgpr_count:     40
    .sgpr_spill_count: 0
    .symbol:         _ZL15flash_attn_tileILi112ELi112ELi32ELi2ELb1EEvPKcS1_S1_S1_S1_PKiPfP15HIP_vector_typeIfLj2EEffffjfiS5_IjLj3EEiiiiiiiiiiiliiliiiiil.kd
    .uniform_work_group_size: 1
    .uses_dynamic_stack: false
    .vgpr_count:     50
    .vgpr_spill_count: 0
    .wavefront_size: 64
  - .agpr_count:     0
    .args:
      - .address_space:  global
        .offset:         0
        .size:           8
        .value_kind:     global_buffer
      - .address_space:  global
        .offset:         8
        .size:           8
        .value_kind:     global_buffer
      - .address_space:  global
        .offset:         16
        .size:           8
        .value_kind:     global_buffer
      - .address_space:  global
        .offset:         24
        .size:           8
        .value_kind:     global_buffer
      - .address_space:  global
        .offset:         32
        .size:           8
        .value_kind:     global_buffer
      - .address_space:  global
        .offset:         40
        .size:           8
        .value_kind:     global_buffer
      - .address_space:  global
        .offset:         48
        .size:           8
        .value_kind:     global_buffer
      - .address_space:  global
        .offset:         56
        .size:           8
        .value_kind:     global_buffer
      - .offset:         64
        .size:           4
        .value_kind:     by_value
      - .offset:         68
        .size:           4
        .value_kind:     by_value
      - .offset:         72
        .size:           4
        .value_kind:     by_value
      - .offset:         76
        .size:           4
        .value_kind:     by_value
      - .offset:         80
        .size:           4
        .value_kind:     by_value
      - .offset:         84
        .size:           4
        .value_kind:     by_value
      - .offset:         88
        .size:           4
        .value_kind:     by_value
      - .offset:         92
        .size:           12
        .value_kind:     by_value
      - .offset:         104
        .size:           4
        .value_kind:     by_value
      - .offset:         108
        .size:           4
        .value_kind:     by_value
      - .offset:         112
        .size:           4
        .value_kind:     by_value
      - .offset:         116
        .size:           4
        .value_kind:     by_value
      - .offset:         120
        .size:           4
        .value_kind:     by_value
      - .offset:         124
        .size:           4
        .value_kind:     by_value
      - .offset:         128
        .size:           4
        .value_kind:     by_value
      - .offset:         132
        .size:           4
        .value_kind:     by_value
      - .offset:         136
        .size:           4
        .value_kind:     by_value
      - .offset:         140
        .size:           4
        .value_kind:     by_value
      - .offset:         144
        .size:           4
        .value_kind:     by_value
      - .offset:         152
        .size:           8
        .value_kind:     by_value
      - .offset:         160
        .size:           4
        .value_kind:     by_value
      - .offset:         164
        .size:           4
        .value_kind:     by_value
      - .offset:         168
        .size:           8
        .value_kind:     by_value
      - .offset:         176
        .size:           4
        .value_kind:     by_value
      - .offset:         180
        .size:           4
        .value_kind:     by_value
      - .offset:         184
        .size:           4
        .value_kind:     by_value
      - .offset:         188
        .size:           4
        .value_kind:     by_value
      - .offset:         192
        .size:           4
        .value_kind:     by_value
      - .offset:         200
        .size:           8
        .value_kind:     by_value
      - .offset:         208
        .size:           4
        .value_kind:     hidden_block_count_x
      - .offset:         212
        .size:           4
        .value_kind:     hidden_block_count_y
      - .offset:         216
        .size:           4
        .value_kind:     hidden_block_count_z
      - .offset:         220
        .size:           2
        .value_kind:     hidden_group_size_x
      - .offset:         222
        .size:           2
        .value_kind:     hidden_group_size_y
      - .offset:         224
        .size:           2
        .value_kind:     hidden_group_size_z
      - .offset:         226
        .size:           2
        .value_kind:     hidden_remainder_x
      - .offset:         228
        .size:           2
        .value_kind:     hidden_remainder_y
      - .offset:         230
        .size:           2
        .value_kind:     hidden_remainder_z
      - .offset:         248
        .size:           8
        .value_kind:     hidden_global_offset_x
      - .offset:         256
        .size:           8
        .value_kind:     hidden_global_offset_y
      - .offset:         264
        .size:           8
        .value_kind:     hidden_global_offset_z
      - .offset:         272
        .size:           2
        .value_kind:     hidden_grid_dims
      - .offset:         288
        .size:           8
        .value_kind:     hidden_hostcall_buffer
    .group_segment_fixed_size: 0
    .kernarg_segment_align: 8
    .kernarg_segment_size: 464
    .language:       OpenCL C
    .language_version:
      - 2
      - 0
    .max_flat_workgroup_size: 256
    .name:           _ZL15flash_attn_tileILi112ELi112ELi16ELi2ELb1EEvPKcS1_S1_S1_S1_PKiPfP15HIP_vector_typeIfLj2EEffffjfiS5_IjLj3EEiiiiiiiiiiiliiliiiiil
    .private_segment_fixed_size: 16
    .sgpr_count:     40
    .sgpr_spill_count: 0
    .symbol:         _ZL15flash_attn_tileILi112ELi112ELi16ELi2ELb1EEvPKcS1_S1_S1_S1_PKiPfP15HIP_vector_typeIfLj2EEffffjfiS5_IjLj3EEiiiiiiiiiiiliiliiiiil.kd
    .uniform_work_group_size: 1
    .uses_dynamic_stack: false
    .vgpr_count:     50
    .vgpr_spill_count: 0
    .wavefront_size: 64
  - .agpr_count:     0
    .args:
      - .address_space:  global
        .offset:         0
        .size:           8
        .value_kind:     global_buffer
      - .address_space:  global
        .offset:         8
        .size:           8
        .value_kind:     global_buffer
      - .address_space:  global
        .offset:         16
        .size:           8
        .value_kind:     global_buffer
      - .address_space:  global
        .offset:         24
        .size:           8
        .value_kind:     global_buffer
      - .address_space:  global
        .offset:         32
        .size:           8
        .value_kind:     global_buffer
      - .address_space:  global
        .offset:         40
        .size:           8
        .value_kind:     global_buffer
      - .address_space:  global
        .offset:         48
        .size:           8
        .value_kind:     global_buffer
      - .address_space:  global
        .offset:         56
        .size:           8
        .value_kind:     global_buffer
      - .offset:         64
        .size:           4
        .value_kind:     by_value
      - .offset:         68
        .size:           4
        .value_kind:     by_value
      - .offset:         72
        .size:           4
        .value_kind:     by_value
      - .offset:         76
        .size:           4
        .value_kind:     by_value
      - .offset:         80
        .size:           4
        .value_kind:     by_value
      - .offset:         84
        .size:           4
        .value_kind:     by_value
      - .offset:         88
        .size:           4
        .value_kind:     by_value
      - .offset:         92
        .size:           12
        .value_kind:     by_value
      - .offset:         104
        .size:           4
        .value_kind:     by_value
      - .offset:         108
        .size:           4
        .value_kind:     by_value
      - .offset:         112
        .size:           4
        .value_kind:     by_value
      - .offset:         116
        .size:           4
        .value_kind:     by_value
      - .offset:         120
        .size:           4
        .value_kind:     by_value
      - .offset:         124
        .size:           4
        .value_kind:     by_value
      - .offset:         128
        .size:           4
        .value_kind:     by_value
      - .offset:         132
        .size:           4
        .value_kind:     by_value
      - .offset:         136
        .size:           4
        .value_kind:     by_value
      - .offset:         140
        .size:           4
        .value_kind:     by_value
      - .offset:         144
        .size:           4
        .value_kind:     by_value
      - .offset:         152
        .size:           8
        .value_kind:     by_value
      - .offset:         160
        .size:           4
        .value_kind:     by_value
      - .offset:         164
        .size:           4
        .value_kind:     by_value
      - .offset:         168
        .size:           8
        .value_kind:     by_value
      - .offset:         176
        .size:           4
        .value_kind:     by_value
      - .offset:         180
        .size:           4
        .value_kind:     by_value
      - .offset:         184
        .size:           4
        .value_kind:     by_value
      - .offset:         188
        .size:           4
        .value_kind:     by_value
      - .offset:         192
        .size:           4
        .value_kind:     by_value
      - .offset:         200
        .size:           8
        .value_kind:     by_value
      - .offset:         208
        .size:           4
        .value_kind:     hidden_block_count_x
      - .offset:         212
        .size:           4
        .value_kind:     hidden_block_count_y
      - .offset:         216
        .size:           4
        .value_kind:     hidden_block_count_z
      - .offset:         220
        .size:           2
        .value_kind:     hidden_group_size_x
      - .offset:         222
        .size:           2
        .value_kind:     hidden_group_size_y
      - .offset:         224
        .size:           2
        .value_kind:     hidden_group_size_z
      - .offset:         226
        .size:           2
        .value_kind:     hidden_remainder_x
      - .offset:         228
        .size:           2
        .value_kind:     hidden_remainder_y
      - .offset:         230
        .size:           2
        .value_kind:     hidden_remainder_z
      - .offset:         248
        .size:           8
        .value_kind:     hidden_global_offset_x
      - .offset:         256
        .size:           8
        .value_kind:     hidden_global_offset_y
      - .offset:         264
        .size:           8
        .value_kind:     hidden_global_offset_z
      - .offset:         272
        .size:           2
        .value_kind:     hidden_grid_dims
      - .offset:         288
        .size:           8
        .value_kind:     hidden_hostcall_buffer
    .group_segment_fixed_size: 0
    .kernarg_segment_align: 8
    .kernarg_segment_size: 464
    .language:       OpenCL C
    .language_version:
      - 2
      - 0
    .max_flat_workgroup_size: 256
    .name:           _ZL15flash_attn_tileILi112ELi112ELi8ELi2ELb1EEvPKcS1_S1_S1_S1_PKiPfP15HIP_vector_typeIfLj2EEffffjfiS5_IjLj3EEiiiiiiiiiiiliiliiiiil
    .private_segment_fixed_size: 16
    .sgpr_count:     40
    .sgpr_spill_count: 0
    .symbol:         _ZL15flash_attn_tileILi112ELi112ELi8ELi2ELb1EEvPKcS1_S1_S1_S1_PKiPfP15HIP_vector_typeIfLj2EEffffjfiS5_IjLj3EEiiiiiiiiiiiliiliiiiil.kd
    .uniform_work_group_size: 1
    .uses_dynamic_stack: false
    .vgpr_count:     50
    .vgpr_spill_count: 0
    .wavefront_size: 64
  - .agpr_count:     0
    .args:
      - .address_space:  global
        .offset:         0
        .size:           8
        .value_kind:     global_buffer
      - .address_space:  global
        .offset:         8
        .size:           8
        .value_kind:     global_buffer
      - .address_space:  global
        .offset:         16
        .size:           8
        .value_kind:     global_buffer
      - .address_space:  global
        .offset:         24
        .size:           8
        .value_kind:     global_buffer
      - .address_space:  global
        .offset:         32
        .size:           8
        .value_kind:     global_buffer
      - .address_space:  global
        .offset:         40
        .size:           8
        .value_kind:     global_buffer
      - .address_space:  global
        .offset:         48
        .size:           8
        .value_kind:     global_buffer
      - .address_space:  global
        .offset:         56
        .size:           8
        .value_kind:     global_buffer
      - .offset:         64
        .size:           4
        .value_kind:     by_value
      - .offset:         68
        .size:           4
        .value_kind:     by_value
      - .offset:         72
        .size:           4
        .value_kind:     by_value
      - .offset:         76
        .size:           4
        .value_kind:     by_value
      - .offset:         80
        .size:           4
        .value_kind:     by_value
      - .offset:         84
        .size:           4
        .value_kind:     by_value
      - .offset:         88
        .size:           4
        .value_kind:     by_value
      - .offset:         92
        .size:           12
        .value_kind:     by_value
      - .offset:         104
        .size:           4
        .value_kind:     by_value
      - .offset:         108
        .size:           4
        .value_kind:     by_value
      - .offset:         112
        .size:           4
        .value_kind:     by_value
      - .offset:         116
        .size:           4
        .value_kind:     by_value
      - .offset:         120
        .size:           4
        .value_kind:     by_value
      - .offset:         124
        .size:           4
        .value_kind:     by_value
      - .offset:         128
        .size:           4
        .value_kind:     by_value
      - .offset:         132
        .size:           4
        .value_kind:     by_value
      - .offset:         136
        .size:           4
        .value_kind:     by_value
      - .offset:         140
        .size:           4
        .value_kind:     by_value
      - .offset:         144
        .size:           4
        .value_kind:     by_value
      - .offset:         152
        .size:           8
        .value_kind:     by_value
      - .offset:         160
        .size:           4
        .value_kind:     by_value
      - .offset:         164
        .size:           4
        .value_kind:     by_value
      - .offset:         168
        .size:           8
        .value_kind:     by_value
      - .offset:         176
        .size:           4
        .value_kind:     by_value
      - .offset:         180
        .size:           4
        .value_kind:     by_value
      - .offset:         184
        .size:           4
        .value_kind:     by_value
      - .offset:         188
        .size:           4
        .value_kind:     by_value
      - .offset:         192
        .size:           4
        .value_kind:     by_value
      - .offset:         200
        .size:           8
        .value_kind:     by_value
      - .offset:         208
        .size:           4
        .value_kind:     hidden_block_count_x
      - .offset:         212
        .size:           4
        .value_kind:     hidden_block_count_y
      - .offset:         216
        .size:           4
        .value_kind:     hidden_block_count_z
      - .offset:         220
        .size:           2
        .value_kind:     hidden_group_size_x
      - .offset:         222
        .size:           2
        .value_kind:     hidden_group_size_y
      - .offset:         224
        .size:           2
        .value_kind:     hidden_group_size_z
      - .offset:         226
        .size:           2
        .value_kind:     hidden_remainder_x
      - .offset:         228
        .size:           2
        .value_kind:     hidden_remainder_y
      - .offset:         230
        .size:           2
        .value_kind:     hidden_remainder_z
      - .offset:         248
        .size:           8
        .value_kind:     hidden_global_offset_x
      - .offset:         256
        .size:           8
        .value_kind:     hidden_global_offset_y
      - .offset:         264
        .size:           8
        .value_kind:     hidden_global_offset_z
      - .offset:         272
        .size:           2
        .value_kind:     hidden_grid_dims
      - .offset:         288
        .size:           8
        .value_kind:     hidden_hostcall_buffer
    .group_segment_fixed_size: 0
    .kernarg_segment_align: 8
    .kernarg_segment_size: 464
    .language:       OpenCL C
    .language_version:
      - 2
      - 0
    .max_flat_workgroup_size: 256
    .name:           _ZL15flash_attn_tileILi112ELi112ELi4ELi2ELb1EEvPKcS1_S1_S1_S1_PKiPfP15HIP_vector_typeIfLj2EEffffjfiS5_IjLj3EEiiiiiiiiiiiliiliiiiil
    .private_segment_fixed_size: 16
    .sgpr_count:     40
    .sgpr_spill_count: 0
    .symbol:         _ZL15flash_attn_tileILi112ELi112ELi4ELi2ELb1EEvPKcS1_S1_S1_S1_PKiPfP15HIP_vector_typeIfLj2EEffffjfiS5_IjLj3EEiiiiiiiiiiiliiliiiiil.kd
    .uniform_work_group_size: 1
    .uses_dynamic_stack: false
    .vgpr_count:     50
    .vgpr_spill_count: 0
    .wavefront_size: 64
  - .agpr_count:     0
    .args:
      - .address_space:  global
        .offset:         0
        .size:           8
        .value_kind:     global_buffer
      - .address_space:  global
        .offset:         8
        .size:           8
        .value_kind:     global_buffer
      - .address_space:  global
        .offset:         16
        .size:           8
        .value_kind:     global_buffer
      - .address_space:  global
        .offset:         24
        .size:           8
        .value_kind:     global_buffer
      - .address_space:  global
        .offset:         32
        .size:           8
        .value_kind:     global_buffer
      - .address_space:  global
        .offset:         40
        .size:           8
        .value_kind:     global_buffer
      - .address_space:  global
        .offset:         48
        .size:           8
        .value_kind:     global_buffer
      - .address_space:  global
        .offset:         56
        .size:           8
        .value_kind:     global_buffer
      - .offset:         64
        .size:           4
        .value_kind:     by_value
      - .offset:         68
        .size:           4
        .value_kind:     by_value
      - .offset:         72
        .size:           4
        .value_kind:     by_value
      - .offset:         76
        .size:           4
        .value_kind:     by_value
      - .offset:         80
        .size:           4
        .value_kind:     by_value
      - .offset:         84
        .size:           4
        .value_kind:     by_value
      - .offset:         88
        .size:           4
        .value_kind:     by_value
      - .offset:         92
        .size:           12
        .value_kind:     by_value
      - .offset:         104
        .size:           4
        .value_kind:     by_value
      - .offset:         108
        .size:           4
        .value_kind:     by_value
      - .offset:         112
        .size:           4
        .value_kind:     by_value
      - .offset:         116
        .size:           4
        .value_kind:     by_value
      - .offset:         120
        .size:           4
        .value_kind:     by_value
      - .offset:         124
        .size:           4
        .value_kind:     by_value
      - .offset:         128
        .size:           4
        .value_kind:     by_value
      - .offset:         132
        .size:           4
        .value_kind:     by_value
      - .offset:         136
        .size:           4
        .value_kind:     by_value
      - .offset:         140
        .size:           4
        .value_kind:     by_value
      - .offset:         144
        .size:           4
        .value_kind:     by_value
      - .offset:         152
        .size:           8
        .value_kind:     by_value
      - .offset:         160
        .size:           4
        .value_kind:     by_value
      - .offset:         164
        .size:           4
        .value_kind:     by_value
      - .offset:         168
        .size:           8
        .value_kind:     by_value
      - .offset:         176
        .size:           4
        .value_kind:     by_value
      - .offset:         180
        .size:           4
        .value_kind:     by_value
      - .offset:         184
        .size:           4
        .value_kind:     by_value
      - .offset:         188
        .size:           4
        .value_kind:     by_value
      - .offset:         192
        .size:           4
        .value_kind:     by_value
      - .offset:         200
        .size:           8
        .value_kind:     by_value
      - .offset:         208
        .size:           4
        .value_kind:     hidden_block_count_x
      - .offset:         212
        .size:           4
        .value_kind:     hidden_block_count_y
      - .offset:         216
        .size:           4
        .value_kind:     hidden_block_count_z
      - .offset:         220
        .size:           2
        .value_kind:     hidden_group_size_x
      - .offset:         222
        .size:           2
        .value_kind:     hidden_group_size_y
      - .offset:         224
        .size:           2
        .value_kind:     hidden_group_size_z
      - .offset:         226
        .size:           2
        .value_kind:     hidden_remainder_x
      - .offset:         228
        .size:           2
        .value_kind:     hidden_remainder_y
      - .offset:         230
        .size:           2
        .value_kind:     hidden_remainder_z
      - .offset:         248
        .size:           8
        .value_kind:     hidden_global_offset_x
      - .offset:         256
        .size:           8
        .value_kind:     hidden_global_offset_y
      - .offset:         264
        .size:           8
        .value_kind:     hidden_global_offset_z
      - .offset:         272
        .size:           2
        .value_kind:     hidden_grid_dims
      - .offset:         288
        .size:           8
        .value_kind:     hidden_hostcall_buffer
    .group_segment_fixed_size: 0
    .kernarg_segment_align: 8
    .kernarg_segment_size: 464
    .language:       OpenCL C
    .language_version:
      - 2
      - 0
    .max_flat_workgroup_size: 128
    .name:           _ZL15flash_attn_tileILi112ELi112ELi2ELi2ELb1EEvPKcS1_S1_S1_S1_PKiPfP15HIP_vector_typeIfLj2EEffffjfiS5_IjLj3EEiiiiiiiiiiiliiliiiiil
    .private_segment_fixed_size: 16
    .sgpr_count:     40
    .sgpr_spill_count: 0
    .symbol:         _ZL15flash_attn_tileILi112ELi112ELi2ELi2ELb1EEvPKcS1_S1_S1_S1_PKiPfP15HIP_vector_typeIfLj2EEffffjfiS5_IjLj3EEiiiiiiiiiiiliiliiiiil.kd
    .uniform_work_group_size: 1
    .uses_dynamic_stack: false
    .vgpr_count:     50
    .vgpr_spill_count: 0
    .wavefront_size: 64
  - .agpr_count:     0
    .args:
      - .address_space:  global
        .offset:         0
        .size:           8
        .value_kind:     global_buffer
      - .address_space:  global
        .offset:         8
        .size:           8
        .value_kind:     global_buffer
      - .address_space:  global
        .offset:         16
        .size:           8
        .value_kind:     global_buffer
      - .address_space:  global
        .offset:         24
        .size:           8
        .value_kind:     global_buffer
      - .address_space:  global
        .offset:         32
        .size:           8
        .value_kind:     global_buffer
      - .address_space:  global
        .offset:         40
        .size:           8
        .value_kind:     global_buffer
      - .address_space:  global
        .offset:         48
        .size:           8
        .value_kind:     global_buffer
      - .address_space:  global
        .offset:         56
        .size:           8
        .value_kind:     global_buffer
      - .offset:         64
        .size:           4
        .value_kind:     by_value
      - .offset:         68
        .size:           4
        .value_kind:     by_value
      - .offset:         72
        .size:           4
        .value_kind:     by_value
      - .offset:         76
        .size:           4
        .value_kind:     by_value
      - .offset:         80
        .size:           4
        .value_kind:     by_value
      - .offset:         84
        .size:           4
        .value_kind:     by_value
      - .offset:         88
        .size:           4
        .value_kind:     by_value
      - .offset:         92
        .size:           12
        .value_kind:     by_value
      - .offset:         104
        .size:           4
        .value_kind:     by_value
      - .offset:         108
        .size:           4
        .value_kind:     by_value
      - .offset:         112
        .size:           4
        .value_kind:     by_value
      - .offset:         116
        .size:           4
        .value_kind:     by_value
      - .offset:         120
        .size:           4
        .value_kind:     by_value
      - .offset:         124
        .size:           4
        .value_kind:     by_value
      - .offset:         128
        .size:           4
        .value_kind:     by_value
      - .offset:         132
        .size:           4
        .value_kind:     by_value
      - .offset:         136
        .size:           4
        .value_kind:     by_value
      - .offset:         140
        .size:           4
        .value_kind:     by_value
      - .offset:         144
        .size:           4
        .value_kind:     by_value
      - .offset:         152
        .size:           8
        .value_kind:     by_value
      - .offset:         160
        .size:           4
        .value_kind:     by_value
      - .offset:         164
        .size:           4
        .value_kind:     by_value
      - .offset:         168
        .size:           8
        .value_kind:     by_value
      - .offset:         176
        .size:           4
        .value_kind:     by_value
      - .offset:         180
        .size:           4
        .value_kind:     by_value
      - .offset:         184
        .size:           4
        .value_kind:     by_value
      - .offset:         188
        .size:           4
        .value_kind:     by_value
      - .offset:         192
        .size:           4
        .value_kind:     by_value
      - .offset:         200
        .size:           8
        .value_kind:     by_value
      - .offset:         208
        .size:           4
        .value_kind:     hidden_block_count_x
      - .offset:         212
        .size:           4
        .value_kind:     hidden_block_count_y
      - .offset:         216
        .size:           4
        .value_kind:     hidden_block_count_z
      - .offset:         220
        .size:           2
        .value_kind:     hidden_group_size_x
      - .offset:         222
        .size:           2
        .value_kind:     hidden_group_size_y
      - .offset:         224
        .size:           2
        .value_kind:     hidden_group_size_z
      - .offset:         226
        .size:           2
        .value_kind:     hidden_remainder_x
      - .offset:         228
        .size:           2
        .value_kind:     hidden_remainder_y
      - .offset:         230
        .size:           2
        .value_kind:     hidden_remainder_z
      - .offset:         248
        .size:           8
        .value_kind:     hidden_global_offset_x
      - .offset:         256
        .size:           8
        .value_kind:     hidden_global_offset_y
      - .offset:         264
        .size:           8
        .value_kind:     hidden_global_offset_z
      - .offset:         272
        .size:           2
        .value_kind:     hidden_grid_dims
      - .offset:         288
        .size:           8
        .value_kind:     hidden_hostcall_buffer
    .group_segment_fixed_size: 0
    .kernarg_segment_align: 8
    .kernarg_segment_size: 464
    .language:       OpenCL C
    .language_version:
      - 2
      - 0
    .max_flat_workgroup_size: 64
    .name:           _ZL15flash_attn_tileILi112ELi112ELi1ELi2ELb1EEvPKcS1_S1_S1_S1_PKiPfP15HIP_vector_typeIfLj2EEffffjfiS5_IjLj3EEiiiiiiiiiiiliiliiiiil
    .private_segment_fixed_size: 16
    .sgpr_count:     40
    .sgpr_spill_count: 0
    .symbol:         _ZL15flash_attn_tileILi112ELi112ELi1ELi2ELb1EEvPKcS1_S1_S1_S1_PKiPfP15HIP_vector_typeIfLj2EEffffjfiS5_IjLj3EEiiiiiiiiiiiliiliiiiil.kd
    .uniform_work_group_size: 1
    .uses_dynamic_stack: false
    .vgpr_count:     50
    .vgpr_spill_count: 0
    .wavefront_size: 64
  - .agpr_count:     0
    .args:
      - .address_space:  global
        .offset:         0
        .size:           8
        .value_kind:     global_buffer
      - .address_space:  global
        .offset:         8
        .size:           8
        .value_kind:     global_buffer
      - .address_space:  global
        .offset:         16
        .size:           8
        .value_kind:     global_buffer
      - .address_space:  global
        .offset:         24
        .size:           8
        .value_kind:     global_buffer
      - .address_space:  global
        .offset:         32
        .size:           8
        .value_kind:     global_buffer
      - .address_space:  global
        .offset:         40
        .size:           8
        .value_kind:     global_buffer
      - .address_space:  global
        .offset:         48
        .size:           8
        .value_kind:     global_buffer
      - .address_space:  global
        .offset:         56
        .size:           8
        .value_kind:     global_buffer
      - .offset:         64
        .size:           4
        .value_kind:     by_value
      - .offset:         68
        .size:           4
        .value_kind:     by_value
      - .offset:         72
        .size:           4
        .value_kind:     by_value
      - .offset:         76
        .size:           4
        .value_kind:     by_value
      - .offset:         80
        .size:           4
        .value_kind:     by_value
      - .offset:         84
        .size:           4
        .value_kind:     by_value
      - .offset:         88
        .size:           4
        .value_kind:     by_value
      - .offset:         92
        .size:           12
        .value_kind:     by_value
      - .offset:         104
        .size:           4
        .value_kind:     by_value
      - .offset:         108
        .size:           4
        .value_kind:     by_value
      - .offset:         112
        .size:           4
        .value_kind:     by_value
      - .offset:         116
        .size:           4
        .value_kind:     by_value
      - .offset:         120
        .size:           4
        .value_kind:     by_value
      - .offset:         124
        .size:           4
        .value_kind:     by_value
      - .offset:         128
        .size:           4
        .value_kind:     by_value
      - .offset:         132
        .size:           4
        .value_kind:     by_value
      - .offset:         136
        .size:           4
        .value_kind:     by_value
      - .offset:         140
        .size:           4
        .value_kind:     by_value
      - .offset:         144
        .size:           4
        .value_kind:     by_value
      - .offset:         152
        .size:           8
        .value_kind:     by_value
      - .offset:         160
        .size:           4
        .value_kind:     by_value
      - .offset:         164
        .size:           4
        .value_kind:     by_value
      - .offset:         168
        .size:           8
        .value_kind:     by_value
      - .offset:         176
        .size:           4
        .value_kind:     by_value
      - .offset:         180
        .size:           4
        .value_kind:     by_value
      - .offset:         184
        .size:           4
        .value_kind:     by_value
      - .offset:         188
        .size:           4
        .value_kind:     by_value
      - .offset:         192
        .size:           4
        .value_kind:     by_value
      - .offset:         200
        .size:           8
        .value_kind:     by_value
      - .offset:         208
        .size:           4
        .value_kind:     hidden_block_count_x
      - .offset:         212
        .size:           4
        .value_kind:     hidden_block_count_y
      - .offset:         216
        .size:           4
        .value_kind:     hidden_block_count_z
      - .offset:         220
        .size:           2
        .value_kind:     hidden_group_size_x
      - .offset:         222
        .size:           2
        .value_kind:     hidden_group_size_y
      - .offset:         224
        .size:           2
        .value_kind:     hidden_group_size_z
      - .offset:         226
        .size:           2
        .value_kind:     hidden_remainder_x
      - .offset:         228
        .size:           2
        .value_kind:     hidden_remainder_y
      - .offset:         230
        .size:           2
        .value_kind:     hidden_remainder_z
      - .offset:         248
        .size:           8
        .value_kind:     hidden_global_offset_x
      - .offset:         256
        .size:           8
        .value_kind:     hidden_global_offset_y
      - .offset:         264
        .size:           8
        .value_kind:     hidden_global_offset_z
      - .offset:         272
        .size:           2
        .value_kind:     hidden_grid_dims
      - .offset:         288
        .size:           8
        .value_kind:     hidden_hostcall_buffer
    .group_segment_fixed_size: 0
    .kernarg_segment_align: 8
    .kernarg_segment_size: 464
    .language:       OpenCL C
    .language_version:
      - 2
      - 0
    .max_flat_workgroup_size: 256
    .name:           _ZL15flash_attn_tileILi112ELi112ELi64ELi1ELb1EEvPKcS1_S1_S1_S1_PKiPfP15HIP_vector_typeIfLj2EEffffjfiS5_IjLj3EEiiiiiiiiiiiliiliiiiil
    .private_segment_fixed_size: 16
    .sgpr_count:     40
    .sgpr_spill_count: 0
    .symbol:         _ZL15flash_attn_tileILi112ELi112ELi64ELi1ELb1EEvPKcS1_S1_S1_S1_PKiPfP15HIP_vector_typeIfLj2EEffffjfiS5_IjLj3EEiiiiiiiiiiiliiliiiiil.kd
    .uniform_work_group_size: 1
    .uses_dynamic_stack: false
    .vgpr_count:     50
    .vgpr_spill_count: 0
    .wavefront_size: 64
  - .agpr_count:     0
    .args:
      - .address_space:  global
        .offset:         0
        .size:           8
        .value_kind:     global_buffer
      - .address_space:  global
        .offset:         8
        .size:           8
        .value_kind:     global_buffer
      - .address_space:  global
        .offset:         16
        .size:           8
        .value_kind:     global_buffer
      - .address_space:  global
        .offset:         24
        .size:           8
        .value_kind:     global_buffer
      - .address_space:  global
        .offset:         32
        .size:           8
        .value_kind:     global_buffer
      - .address_space:  global
        .offset:         40
        .size:           8
        .value_kind:     global_buffer
      - .address_space:  global
        .offset:         48
        .size:           8
        .value_kind:     global_buffer
      - .address_space:  global
        .offset:         56
        .size:           8
        .value_kind:     global_buffer
      - .offset:         64
        .size:           4
        .value_kind:     by_value
      - .offset:         68
        .size:           4
        .value_kind:     by_value
      - .offset:         72
        .size:           4
        .value_kind:     by_value
      - .offset:         76
        .size:           4
        .value_kind:     by_value
      - .offset:         80
        .size:           4
        .value_kind:     by_value
      - .offset:         84
        .size:           4
        .value_kind:     by_value
      - .offset:         88
        .size:           4
        .value_kind:     by_value
      - .offset:         92
        .size:           12
        .value_kind:     by_value
      - .offset:         104
        .size:           4
        .value_kind:     by_value
      - .offset:         108
        .size:           4
        .value_kind:     by_value
      - .offset:         112
        .size:           4
        .value_kind:     by_value
      - .offset:         116
        .size:           4
        .value_kind:     by_value
      - .offset:         120
        .size:           4
        .value_kind:     by_value
      - .offset:         124
        .size:           4
        .value_kind:     by_value
      - .offset:         128
        .size:           4
        .value_kind:     by_value
      - .offset:         132
        .size:           4
        .value_kind:     by_value
      - .offset:         136
        .size:           4
        .value_kind:     by_value
      - .offset:         140
        .size:           4
        .value_kind:     by_value
      - .offset:         144
        .size:           4
        .value_kind:     by_value
      - .offset:         152
        .size:           8
        .value_kind:     by_value
      - .offset:         160
        .size:           4
        .value_kind:     by_value
      - .offset:         164
        .size:           4
        .value_kind:     by_value
      - .offset:         168
        .size:           8
        .value_kind:     by_value
      - .offset:         176
        .size:           4
        .value_kind:     by_value
      - .offset:         180
        .size:           4
        .value_kind:     by_value
      - .offset:         184
        .size:           4
        .value_kind:     by_value
      - .offset:         188
        .size:           4
        .value_kind:     by_value
      - .offset:         192
        .size:           4
        .value_kind:     by_value
      - .offset:         200
        .size:           8
        .value_kind:     by_value
      - .offset:         208
        .size:           4
        .value_kind:     hidden_block_count_x
      - .offset:         212
        .size:           4
        .value_kind:     hidden_block_count_y
      - .offset:         216
        .size:           4
        .value_kind:     hidden_block_count_z
      - .offset:         220
        .size:           2
        .value_kind:     hidden_group_size_x
      - .offset:         222
        .size:           2
        .value_kind:     hidden_group_size_y
      - .offset:         224
        .size:           2
        .value_kind:     hidden_group_size_z
      - .offset:         226
        .size:           2
        .value_kind:     hidden_remainder_x
      - .offset:         228
        .size:           2
        .value_kind:     hidden_remainder_y
      - .offset:         230
        .size:           2
        .value_kind:     hidden_remainder_z
      - .offset:         248
        .size:           8
        .value_kind:     hidden_global_offset_x
      - .offset:         256
        .size:           8
        .value_kind:     hidden_global_offset_y
      - .offset:         264
        .size:           8
        .value_kind:     hidden_global_offset_z
      - .offset:         272
        .size:           2
        .value_kind:     hidden_grid_dims
      - .offset:         288
        .size:           8
        .value_kind:     hidden_hostcall_buffer
    .group_segment_fixed_size: 0
    .kernarg_segment_align: 8
    .kernarg_segment_size: 464
    .language:       OpenCL C
    .language_version:
      - 2
      - 0
    .max_flat_workgroup_size: 256
    .name:           _ZL15flash_attn_tileILi112ELi112ELi32ELi1ELb1EEvPKcS1_S1_S1_S1_PKiPfP15HIP_vector_typeIfLj2EEffffjfiS5_IjLj3EEiiiiiiiiiiiliiliiiiil
    .private_segment_fixed_size: 16
    .sgpr_count:     40
    .sgpr_spill_count: 0
    .symbol:         _ZL15flash_attn_tileILi112ELi112ELi32ELi1ELb1EEvPKcS1_S1_S1_S1_PKiPfP15HIP_vector_typeIfLj2EEffffjfiS5_IjLj3EEiiiiiiiiiiiliiliiiiil.kd
    .uniform_work_group_size: 1
    .uses_dynamic_stack: false
    .vgpr_count:     50
    .vgpr_spill_count: 0
    .wavefront_size: 64
  - .agpr_count:     0
    .args:
      - .address_space:  global
        .offset:         0
        .size:           8
        .value_kind:     global_buffer
      - .address_space:  global
        .offset:         8
        .size:           8
        .value_kind:     global_buffer
      - .address_space:  global
        .offset:         16
        .size:           8
        .value_kind:     global_buffer
      - .address_space:  global
        .offset:         24
        .size:           8
        .value_kind:     global_buffer
      - .address_space:  global
        .offset:         32
        .size:           8
        .value_kind:     global_buffer
      - .address_space:  global
        .offset:         40
        .size:           8
        .value_kind:     global_buffer
      - .address_space:  global
        .offset:         48
        .size:           8
        .value_kind:     global_buffer
      - .address_space:  global
        .offset:         56
        .size:           8
        .value_kind:     global_buffer
      - .offset:         64
        .size:           4
        .value_kind:     by_value
      - .offset:         68
        .size:           4
        .value_kind:     by_value
      - .offset:         72
        .size:           4
        .value_kind:     by_value
      - .offset:         76
        .size:           4
        .value_kind:     by_value
      - .offset:         80
        .size:           4
        .value_kind:     by_value
      - .offset:         84
        .size:           4
        .value_kind:     by_value
      - .offset:         88
        .size:           4
        .value_kind:     by_value
      - .offset:         92
        .size:           12
        .value_kind:     by_value
      - .offset:         104
        .size:           4
        .value_kind:     by_value
      - .offset:         108
        .size:           4
        .value_kind:     by_value
      - .offset:         112
        .size:           4
        .value_kind:     by_value
      - .offset:         116
        .size:           4
        .value_kind:     by_value
      - .offset:         120
        .size:           4
        .value_kind:     by_value
      - .offset:         124
        .size:           4
        .value_kind:     by_value
      - .offset:         128
        .size:           4
        .value_kind:     by_value
      - .offset:         132
        .size:           4
        .value_kind:     by_value
      - .offset:         136
        .size:           4
        .value_kind:     by_value
      - .offset:         140
        .size:           4
        .value_kind:     by_value
      - .offset:         144
        .size:           4
        .value_kind:     by_value
      - .offset:         152
        .size:           8
        .value_kind:     by_value
      - .offset:         160
        .size:           4
        .value_kind:     by_value
      - .offset:         164
        .size:           4
        .value_kind:     by_value
      - .offset:         168
        .size:           8
        .value_kind:     by_value
      - .offset:         176
        .size:           4
        .value_kind:     by_value
      - .offset:         180
        .size:           4
        .value_kind:     by_value
      - .offset:         184
        .size:           4
        .value_kind:     by_value
      - .offset:         188
        .size:           4
        .value_kind:     by_value
      - .offset:         192
        .size:           4
        .value_kind:     by_value
      - .offset:         200
        .size:           8
        .value_kind:     by_value
      - .offset:         208
        .size:           4
        .value_kind:     hidden_block_count_x
      - .offset:         212
        .size:           4
        .value_kind:     hidden_block_count_y
      - .offset:         216
        .size:           4
        .value_kind:     hidden_block_count_z
      - .offset:         220
        .size:           2
        .value_kind:     hidden_group_size_x
      - .offset:         222
        .size:           2
        .value_kind:     hidden_group_size_y
      - .offset:         224
        .size:           2
        .value_kind:     hidden_group_size_z
      - .offset:         226
        .size:           2
        .value_kind:     hidden_remainder_x
      - .offset:         228
        .size:           2
        .value_kind:     hidden_remainder_y
      - .offset:         230
        .size:           2
        .value_kind:     hidden_remainder_z
      - .offset:         248
        .size:           8
        .value_kind:     hidden_global_offset_x
      - .offset:         256
        .size:           8
        .value_kind:     hidden_global_offset_y
      - .offset:         264
        .size:           8
        .value_kind:     hidden_global_offset_z
      - .offset:         272
        .size:           2
        .value_kind:     hidden_grid_dims
      - .offset:         288
        .size:           8
        .value_kind:     hidden_hostcall_buffer
    .group_segment_fixed_size: 0
    .kernarg_segment_align: 8
    .kernarg_segment_size: 464
    .language:       OpenCL C
    .language_version:
      - 2
      - 0
    .max_flat_workgroup_size: 256
    .name:           _ZL15flash_attn_tileILi112ELi112ELi16ELi1ELb1EEvPKcS1_S1_S1_S1_PKiPfP15HIP_vector_typeIfLj2EEffffjfiS5_IjLj3EEiiiiiiiiiiiliiliiiiil
    .private_segment_fixed_size: 16
    .sgpr_count:     40
    .sgpr_spill_count: 0
    .symbol:         _ZL15flash_attn_tileILi112ELi112ELi16ELi1ELb1EEvPKcS1_S1_S1_S1_PKiPfP15HIP_vector_typeIfLj2EEffffjfiS5_IjLj3EEiiiiiiiiiiiliiliiiiil.kd
    .uniform_work_group_size: 1
    .uses_dynamic_stack: false
    .vgpr_count:     50
    .vgpr_spill_count: 0
    .wavefront_size: 64
  - .agpr_count:     0
    .args:
      - .address_space:  global
        .offset:         0
        .size:           8
        .value_kind:     global_buffer
      - .address_space:  global
        .offset:         8
        .size:           8
        .value_kind:     global_buffer
      - .address_space:  global
        .offset:         16
        .size:           8
        .value_kind:     global_buffer
      - .address_space:  global
        .offset:         24
        .size:           8
        .value_kind:     global_buffer
      - .address_space:  global
        .offset:         32
        .size:           8
        .value_kind:     global_buffer
      - .address_space:  global
        .offset:         40
        .size:           8
        .value_kind:     global_buffer
      - .address_space:  global
        .offset:         48
        .size:           8
        .value_kind:     global_buffer
      - .address_space:  global
        .offset:         56
        .size:           8
        .value_kind:     global_buffer
      - .offset:         64
        .size:           4
        .value_kind:     by_value
      - .offset:         68
        .size:           4
        .value_kind:     by_value
      - .offset:         72
        .size:           4
        .value_kind:     by_value
      - .offset:         76
        .size:           4
        .value_kind:     by_value
      - .offset:         80
        .size:           4
        .value_kind:     by_value
      - .offset:         84
        .size:           4
        .value_kind:     by_value
      - .offset:         88
        .size:           4
        .value_kind:     by_value
      - .offset:         92
        .size:           12
        .value_kind:     by_value
      - .offset:         104
        .size:           4
        .value_kind:     by_value
      - .offset:         108
        .size:           4
        .value_kind:     by_value
      - .offset:         112
        .size:           4
        .value_kind:     by_value
      - .offset:         116
        .size:           4
        .value_kind:     by_value
      - .offset:         120
        .size:           4
        .value_kind:     by_value
      - .offset:         124
        .size:           4
        .value_kind:     by_value
      - .offset:         128
        .size:           4
        .value_kind:     by_value
      - .offset:         132
        .size:           4
        .value_kind:     by_value
      - .offset:         136
        .size:           4
        .value_kind:     by_value
      - .offset:         140
        .size:           4
        .value_kind:     by_value
      - .offset:         144
        .size:           4
        .value_kind:     by_value
      - .offset:         152
        .size:           8
        .value_kind:     by_value
      - .offset:         160
        .size:           4
        .value_kind:     by_value
      - .offset:         164
        .size:           4
        .value_kind:     by_value
      - .offset:         168
        .size:           8
        .value_kind:     by_value
      - .offset:         176
        .size:           4
        .value_kind:     by_value
      - .offset:         180
        .size:           4
        .value_kind:     by_value
      - .offset:         184
        .size:           4
        .value_kind:     by_value
      - .offset:         188
        .size:           4
        .value_kind:     by_value
      - .offset:         192
        .size:           4
        .value_kind:     by_value
      - .offset:         200
        .size:           8
        .value_kind:     by_value
      - .offset:         208
        .size:           4
        .value_kind:     hidden_block_count_x
      - .offset:         212
        .size:           4
        .value_kind:     hidden_block_count_y
      - .offset:         216
        .size:           4
        .value_kind:     hidden_block_count_z
      - .offset:         220
        .size:           2
        .value_kind:     hidden_group_size_x
      - .offset:         222
        .size:           2
        .value_kind:     hidden_group_size_y
      - .offset:         224
        .size:           2
        .value_kind:     hidden_group_size_z
      - .offset:         226
        .size:           2
        .value_kind:     hidden_remainder_x
      - .offset:         228
        .size:           2
        .value_kind:     hidden_remainder_y
      - .offset:         230
        .size:           2
        .value_kind:     hidden_remainder_z
      - .offset:         248
        .size:           8
        .value_kind:     hidden_global_offset_x
      - .offset:         256
        .size:           8
        .value_kind:     hidden_global_offset_y
      - .offset:         264
        .size:           8
        .value_kind:     hidden_global_offset_z
      - .offset:         272
        .size:           2
        .value_kind:     hidden_grid_dims
      - .offset:         288
        .size:           8
        .value_kind:     hidden_hostcall_buffer
    .group_segment_fixed_size: 0
    .kernarg_segment_align: 8
    .kernarg_segment_size: 464
    .language:       OpenCL C
    .language_version:
      - 2
      - 0
    .max_flat_workgroup_size: 256
    .name:           _ZL15flash_attn_tileILi112ELi112ELi8ELi1ELb1EEvPKcS1_S1_S1_S1_PKiPfP15HIP_vector_typeIfLj2EEffffjfiS5_IjLj3EEiiiiiiiiiiiliiliiiiil
    .private_segment_fixed_size: 16
    .sgpr_count:     40
    .sgpr_spill_count: 0
    .symbol:         _ZL15flash_attn_tileILi112ELi112ELi8ELi1ELb1EEvPKcS1_S1_S1_S1_PKiPfP15HIP_vector_typeIfLj2EEffffjfiS5_IjLj3EEiiiiiiiiiiiliiliiiiil.kd
    .uniform_work_group_size: 1
    .uses_dynamic_stack: false
    .vgpr_count:     50
    .vgpr_spill_count: 0
    .wavefront_size: 64
  - .agpr_count:     0
    .args:
      - .address_space:  global
        .offset:         0
        .size:           8
        .value_kind:     global_buffer
      - .address_space:  global
        .offset:         8
        .size:           8
        .value_kind:     global_buffer
      - .address_space:  global
        .offset:         16
        .size:           8
        .value_kind:     global_buffer
      - .address_space:  global
        .offset:         24
        .size:           8
        .value_kind:     global_buffer
      - .address_space:  global
        .offset:         32
        .size:           8
        .value_kind:     global_buffer
      - .address_space:  global
        .offset:         40
        .size:           8
        .value_kind:     global_buffer
      - .address_space:  global
        .offset:         48
        .size:           8
        .value_kind:     global_buffer
      - .address_space:  global
        .offset:         56
        .size:           8
        .value_kind:     global_buffer
      - .offset:         64
        .size:           4
        .value_kind:     by_value
      - .offset:         68
        .size:           4
        .value_kind:     by_value
      - .offset:         72
        .size:           4
        .value_kind:     by_value
      - .offset:         76
        .size:           4
        .value_kind:     by_value
      - .offset:         80
        .size:           4
        .value_kind:     by_value
      - .offset:         84
        .size:           4
        .value_kind:     by_value
      - .offset:         88
        .size:           4
        .value_kind:     by_value
      - .offset:         92
        .size:           12
        .value_kind:     by_value
      - .offset:         104
        .size:           4
        .value_kind:     by_value
      - .offset:         108
        .size:           4
        .value_kind:     by_value
      - .offset:         112
        .size:           4
        .value_kind:     by_value
      - .offset:         116
        .size:           4
        .value_kind:     by_value
      - .offset:         120
        .size:           4
        .value_kind:     by_value
      - .offset:         124
        .size:           4
        .value_kind:     by_value
      - .offset:         128
        .size:           4
        .value_kind:     by_value
      - .offset:         132
        .size:           4
        .value_kind:     by_value
      - .offset:         136
        .size:           4
        .value_kind:     by_value
      - .offset:         140
        .size:           4
        .value_kind:     by_value
      - .offset:         144
        .size:           4
        .value_kind:     by_value
      - .offset:         152
        .size:           8
        .value_kind:     by_value
      - .offset:         160
        .size:           4
        .value_kind:     by_value
      - .offset:         164
        .size:           4
        .value_kind:     by_value
      - .offset:         168
        .size:           8
        .value_kind:     by_value
      - .offset:         176
        .size:           4
        .value_kind:     by_value
      - .offset:         180
        .size:           4
        .value_kind:     by_value
      - .offset:         184
        .size:           4
        .value_kind:     by_value
      - .offset:         188
        .size:           4
        .value_kind:     by_value
      - .offset:         192
        .size:           4
        .value_kind:     by_value
      - .offset:         200
        .size:           8
        .value_kind:     by_value
      - .offset:         208
        .size:           4
        .value_kind:     hidden_block_count_x
      - .offset:         212
        .size:           4
        .value_kind:     hidden_block_count_y
      - .offset:         216
        .size:           4
        .value_kind:     hidden_block_count_z
      - .offset:         220
        .size:           2
        .value_kind:     hidden_group_size_x
      - .offset:         222
        .size:           2
        .value_kind:     hidden_group_size_y
      - .offset:         224
        .size:           2
        .value_kind:     hidden_group_size_z
      - .offset:         226
        .size:           2
        .value_kind:     hidden_remainder_x
      - .offset:         228
        .size:           2
        .value_kind:     hidden_remainder_y
      - .offset:         230
        .size:           2
        .value_kind:     hidden_remainder_z
      - .offset:         248
        .size:           8
        .value_kind:     hidden_global_offset_x
      - .offset:         256
        .size:           8
        .value_kind:     hidden_global_offset_y
      - .offset:         264
        .size:           8
        .value_kind:     hidden_global_offset_z
      - .offset:         272
        .size:           2
        .value_kind:     hidden_grid_dims
      - .offset:         288
        .size:           8
        .value_kind:     hidden_hostcall_buffer
    .group_segment_fixed_size: 0
    .kernarg_segment_align: 8
    .kernarg_segment_size: 464
    .language:       OpenCL C
    .language_version:
      - 2
      - 0
    .max_flat_workgroup_size: 128
    .name:           _ZL15flash_attn_tileILi112ELi112ELi4ELi1ELb1EEvPKcS1_S1_S1_S1_PKiPfP15HIP_vector_typeIfLj2EEffffjfiS5_IjLj3EEiiiiiiiiiiiliiliiiiil
    .private_segment_fixed_size: 16
    .sgpr_count:     40
    .sgpr_spill_count: 0
    .symbol:         _ZL15flash_attn_tileILi112ELi112ELi4ELi1ELb1EEvPKcS1_S1_S1_S1_PKiPfP15HIP_vector_typeIfLj2EEffffjfiS5_IjLj3EEiiiiiiiiiiiliiliiiiil.kd
    .uniform_work_group_size: 1
    .uses_dynamic_stack: false
    .vgpr_count:     50
    .vgpr_spill_count: 0
    .wavefront_size: 64
  - .agpr_count:     0
    .args:
      - .address_space:  global
        .offset:         0
        .size:           8
        .value_kind:     global_buffer
      - .address_space:  global
        .offset:         8
        .size:           8
        .value_kind:     global_buffer
      - .address_space:  global
        .offset:         16
        .size:           8
        .value_kind:     global_buffer
      - .address_space:  global
        .offset:         24
        .size:           8
        .value_kind:     global_buffer
      - .address_space:  global
        .offset:         32
        .size:           8
        .value_kind:     global_buffer
      - .address_space:  global
        .offset:         40
        .size:           8
        .value_kind:     global_buffer
      - .address_space:  global
        .offset:         48
        .size:           8
        .value_kind:     global_buffer
      - .address_space:  global
        .offset:         56
        .size:           8
        .value_kind:     global_buffer
      - .offset:         64
        .size:           4
        .value_kind:     by_value
      - .offset:         68
        .size:           4
        .value_kind:     by_value
      - .offset:         72
        .size:           4
        .value_kind:     by_value
      - .offset:         76
        .size:           4
        .value_kind:     by_value
      - .offset:         80
        .size:           4
        .value_kind:     by_value
      - .offset:         84
        .size:           4
        .value_kind:     by_value
      - .offset:         88
        .size:           4
        .value_kind:     by_value
      - .offset:         92
        .size:           12
        .value_kind:     by_value
      - .offset:         104
        .size:           4
        .value_kind:     by_value
      - .offset:         108
        .size:           4
        .value_kind:     by_value
      - .offset:         112
        .size:           4
        .value_kind:     by_value
      - .offset:         116
        .size:           4
        .value_kind:     by_value
      - .offset:         120
        .size:           4
        .value_kind:     by_value
      - .offset:         124
        .size:           4
        .value_kind:     by_value
      - .offset:         128
        .size:           4
        .value_kind:     by_value
      - .offset:         132
        .size:           4
        .value_kind:     by_value
      - .offset:         136
        .size:           4
        .value_kind:     by_value
      - .offset:         140
        .size:           4
        .value_kind:     by_value
      - .offset:         144
        .size:           4
        .value_kind:     by_value
      - .offset:         152
        .size:           8
        .value_kind:     by_value
      - .offset:         160
        .size:           4
        .value_kind:     by_value
      - .offset:         164
        .size:           4
        .value_kind:     by_value
      - .offset:         168
        .size:           8
        .value_kind:     by_value
      - .offset:         176
        .size:           4
        .value_kind:     by_value
      - .offset:         180
        .size:           4
        .value_kind:     by_value
      - .offset:         184
        .size:           4
        .value_kind:     by_value
      - .offset:         188
        .size:           4
        .value_kind:     by_value
      - .offset:         192
        .size:           4
        .value_kind:     by_value
      - .offset:         200
        .size:           8
        .value_kind:     by_value
      - .offset:         208
        .size:           4
        .value_kind:     hidden_block_count_x
      - .offset:         212
        .size:           4
        .value_kind:     hidden_block_count_y
      - .offset:         216
        .size:           4
        .value_kind:     hidden_block_count_z
      - .offset:         220
        .size:           2
        .value_kind:     hidden_group_size_x
      - .offset:         222
        .size:           2
        .value_kind:     hidden_group_size_y
      - .offset:         224
        .size:           2
        .value_kind:     hidden_group_size_z
      - .offset:         226
        .size:           2
        .value_kind:     hidden_remainder_x
      - .offset:         228
        .size:           2
        .value_kind:     hidden_remainder_y
      - .offset:         230
        .size:           2
        .value_kind:     hidden_remainder_z
      - .offset:         248
        .size:           8
        .value_kind:     hidden_global_offset_x
      - .offset:         256
        .size:           8
        .value_kind:     hidden_global_offset_y
      - .offset:         264
        .size:           8
        .value_kind:     hidden_global_offset_z
      - .offset:         272
        .size:           2
        .value_kind:     hidden_grid_dims
      - .offset:         288
        .size:           8
        .value_kind:     hidden_hostcall_buffer
    .group_segment_fixed_size: 0
    .kernarg_segment_align: 8
    .kernarg_segment_size: 464
    .language:       OpenCL C
    .language_version:
      - 2
      - 0
    .max_flat_workgroup_size: 64
    .name:           _ZL15flash_attn_tileILi112ELi112ELi2ELi1ELb1EEvPKcS1_S1_S1_S1_PKiPfP15HIP_vector_typeIfLj2EEffffjfiS5_IjLj3EEiiiiiiiiiiiliiliiiiil
    .private_segment_fixed_size: 16
    .sgpr_count:     40
    .sgpr_spill_count: 0
    .symbol:         _ZL15flash_attn_tileILi112ELi112ELi2ELi1ELb1EEvPKcS1_S1_S1_S1_PKiPfP15HIP_vector_typeIfLj2EEffffjfiS5_IjLj3EEiiiiiiiiiiiliiliiiiil.kd
    .uniform_work_group_size: 1
    .uses_dynamic_stack: false
    .vgpr_count:     50
    .vgpr_spill_count: 0
    .wavefront_size: 64
amdhsa.target:   amdgcn-amd-amdhsa--gfx950
amdhsa.version:
  - 1
  - 2
...

	.end_amdgpu_metadata
